;; amdgpu-corpus repo=pytorch/pytorch kind=compiled arch=gfx1201 opt=O3
	.amdgcn_target "amdgcn-amd-amdhsa--gfx1201"
	.amdhsa_code_object_version 6
	.section	.text._ZN7rocprim17ROCPRIM_400000_NS6detail31init_lookback_scan_state_kernelINS1_19lookback_scan_stateIjLb0ELb1EEENS1_16block_id_wrapperIjLb0EEEEEvT_jT0_jPNS7_10value_typeE,"axG",@progbits,_ZN7rocprim17ROCPRIM_400000_NS6detail31init_lookback_scan_state_kernelINS1_19lookback_scan_stateIjLb0ELb1EEENS1_16block_id_wrapperIjLb0EEEEEvT_jT0_jPNS7_10value_typeE,comdat
	.protected	_ZN7rocprim17ROCPRIM_400000_NS6detail31init_lookback_scan_state_kernelINS1_19lookback_scan_stateIjLb0ELb1EEENS1_16block_id_wrapperIjLb0EEEEEvT_jT0_jPNS7_10value_typeE ; -- Begin function _ZN7rocprim17ROCPRIM_400000_NS6detail31init_lookback_scan_state_kernelINS1_19lookback_scan_stateIjLb0ELb1EEENS1_16block_id_wrapperIjLb0EEEEEvT_jT0_jPNS7_10value_typeE
	.globl	_ZN7rocprim17ROCPRIM_400000_NS6detail31init_lookback_scan_state_kernelINS1_19lookback_scan_stateIjLb0ELb1EEENS1_16block_id_wrapperIjLb0EEEEEvT_jT0_jPNS7_10value_typeE
	.p2align	8
	.type	_ZN7rocprim17ROCPRIM_400000_NS6detail31init_lookback_scan_state_kernelINS1_19lookback_scan_stateIjLb0ELb1EEENS1_16block_id_wrapperIjLb0EEEEEvT_jT0_jPNS7_10value_typeE,@function
_ZN7rocprim17ROCPRIM_400000_NS6detail31init_lookback_scan_state_kernelINS1_19lookback_scan_stateIjLb0ELb1EEENS1_16block_id_wrapperIjLb0EEEEEvT_jT0_jPNS7_10value_typeE: ; @_ZN7rocprim17ROCPRIM_400000_NS6detail31init_lookback_scan_state_kernelINS1_19lookback_scan_stateIjLb0ELb1EEENS1_16block_id_wrapperIjLb0EEEEEvT_jT0_jPNS7_10value_typeE
; %bb.0:
	s_clause 0x2
	s_load_b32 s7, s[0:1], 0x2c
	s_load_b64 s[2:3], s[0:1], 0x18
	s_load_b96 s[4:6], s[0:1], 0x0
	s_wait_kmcnt 0x0
	s_and_b32 s7, s7, 0xffff
	s_cmp_eq_u64 s[2:3], 0
	v_mad_co_u64_u32 v[0:1], null, ttmp9, s7, v[0:1]
	s_cbranch_scc1 .LBB0_6
; %bb.1:
	s_load_b32 s0, s[0:1], 0x10
	s_wait_kmcnt 0x0
	s_cmp_lt_u32 s0, s6
	s_cselect_b32 s1, s0, 0
	s_wait_alu 0xfffe
	v_cmp_eq_u32_e32 vcc_lo, s1, v0
	s_mov_b32 s1, 0
	s_and_saveexec_b32 s7, vcc_lo
	s_cbranch_execz .LBB0_5
; %bb.2:
	s_add_co_i32 s0, s0, 32
	v_mov_b32_e32 v3, 0
	s_wait_alu 0xfffe
	s_lshl_b64 s[0:1], s[0:1], 3
	s_wait_alu 0xfffe
	s_add_nc_u64 s[0:1], s[4:5], s[0:1]
	global_load_b64 v[1:2], v3, s[0:1] scope:SCOPE_DEV
	s_wait_loadcnt 0x0
	v_and_b32_e32 v4, 0xff, v2
	s_delay_alu instid0(VALU_DEP_1)
	v_cmp_ne_u64_e32 vcc_lo, 0, v[3:4]
	s_cbranch_vccnz .LBB0_4
.LBB0_3:                                ; =>This Inner Loop Header: Depth=1
	global_load_b64 v[1:2], v3, s[0:1] scope:SCOPE_DEV
	s_wait_loadcnt 0x0
	v_and_b32_e32 v4, 0xff, v2
	s_delay_alu instid0(VALU_DEP_1)
	v_cmp_eq_u64_e32 vcc_lo, 0, v[3:4]
	s_cbranch_vccnz .LBB0_3
.LBB0_4:
	v_mov_b32_e32 v2, 0
	global_store_b32 v2, v1, s[2:3]
.LBB0_5:
	s_wait_alu 0xfffe
	s_or_b32 exec_lo, exec_lo, s7
.LBB0_6:
	s_delay_alu instid0(SALU_CYCLE_1)
	s_mov_b32 s0, exec_lo
	v_cmpx_gt_u32_e64 s6, v0
	s_cbranch_execz .LBB0_8
; %bb.7:
	v_dual_mov_b32 v2, 0 :: v_dual_add_nc_u32 v1, 32, v0
	s_delay_alu instid0(VALU_DEP_1) | instskip(SKIP_1) | instid1(VALU_DEP_2)
	v_lshlrev_b64_e32 v[3:4], 3, v[1:2]
	v_mov_b32_e32 v1, v2
	v_add_co_u32 v3, vcc_lo, s4, v3
	s_delay_alu instid0(VALU_DEP_1)
	v_add_co_ci_u32_e64 v4, null, s5, v4, vcc_lo
	global_store_b64 v[3:4], v[1:2], off
.LBB0_8:
	s_wait_alu 0xfffe
	s_or_b32 exec_lo, exec_lo, s0
	s_delay_alu instid0(SALU_CYCLE_1)
	s_mov_b32 s0, exec_lo
	v_cmpx_gt_u32_e32 32, v0
	s_cbranch_execz .LBB0_10
; %bb.9:
	v_dual_mov_b32 v1, 0 :: v_dual_mov_b32 v4, 0xff
	s_delay_alu instid0(VALU_DEP_1) | instskip(NEXT) | instid1(VALU_DEP_1)
	v_lshlrev_b64_e32 v[2:3], 3, v[0:1]
	v_add_co_u32 v5, vcc_lo, s4, v2
	s_wait_alu 0xfffd
	s_delay_alu instid0(VALU_DEP_2)
	v_add_co_ci_u32_e64 v6, null, s5, v3, vcc_lo
	v_mov_b32_e32 v3, v1
	global_store_b64 v[5:6], v[3:4], off
.LBB0_10:
	s_endpgm
	.section	.rodata,"a",@progbits
	.p2align	6, 0x0
	.amdhsa_kernel _ZN7rocprim17ROCPRIM_400000_NS6detail31init_lookback_scan_state_kernelINS1_19lookback_scan_stateIjLb0ELb1EEENS1_16block_id_wrapperIjLb0EEEEEvT_jT0_jPNS7_10value_typeE
		.amdhsa_group_segment_fixed_size 0
		.amdhsa_private_segment_fixed_size 0
		.amdhsa_kernarg_size 288
		.amdhsa_user_sgpr_count 2
		.amdhsa_user_sgpr_dispatch_ptr 0
		.amdhsa_user_sgpr_queue_ptr 0
		.amdhsa_user_sgpr_kernarg_segment_ptr 1
		.amdhsa_user_sgpr_dispatch_id 0
		.amdhsa_user_sgpr_private_segment_size 0
		.amdhsa_wavefront_size32 1
		.amdhsa_uses_dynamic_stack 0
		.amdhsa_enable_private_segment 0
		.amdhsa_system_sgpr_workgroup_id_x 1
		.amdhsa_system_sgpr_workgroup_id_y 0
		.amdhsa_system_sgpr_workgroup_id_z 0
		.amdhsa_system_sgpr_workgroup_info 0
		.amdhsa_system_vgpr_workitem_id 0
		.amdhsa_next_free_vgpr 7
		.amdhsa_next_free_sgpr 8
		.amdhsa_reserve_vcc 1
		.amdhsa_float_round_mode_32 0
		.amdhsa_float_round_mode_16_64 0
		.amdhsa_float_denorm_mode_32 3
		.amdhsa_float_denorm_mode_16_64 3
		.amdhsa_fp16_overflow 0
		.amdhsa_workgroup_processor_mode 1
		.amdhsa_memory_ordered 1
		.amdhsa_forward_progress 1
		.amdhsa_inst_pref_size 3
		.amdhsa_round_robin_scheduling 0
		.amdhsa_exception_fp_ieee_invalid_op 0
		.amdhsa_exception_fp_denorm_src 0
		.amdhsa_exception_fp_ieee_div_zero 0
		.amdhsa_exception_fp_ieee_overflow 0
		.amdhsa_exception_fp_ieee_underflow 0
		.amdhsa_exception_fp_ieee_inexact 0
		.amdhsa_exception_int_div_zero 0
	.end_amdhsa_kernel
	.section	.text._ZN7rocprim17ROCPRIM_400000_NS6detail31init_lookback_scan_state_kernelINS1_19lookback_scan_stateIjLb0ELb1EEENS1_16block_id_wrapperIjLb0EEEEEvT_jT0_jPNS7_10value_typeE,"axG",@progbits,_ZN7rocprim17ROCPRIM_400000_NS6detail31init_lookback_scan_state_kernelINS1_19lookback_scan_stateIjLb0ELb1EEENS1_16block_id_wrapperIjLb0EEEEEvT_jT0_jPNS7_10value_typeE,comdat
.Lfunc_end0:
	.size	_ZN7rocprim17ROCPRIM_400000_NS6detail31init_lookback_scan_state_kernelINS1_19lookback_scan_stateIjLb0ELb1EEENS1_16block_id_wrapperIjLb0EEEEEvT_jT0_jPNS7_10value_typeE, .Lfunc_end0-_ZN7rocprim17ROCPRIM_400000_NS6detail31init_lookback_scan_state_kernelINS1_19lookback_scan_stateIjLb0ELb1EEENS1_16block_id_wrapperIjLb0EEEEEvT_jT0_jPNS7_10value_typeE
                                        ; -- End function
	.set _ZN7rocprim17ROCPRIM_400000_NS6detail31init_lookback_scan_state_kernelINS1_19lookback_scan_stateIjLb0ELb1EEENS1_16block_id_wrapperIjLb0EEEEEvT_jT0_jPNS7_10value_typeE.num_vgpr, 7
	.set _ZN7rocprim17ROCPRIM_400000_NS6detail31init_lookback_scan_state_kernelINS1_19lookback_scan_stateIjLb0ELb1EEENS1_16block_id_wrapperIjLb0EEEEEvT_jT0_jPNS7_10value_typeE.num_agpr, 0
	.set _ZN7rocprim17ROCPRIM_400000_NS6detail31init_lookback_scan_state_kernelINS1_19lookback_scan_stateIjLb0ELb1EEENS1_16block_id_wrapperIjLb0EEEEEvT_jT0_jPNS7_10value_typeE.numbered_sgpr, 8
	.set _ZN7rocprim17ROCPRIM_400000_NS6detail31init_lookback_scan_state_kernelINS1_19lookback_scan_stateIjLb0ELb1EEENS1_16block_id_wrapperIjLb0EEEEEvT_jT0_jPNS7_10value_typeE.num_named_barrier, 0
	.set _ZN7rocprim17ROCPRIM_400000_NS6detail31init_lookback_scan_state_kernelINS1_19lookback_scan_stateIjLb0ELb1EEENS1_16block_id_wrapperIjLb0EEEEEvT_jT0_jPNS7_10value_typeE.private_seg_size, 0
	.set _ZN7rocprim17ROCPRIM_400000_NS6detail31init_lookback_scan_state_kernelINS1_19lookback_scan_stateIjLb0ELb1EEENS1_16block_id_wrapperIjLb0EEEEEvT_jT0_jPNS7_10value_typeE.uses_vcc, 1
	.set _ZN7rocprim17ROCPRIM_400000_NS6detail31init_lookback_scan_state_kernelINS1_19lookback_scan_stateIjLb0ELb1EEENS1_16block_id_wrapperIjLb0EEEEEvT_jT0_jPNS7_10value_typeE.uses_flat_scratch, 0
	.set _ZN7rocprim17ROCPRIM_400000_NS6detail31init_lookback_scan_state_kernelINS1_19lookback_scan_stateIjLb0ELb1EEENS1_16block_id_wrapperIjLb0EEEEEvT_jT0_jPNS7_10value_typeE.has_dyn_sized_stack, 0
	.set _ZN7rocprim17ROCPRIM_400000_NS6detail31init_lookback_scan_state_kernelINS1_19lookback_scan_stateIjLb0ELb1EEENS1_16block_id_wrapperIjLb0EEEEEvT_jT0_jPNS7_10value_typeE.has_recursion, 0
	.set _ZN7rocprim17ROCPRIM_400000_NS6detail31init_lookback_scan_state_kernelINS1_19lookback_scan_stateIjLb0ELb1EEENS1_16block_id_wrapperIjLb0EEEEEvT_jT0_jPNS7_10value_typeE.has_indirect_call, 0
	.section	.AMDGPU.csdata,"",@progbits
; Kernel info:
; codeLenInByte = 376
; TotalNumSgprs: 10
; NumVgprs: 7
; ScratchSize: 0
; MemoryBound: 0
; FloatMode: 240
; IeeeMode: 1
; LDSByteSize: 0 bytes/workgroup (compile time only)
; SGPRBlocks: 0
; VGPRBlocks: 0
; NumSGPRsForWavesPerEU: 10
; NumVGPRsForWavesPerEU: 7
; Occupancy: 16
; WaveLimiterHint : 0
; COMPUTE_PGM_RSRC2:SCRATCH_EN: 0
; COMPUTE_PGM_RSRC2:USER_SGPR: 2
; COMPUTE_PGM_RSRC2:TRAP_HANDLER: 0
; COMPUTE_PGM_RSRC2:TGID_X_EN: 1
; COMPUTE_PGM_RSRC2:TGID_Y_EN: 0
; COMPUTE_PGM_RSRC2:TGID_Z_EN: 0
; COMPUTE_PGM_RSRC2:TIDIG_COMP_CNT: 0
	.section	.text._ZN7rocprim17ROCPRIM_400000_NS6detail17trampoline_kernelINS0_14default_configENS1_25partition_config_selectorILNS1_17partition_subalgoE9EiibEEZZNS1_14partition_implILS5_9ELb0ES3_jPKiN6thrust23THRUST_200600_302600_NS17counting_iteratorIiNSB_11use_defaultESD_SD_EEPNS0_10empty_typeENS0_5tupleIJPiSF_EEENSH_IJSI_SG_EEENS0_18inequality_wrapperIN6hipcub16HIPCUB_304000_NS8EqualityEEEPlJSF_EEE10hipError_tPvRmT3_T4_T5_T6_T7_T9_mT8_P12ihipStream_tbDpT10_ENKUlT_T0_E_clISt17integral_constantIbLb0EES1A_EEDaS15_S16_EUlS15_E_NS1_11comp_targetILNS1_3genE0ELNS1_11target_archE4294967295ELNS1_3gpuE0ELNS1_3repE0EEENS1_30default_config_static_selectorELNS0_4arch9wavefront6targetE0EEEvT1_,"axG",@progbits,_ZN7rocprim17ROCPRIM_400000_NS6detail17trampoline_kernelINS0_14default_configENS1_25partition_config_selectorILNS1_17partition_subalgoE9EiibEEZZNS1_14partition_implILS5_9ELb0ES3_jPKiN6thrust23THRUST_200600_302600_NS17counting_iteratorIiNSB_11use_defaultESD_SD_EEPNS0_10empty_typeENS0_5tupleIJPiSF_EEENSH_IJSI_SG_EEENS0_18inequality_wrapperIN6hipcub16HIPCUB_304000_NS8EqualityEEEPlJSF_EEE10hipError_tPvRmT3_T4_T5_T6_T7_T9_mT8_P12ihipStream_tbDpT10_ENKUlT_T0_E_clISt17integral_constantIbLb0EES1A_EEDaS15_S16_EUlS15_E_NS1_11comp_targetILNS1_3genE0ELNS1_11target_archE4294967295ELNS1_3gpuE0ELNS1_3repE0EEENS1_30default_config_static_selectorELNS0_4arch9wavefront6targetE0EEEvT1_,comdat
	.protected	_ZN7rocprim17ROCPRIM_400000_NS6detail17trampoline_kernelINS0_14default_configENS1_25partition_config_selectorILNS1_17partition_subalgoE9EiibEEZZNS1_14partition_implILS5_9ELb0ES3_jPKiN6thrust23THRUST_200600_302600_NS17counting_iteratorIiNSB_11use_defaultESD_SD_EEPNS0_10empty_typeENS0_5tupleIJPiSF_EEENSH_IJSI_SG_EEENS0_18inequality_wrapperIN6hipcub16HIPCUB_304000_NS8EqualityEEEPlJSF_EEE10hipError_tPvRmT3_T4_T5_T6_T7_T9_mT8_P12ihipStream_tbDpT10_ENKUlT_T0_E_clISt17integral_constantIbLb0EES1A_EEDaS15_S16_EUlS15_E_NS1_11comp_targetILNS1_3genE0ELNS1_11target_archE4294967295ELNS1_3gpuE0ELNS1_3repE0EEENS1_30default_config_static_selectorELNS0_4arch9wavefront6targetE0EEEvT1_ ; -- Begin function _ZN7rocprim17ROCPRIM_400000_NS6detail17trampoline_kernelINS0_14default_configENS1_25partition_config_selectorILNS1_17partition_subalgoE9EiibEEZZNS1_14partition_implILS5_9ELb0ES3_jPKiN6thrust23THRUST_200600_302600_NS17counting_iteratorIiNSB_11use_defaultESD_SD_EEPNS0_10empty_typeENS0_5tupleIJPiSF_EEENSH_IJSI_SG_EEENS0_18inequality_wrapperIN6hipcub16HIPCUB_304000_NS8EqualityEEEPlJSF_EEE10hipError_tPvRmT3_T4_T5_T6_T7_T9_mT8_P12ihipStream_tbDpT10_ENKUlT_T0_E_clISt17integral_constantIbLb0EES1A_EEDaS15_S16_EUlS15_E_NS1_11comp_targetILNS1_3genE0ELNS1_11target_archE4294967295ELNS1_3gpuE0ELNS1_3repE0EEENS1_30default_config_static_selectorELNS0_4arch9wavefront6targetE0EEEvT1_
	.globl	_ZN7rocprim17ROCPRIM_400000_NS6detail17trampoline_kernelINS0_14default_configENS1_25partition_config_selectorILNS1_17partition_subalgoE9EiibEEZZNS1_14partition_implILS5_9ELb0ES3_jPKiN6thrust23THRUST_200600_302600_NS17counting_iteratorIiNSB_11use_defaultESD_SD_EEPNS0_10empty_typeENS0_5tupleIJPiSF_EEENSH_IJSI_SG_EEENS0_18inequality_wrapperIN6hipcub16HIPCUB_304000_NS8EqualityEEEPlJSF_EEE10hipError_tPvRmT3_T4_T5_T6_T7_T9_mT8_P12ihipStream_tbDpT10_ENKUlT_T0_E_clISt17integral_constantIbLb0EES1A_EEDaS15_S16_EUlS15_E_NS1_11comp_targetILNS1_3genE0ELNS1_11target_archE4294967295ELNS1_3gpuE0ELNS1_3repE0EEENS1_30default_config_static_selectorELNS0_4arch9wavefront6targetE0EEEvT1_
	.p2align	8
	.type	_ZN7rocprim17ROCPRIM_400000_NS6detail17trampoline_kernelINS0_14default_configENS1_25partition_config_selectorILNS1_17partition_subalgoE9EiibEEZZNS1_14partition_implILS5_9ELb0ES3_jPKiN6thrust23THRUST_200600_302600_NS17counting_iteratorIiNSB_11use_defaultESD_SD_EEPNS0_10empty_typeENS0_5tupleIJPiSF_EEENSH_IJSI_SG_EEENS0_18inequality_wrapperIN6hipcub16HIPCUB_304000_NS8EqualityEEEPlJSF_EEE10hipError_tPvRmT3_T4_T5_T6_T7_T9_mT8_P12ihipStream_tbDpT10_ENKUlT_T0_E_clISt17integral_constantIbLb0EES1A_EEDaS15_S16_EUlS15_E_NS1_11comp_targetILNS1_3genE0ELNS1_11target_archE4294967295ELNS1_3gpuE0ELNS1_3repE0EEENS1_30default_config_static_selectorELNS0_4arch9wavefront6targetE0EEEvT1_,@function
_ZN7rocprim17ROCPRIM_400000_NS6detail17trampoline_kernelINS0_14default_configENS1_25partition_config_selectorILNS1_17partition_subalgoE9EiibEEZZNS1_14partition_implILS5_9ELb0ES3_jPKiN6thrust23THRUST_200600_302600_NS17counting_iteratorIiNSB_11use_defaultESD_SD_EEPNS0_10empty_typeENS0_5tupleIJPiSF_EEENSH_IJSI_SG_EEENS0_18inequality_wrapperIN6hipcub16HIPCUB_304000_NS8EqualityEEEPlJSF_EEE10hipError_tPvRmT3_T4_T5_T6_T7_T9_mT8_P12ihipStream_tbDpT10_ENKUlT_T0_E_clISt17integral_constantIbLb0EES1A_EEDaS15_S16_EUlS15_E_NS1_11comp_targetILNS1_3genE0ELNS1_11target_archE4294967295ELNS1_3gpuE0ELNS1_3repE0EEENS1_30default_config_static_selectorELNS0_4arch9wavefront6targetE0EEEvT1_: ; @_ZN7rocprim17ROCPRIM_400000_NS6detail17trampoline_kernelINS0_14default_configENS1_25partition_config_selectorILNS1_17partition_subalgoE9EiibEEZZNS1_14partition_implILS5_9ELb0ES3_jPKiN6thrust23THRUST_200600_302600_NS17counting_iteratorIiNSB_11use_defaultESD_SD_EEPNS0_10empty_typeENS0_5tupleIJPiSF_EEENSH_IJSI_SG_EEENS0_18inequality_wrapperIN6hipcub16HIPCUB_304000_NS8EqualityEEEPlJSF_EEE10hipError_tPvRmT3_T4_T5_T6_T7_T9_mT8_P12ihipStream_tbDpT10_ENKUlT_T0_E_clISt17integral_constantIbLb0EES1A_EEDaS15_S16_EUlS15_E_NS1_11comp_targetILNS1_3genE0ELNS1_11target_archE4294967295ELNS1_3gpuE0ELNS1_3repE0EEENS1_30default_config_static_selectorELNS0_4arch9wavefront6targetE0EEEvT1_
; %bb.0:
	.section	.rodata,"a",@progbits
	.p2align	6, 0x0
	.amdhsa_kernel _ZN7rocprim17ROCPRIM_400000_NS6detail17trampoline_kernelINS0_14default_configENS1_25partition_config_selectorILNS1_17partition_subalgoE9EiibEEZZNS1_14partition_implILS5_9ELb0ES3_jPKiN6thrust23THRUST_200600_302600_NS17counting_iteratorIiNSB_11use_defaultESD_SD_EEPNS0_10empty_typeENS0_5tupleIJPiSF_EEENSH_IJSI_SG_EEENS0_18inequality_wrapperIN6hipcub16HIPCUB_304000_NS8EqualityEEEPlJSF_EEE10hipError_tPvRmT3_T4_T5_T6_T7_T9_mT8_P12ihipStream_tbDpT10_ENKUlT_T0_E_clISt17integral_constantIbLb0EES1A_EEDaS15_S16_EUlS15_E_NS1_11comp_targetILNS1_3genE0ELNS1_11target_archE4294967295ELNS1_3gpuE0ELNS1_3repE0EEENS1_30default_config_static_selectorELNS0_4arch9wavefront6targetE0EEEvT1_
		.amdhsa_group_segment_fixed_size 0
		.amdhsa_private_segment_fixed_size 0
		.amdhsa_kernarg_size 112
		.amdhsa_user_sgpr_count 2
		.amdhsa_user_sgpr_dispatch_ptr 0
		.amdhsa_user_sgpr_queue_ptr 0
		.amdhsa_user_sgpr_kernarg_segment_ptr 1
		.amdhsa_user_sgpr_dispatch_id 0
		.amdhsa_user_sgpr_private_segment_size 0
		.amdhsa_wavefront_size32 1
		.amdhsa_uses_dynamic_stack 0
		.amdhsa_enable_private_segment 0
		.amdhsa_system_sgpr_workgroup_id_x 1
		.amdhsa_system_sgpr_workgroup_id_y 0
		.amdhsa_system_sgpr_workgroup_id_z 0
		.amdhsa_system_sgpr_workgroup_info 0
		.amdhsa_system_vgpr_workitem_id 0
		.amdhsa_next_free_vgpr 1
		.amdhsa_next_free_sgpr 1
		.amdhsa_reserve_vcc 0
		.amdhsa_float_round_mode_32 0
		.amdhsa_float_round_mode_16_64 0
		.amdhsa_float_denorm_mode_32 3
		.amdhsa_float_denorm_mode_16_64 3
		.amdhsa_fp16_overflow 0
		.amdhsa_workgroup_processor_mode 1
		.amdhsa_memory_ordered 1
		.amdhsa_forward_progress 1
		.amdhsa_inst_pref_size 0
		.amdhsa_round_robin_scheduling 0
		.amdhsa_exception_fp_ieee_invalid_op 0
		.amdhsa_exception_fp_denorm_src 0
		.amdhsa_exception_fp_ieee_div_zero 0
		.amdhsa_exception_fp_ieee_overflow 0
		.amdhsa_exception_fp_ieee_underflow 0
		.amdhsa_exception_fp_ieee_inexact 0
		.amdhsa_exception_int_div_zero 0
	.end_amdhsa_kernel
	.section	.text._ZN7rocprim17ROCPRIM_400000_NS6detail17trampoline_kernelINS0_14default_configENS1_25partition_config_selectorILNS1_17partition_subalgoE9EiibEEZZNS1_14partition_implILS5_9ELb0ES3_jPKiN6thrust23THRUST_200600_302600_NS17counting_iteratorIiNSB_11use_defaultESD_SD_EEPNS0_10empty_typeENS0_5tupleIJPiSF_EEENSH_IJSI_SG_EEENS0_18inequality_wrapperIN6hipcub16HIPCUB_304000_NS8EqualityEEEPlJSF_EEE10hipError_tPvRmT3_T4_T5_T6_T7_T9_mT8_P12ihipStream_tbDpT10_ENKUlT_T0_E_clISt17integral_constantIbLb0EES1A_EEDaS15_S16_EUlS15_E_NS1_11comp_targetILNS1_3genE0ELNS1_11target_archE4294967295ELNS1_3gpuE0ELNS1_3repE0EEENS1_30default_config_static_selectorELNS0_4arch9wavefront6targetE0EEEvT1_,"axG",@progbits,_ZN7rocprim17ROCPRIM_400000_NS6detail17trampoline_kernelINS0_14default_configENS1_25partition_config_selectorILNS1_17partition_subalgoE9EiibEEZZNS1_14partition_implILS5_9ELb0ES3_jPKiN6thrust23THRUST_200600_302600_NS17counting_iteratorIiNSB_11use_defaultESD_SD_EEPNS0_10empty_typeENS0_5tupleIJPiSF_EEENSH_IJSI_SG_EEENS0_18inequality_wrapperIN6hipcub16HIPCUB_304000_NS8EqualityEEEPlJSF_EEE10hipError_tPvRmT3_T4_T5_T6_T7_T9_mT8_P12ihipStream_tbDpT10_ENKUlT_T0_E_clISt17integral_constantIbLb0EES1A_EEDaS15_S16_EUlS15_E_NS1_11comp_targetILNS1_3genE0ELNS1_11target_archE4294967295ELNS1_3gpuE0ELNS1_3repE0EEENS1_30default_config_static_selectorELNS0_4arch9wavefront6targetE0EEEvT1_,comdat
.Lfunc_end1:
	.size	_ZN7rocprim17ROCPRIM_400000_NS6detail17trampoline_kernelINS0_14default_configENS1_25partition_config_selectorILNS1_17partition_subalgoE9EiibEEZZNS1_14partition_implILS5_9ELb0ES3_jPKiN6thrust23THRUST_200600_302600_NS17counting_iteratorIiNSB_11use_defaultESD_SD_EEPNS0_10empty_typeENS0_5tupleIJPiSF_EEENSH_IJSI_SG_EEENS0_18inequality_wrapperIN6hipcub16HIPCUB_304000_NS8EqualityEEEPlJSF_EEE10hipError_tPvRmT3_T4_T5_T6_T7_T9_mT8_P12ihipStream_tbDpT10_ENKUlT_T0_E_clISt17integral_constantIbLb0EES1A_EEDaS15_S16_EUlS15_E_NS1_11comp_targetILNS1_3genE0ELNS1_11target_archE4294967295ELNS1_3gpuE0ELNS1_3repE0EEENS1_30default_config_static_selectorELNS0_4arch9wavefront6targetE0EEEvT1_, .Lfunc_end1-_ZN7rocprim17ROCPRIM_400000_NS6detail17trampoline_kernelINS0_14default_configENS1_25partition_config_selectorILNS1_17partition_subalgoE9EiibEEZZNS1_14partition_implILS5_9ELb0ES3_jPKiN6thrust23THRUST_200600_302600_NS17counting_iteratorIiNSB_11use_defaultESD_SD_EEPNS0_10empty_typeENS0_5tupleIJPiSF_EEENSH_IJSI_SG_EEENS0_18inequality_wrapperIN6hipcub16HIPCUB_304000_NS8EqualityEEEPlJSF_EEE10hipError_tPvRmT3_T4_T5_T6_T7_T9_mT8_P12ihipStream_tbDpT10_ENKUlT_T0_E_clISt17integral_constantIbLb0EES1A_EEDaS15_S16_EUlS15_E_NS1_11comp_targetILNS1_3genE0ELNS1_11target_archE4294967295ELNS1_3gpuE0ELNS1_3repE0EEENS1_30default_config_static_selectorELNS0_4arch9wavefront6targetE0EEEvT1_
                                        ; -- End function
	.set _ZN7rocprim17ROCPRIM_400000_NS6detail17trampoline_kernelINS0_14default_configENS1_25partition_config_selectorILNS1_17partition_subalgoE9EiibEEZZNS1_14partition_implILS5_9ELb0ES3_jPKiN6thrust23THRUST_200600_302600_NS17counting_iteratorIiNSB_11use_defaultESD_SD_EEPNS0_10empty_typeENS0_5tupleIJPiSF_EEENSH_IJSI_SG_EEENS0_18inequality_wrapperIN6hipcub16HIPCUB_304000_NS8EqualityEEEPlJSF_EEE10hipError_tPvRmT3_T4_T5_T6_T7_T9_mT8_P12ihipStream_tbDpT10_ENKUlT_T0_E_clISt17integral_constantIbLb0EES1A_EEDaS15_S16_EUlS15_E_NS1_11comp_targetILNS1_3genE0ELNS1_11target_archE4294967295ELNS1_3gpuE0ELNS1_3repE0EEENS1_30default_config_static_selectorELNS0_4arch9wavefront6targetE0EEEvT1_.num_vgpr, 0
	.set _ZN7rocprim17ROCPRIM_400000_NS6detail17trampoline_kernelINS0_14default_configENS1_25partition_config_selectorILNS1_17partition_subalgoE9EiibEEZZNS1_14partition_implILS5_9ELb0ES3_jPKiN6thrust23THRUST_200600_302600_NS17counting_iteratorIiNSB_11use_defaultESD_SD_EEPNS0_10empty_typeENS0_5tupleIJPiSF_EEENSH_IJSI_SG_EEENS0_18inequality_wrapperIN6hipcub16HIPCUB_304000_NS8EqualityEEEPlJSF_EEE10hipError_tPvRmT3_T4_T5_T6_T7_T9_mT8_P12ihipStream_tbDpT10_ENKUlT_T0_E_clISt17integral_constantIbLb0EES1A_EEDaS15_S16_EUlS15_E_NS1_11comp_targetILNS1_3genE0ELNS1_11target_archE4294967295ELNS1_3gpuE0ELNS1_3repE0EEENS1_30default_config_static_selectorELNS0_4arch9wavefront6targetE0EEEvT1_.num_agpr, 0
	.set _ZN7rocprim17ROCPRIM_400000_NS6detail17trampoline_kernelINS0_14default_configENS1_25partition_config_selectorILNS1_17partition_subalgoE9EiibEEZZNS1_14partition_implILS5_9ELb0ES3_jPKiN6thrust23THRUST_200600_302600_NS17counting_iteratorIiNSB_11use_defaultESD_SD_EEPNS0_10empty_typeENS0_5tupleIJPiSF_EEENSH_IJSI_SG_EEENS0_18inequality_wrapperIN6hipcub16HIPCUB_304000_NS8EqualityEEEPlJSF_EEE10hipError_tPvRmT3_T4_T5_T6_T7_T9_mT8_P12ihipStream_tbDpT10_ENKUlT_T0_E_clISt17integral_constantIbLb0EES1A_EEDaS15_S16_EUlS15_E_NS1_11comp_targetILNS1_3genE0ELNS1_11target_archE4294967295ELNS1_3gpuE0ELNS1_3repE0EEENS1_30default_config_static_selectorELNS0_4arch9wavefront6targetE0EEEvT1_.numbered_sgpr, 0
	.set _ZN7rocprim17ROCPRIM_400000_NS6detail17trampoline_kernelINS0_14default_configENS1_25partition_config_selectorILNS1_17partition_subalgoE9EiibEEZZNS1_14partition_implILS5_9ELb0ES3_jPKiN6thrust23THRUST_200600_302600_NS17counting_iteratorIiNSB_11use_defaultESD_SD_EEPNS0_10empty_typeENS0_5tupleIJPiSF_EEENSH_IJSI_SG_EEENS0_18inequality_wrapperIN6hipcub16HIPCUB_304000_NS8EqualityEEEPlJSF_EEE10hipError_tPvRmT3_T4_T5_T6_T7_T9_mT8_P12ihipStream_tbDpT10_ENKUlT_T0_E_clISt17integral_constantIbLb0EES1A_EEDaS15_S16_EUlS15_E_NS1_11comp_targetILNS1_3genE0ELNS1_11target_archE4294967295ELNS1_3gpuE0ELNS1_3repE0EEENS1_30default_config_static_selectorELNS0_4arch9wavefront6targetE0EEEvT1_.num_named_barrier, 0
	.set _ZN7rocprim17ROCPRIM_400000_NS6detail17trampoline_kernelINS0_14default_configENS1_25partition_config_selectorILNS1_17partition_subalgoE9EiibEEZZNS1_14partition_implILS5_9ELb0ES3_jPKiN6thrust23THRUST_200600_302600_NS17counting_iteratorIiNSB_11use_defaultESD_SD_EEPNS0_10empty_typeENS0_5tupleIJPiSF_EEENSH_IJSI_SG_EEENS0_18inequality_wrapperIN6hipcub16HIPCUB_304000_NS8EqualityEEEPlJSF_EEE10hipError_tPvRmT3_T4_T5_T6_T7_T9_mT8_P12ihipStream_tbDpT10_ENKUlT_T0_E_clISt17integral_constantIbLb0EES1A_EEDaS15_S16_EUlS15_E_NS1_11comp_targetILNS1_3genE0ELNS1_11target_archE4294967295ELNS1_3gpuE0ELNS1_3repE0EEENS1_30default_config_static_selectorELNS0_4arch9wavefront6targetE0EEEvT1_.private_seg_size, 0
	.set _ZN7rocprim17ROCPRIM_400000_NS6detail17trampoline_kernelINS0_14default_configENS1_25partition_config_selectorILNS1_17partition_subalgoE9EiibEEZZNS1_14partition_implILS5_9ELb0ES3_jPKiN6thrust23THRUST_200600_302600_NS17counting_iteratorIiNSB_11use_defaultESD_SD_EEPNS0_10empty_typeENS0_5tupleIJPiSF_EEENSH_IJSI_SG_EEENS0_18inequality_wrapperIN6hipcub16HIPCUB_304000_NS8EqualityEEEPlJSF_EEE10hipError_tPvRmT3_T4_T5_T6_T7_T9_mT8_P12ihipStream_tbDpT10_ENKUlT_T0_E_clISt17integral_constantIbLb0EES1A_EEDaS15_S16_EUlS15_E_NS1_11comp_targetILNS1_3genE0ELNS1_11target_archE4294967295ELNS1_3gpuE0ELNS1_3repE0EEENS1_30default_config_static_selectorELNS0_4arch9wavefront6targetE0EEEvT1_.uses_vcc, 0
	.set _ZN7rocprim17ROCPRIM_400000_NS6detail17trampoline_kernelINS0_14default_configENS1_25partition_config_selectorILNS1_17partition_subalgoE9EiibEEZZNS1_14partition_implILS5_9ELb0ES3_jPKiN6thrust23THRUST_200600_302600_NS17counting_iteratorIiNSB_11use_defaultESD_SD_EEPNS0_10empty_typeENS0_5tupleIJPiSF_EEENSH_IJSI_SG_EEENS0_18inequality_wrapperIN6hipcub16HIPCUB_304000_NS8EqualityEEEPlJSF_EEE10hipError_tPvRmT3_T4_T5_T6_T7_T9_mT8_P12ihipStream_tbDpT10_ENKUlT_T0_E_clISt17integral_constantIbLb0EES1A_EEDaS15_S16_EUlS15_E_NS1_11comp_targetILNS1_3genE0ELNS1_11target_archE4294967295ELNS1_3gpuE0ELNS1_3repE0EEENS1_30default_config_static_selectorELNS0_4arch9wavefront6targetE0EEEvT1_.uses_flat_scratch, 0
	.set _ZN7rocprim17ROCPRIM_400000_NS6detail17trampoline_kernelINS0_14default_configENS1_25partition_config_selectorILNS1_17partition_subalgoE9EiibEEZZNS1_14partition_implILS5_9ELb0ES3_jPKiN6thrust23THRUST_200600_302600_NS17counting_iteratorIiNSB_11use_defaultESD_SD_EEPNS0_10empty_typeENS0_5tupleIJPiSF_EEENSH_IJSI_SG_EEENS0_18inequality_wrapperIN6hipcub16HIPCUB_304000_NS8EqualityEEEPlJSF_EEE10hipError_tPvRmT3_T4_T5_T6_T7_T9_mT8_P12ihipStream_tbDpT10_ENKUlT_T0_E_clISt17integral_constantIbLb0EES1A_EEDaS15_S16_EUlS15_E_NS1_11comp_targetILNS1_3genE0ELNS1_11target_archE4294967295ELNS1_3gpuE0ELNS1_3repE0EEENS1_30default_config_static_selectorELNS0_4arch9wavefront6targetE0EEEvT1_.has_dyn_sized_stack, 0
	.set _ZN7rocprim17ROCPRIM_400000_NS6detail17trampoline_kernelINS0_14default_configENS1_25partition_config_selectorILNS1_17partition_subalgoE9EiibEEZZNS1_14partition_implILS5_9ELb0ES3_jPKiN6thrust23THRUST_200600_302600_NS17counting_iteratorIiNSB_11use_defaultESD_SD_EEPNS0_10empty_typeENS0_5tupleIJPiSF_EEENSH_IJSI_SG_EEENS0_18inequality_wrapperIN6hipcub16HIPCUB_304000_NS8EqualityEEEPlJSF_EEE10hipError_tPvRmT3_T4_T5_T6_T7_T9_mT8_P12ihipStream_tbDpT10_ENKUlT_T0_E_clISt17integral_constantIbLb0EES1A_EEDaS15_S16_EUlS15_E_NS1_11comp_targetILNS1_3genE0ELNS1_11target_archE4294967295ELNS1_3gpuE0ELNS1_3repE0EEENS1_30default_config_static_selectorELNS0_4arch9wavefront6targetE0EEEvT1_.has_recursion, 0
	.set _ZN7rocprim17ROCPRIM_400000_NS6detail17trampoline_kernelINS0_14default_configENS1_25partition_config_selectorILNS1_17partition_subalgoE9EiibEEZZNS1_14partition_implILS5_9ELb0ES3_jPKiN6thrust23THRUST_200600_302600_NS17counting_iteratorIiNSB_11use_defaultESD_SD_EEPNS0_10empty_typeENS0_5tupleIJPiSF_EEENSH_IJSI_SG_EEENS0_18inequality_wrapperIN6hipcub16HIPCUB_304000_NS8EqualityEEEPlJSF_EEE10hipError_tPvRmT3_T4_T5_T6_T7_T9_mT8_P12ihipStream_tbDpT10_ENKUlT_T0_E_clISt17integral_constantIbLb0EES1A_EEDaS15_S16_EUlS15_E_NS1_11comp_targetILNS1_3genE0ELNS1_11target_archE4294967295ELNS1_3gpuE0ELNS1_3repE0EEENS1_30default_config_static_selectorELNS0_4arch9wavefront6targetE0EEEvT1_.has_indirect_call, 0
	.section	.AMDGPU.csdata,"",@progbits
; Kernel info:
; codeLenInByte = 0
; TotalNumSgprs: 0
; NumVgprs: 0
; ScratchSize: 0
; MemoryBound: 0
; FloatMode: 240
; IeeeMode: 1
; LDSByteSize: 0 bytes/workgroup (compile time only)
; SGPRBlocks: 0
; VGPRBlocks: 0
; NumSGPRsForWavesPerEU: 1
; NumVGPRsForWavesPerEU: 1
; Occupancy: 16
; WaveLimiterHint : 0
; COMPUTE_PGM_RSRC2:SCRATCH_EN: 0
; COMPUTE_PGM_RSRC2:USER_SGPR: 2
; COMPUTE_PGM_RSRC2:TRAP_HANDLER: 0
; COMPUTE_PGM_RSRC2:TGID_X_EN: 1
; COMPUTE_PGM_RSRC2:TGID_Y_EN: 0
; COMPUTE_PGM_RSRC2:TGID_Z_EN: 0
; COMPUTE_PGM_RSRC2:TIDIG_COMP_CNT: 0
	.section	.text._ZN7rocprim17ROCPRIM_400000_NS6detail17trampoline_kernelINS0_14default_configENS1_25partition_config_selectorILNS1_17partition_subalgoE9EiibEEZZNS1_14partition_implILS5_9ELb0ES3_jPKiN6thrust23THRUST_200600_302600_NS17counting_iteratorIiNSB_11use_defaultESD_SD_EEPNS0_10empty_typeENS0_5tupleIJPiSF_EEENSH_IJSI_SG_EEENS0_18inequality_wrapperIN6hipcub16HIPCUB_304000_NS8EqualityEEEPlJSF_EEE10hipError_tPvRmT3_T4_T5_T6_T7_T9_mT8_P12ihipStream_tbDpT10_ENKUlT_T0_E_clISt17integral_constantIbLb0EES1A_EEDaS15_S16_EUlS15_E_NS1_11comp_targetILNS1_3genE5ELNS1_11target_archE942ELNS1_3gpuE9ELNS1_3repE0EEENS1_30default_config_static_selectorELNS0_4arch9wavefront6targetE0EEEvT1_,"axG",@progbits,_ZN7rocprim17ROCPRIM_400000_NS6detail17trampoline_kernelINS0_14default_configENS1_25partition_config_selectorILNS1_17partition_subalgoE9EiibEEZZNS1_14partition_implILS5_9ELb0ES3_jPKiN6thrust23THRUST_200600_302600_NS17counting_iteratorIiNSB_11use_defaultESD_SD_EEPNS0_10empty_typeENS0_5tupleIJPiSF_EEENSH_IJSI_SG_EEENS0_18inequality_wrapperIN6hipcub16HIPCUB_304000_NS8EqualityEEEPlJSF_EEE10hipError_tPvRmT3_T4_T5_T6_T7_T9_mT8_P12ihipStream_tbDpT10_ENKUlT_T0_E_clISt17integral_constantIbLb0EES1A_EEDaS15_S16_EUlS15_E_NS1_11comp_targetILNS1_3genE5ELNS1_11target_archE942ELNS1_3gpuE9ELNS1_3repE0EEENS1_30default_config_static_selectorELNS0_4arch9wavefront6targetE0EEEvT1_,comdat
	.protected	_ZN7rocprim17ROCPRIM_400000_NS6detail17trampoline_kernelINS0_14default_configENS1_25partition_config_selectorILNS1_17partition_subalgoE9EiibEEZZNS1_14partition_implILS5_9ELb0ES3_jPKiN6thrust23THRUST_200600_302600_NS17counting_iteratorIiNSB_11use_defaultESD_SD_EEPNS0_10empty_typeENS0_5tupleIJPiSF_EEENSH_IJSI_SG_EEENS0_18inequality_wrapperIN6hipcub16HIPCUB_304000_NS8EqualityEEEPlJSF_EEE10hipError_tPvRmT3_T4_T5_T6_T7_T9_mT8_P12ihipStream_tbDpT10_ENKUlT_T0_E_clISt17integral_constantIbLb0EES1A_EEDaS15_S16_EUlS15_E_NS1_11comp_targetILNS1_3genE5ELNS1_11target_archE942ELNS1_3gpuE9ELNS1_3repE0EEENS1_30default_config_static_selectorELNS0_4arch9wavefront6targetE0EEEvT1_ ; -- Begin function _ZN7rocprim17ROCPRIM_400000_NS6detail17trampoline_kernelINS0_14default_configENS1_25partition_config_selectorILNS1_17partition_subalgoE9EiibEEZZNS1_14partition_implILS5_9ELb0ES3_jPKiN6thrust23THRUST_200600_302600_NS17counting_iteratorIiNSB_11use_defaultESD_SD_EEPNS0_10empty_typeENS0_5tupleIJPiSF_EEENSH_IJSI_SG_EEENS0_18inequality_wrapperIN6hipcub16HIPCUB_304000_NS8EqualityEEEPlJSF_EEE10hipError_tPvRmT3_T4_T5_T6_T7_T9_mT8_P12ihipStream_tbDpT10_ENKUlT_T0_E_clISt17integral_constantIbLb0EES1A_EEDaS15_S16_EUlS15_E_NS1_11comp_targetILNS1_3genE5ELNS1_11target_archE942ELNS1_3gpuE9ELNS1_3repE0EEENS1_30default_config_static_selectorELNS0_4arch9wavefront6targetE0EEEvT1_
	.globl	_ZN7rocprim17ROCPRIM_400000_NS6detail17trampoline_kernelINS0_14default_configENS1_25partition_config_selectorILNS1_17partition_subalgoE9EiibEEZZNS1_14partition_implILS5_9ELb0ES3_jPKiN6thrust23THRUST_200600_302600_NS17counting_iteratorIiNSB_11use_defaultESD_SD_EEPNS0_10empty_typeENS0_5tupleIJPiSF_EEENSH_IJSI_SG_EEENS0_18inequality_wrapperIN6hipcub16HIPCUB_304000_NS8EqualityEEEPlJSF_EEE10hipError_tPvRmT3_T4_T5_T6_T7_T9_mT8_P12ihipStream_tbDpT10_ENKUlT_T0_E_clISt17integral_constantIbLb0EES1A_EEDaS15_S16_EUlS15_E_NS1_11comp_targetILNS1_3genE5ELNS1_11target_archE942ELNS1_3gpuE9ELNS1_3repE0EEENS1_30default_config_static_selectorELNS0_4arch9wavefront6targetE0EEEvT1_
	.p2align	8
	.type	_ZN7rocprim17ROCPRIM_400000_NS6detail17trampoline_kernelINS0_14default_configENS1_25partition_config_selectorILNS1_17partition_subalgoE9EiibEEZZNS1_14partition_implILS5_9ELb0ES3_jPKiN6thrust23THRUST_200600_302600_NS17counting_iteratorIiNSB_11use_defaultESD_SD_EEPNS0_10empty_typeENS0_5tupleIJPiSF_EEENSH_IJSI_SG_EEENS0_18inequality_wrapperIN6hipcub16HIPCUB_304000_NS8EqualityEEEPlJSF_EEE10hipError_tPvRmT3_T4_T5_T6_T7_T9_mT8_P12ihipStream_tbDpT10_ENKUlT_T0_E_clISt17integral_constantIbLb0EES1A_EEDaS15_S16_EUlS15_E_NS1_11comp_targetILNS1_3genE5ELNS1_11target_archE942ELNS1_3gpuE9ELNS1_3repE0EEENS1_30default_config_static_selectorELNS0_4arch9wavefront6targetE0EEEvT1_,@function
_ZN7rocprim17ROCPRIM_400000_NS6detail17trampoline_kernelINS0_14default_configENS1_25partition_config_selectorILNS1_17partition_subalgoE9EiibEEZZNS1_14partition_implILS5_9ELb0ES3_jPKiN6thrust23THRUST_200600_302600_NS17counting_iteratorIiNSB_11use_defaultESD_SD_EEPNS0_10empty_typeENS0_5tupleIJPiSF_EEENSH_IJSI_SG_EEENS0_18inequality_wrapperIN6hipcub16HIPCUB_304000_NS8EqualityEEEPlJSF_EEE10hipError_tPvRmT3_T4_T5_T6_T7_T9_mT8_P12ihipStream_tbDpT10_ENKUlT_T0_E_clISt17integral_constantIbLb0EES1A_EEDaS15_S16_EUlS15_E_NS1_11comp_targetILNS1_3genE5ELNS1_11target_archE942ELNS1_3gpuE9ELNS1_3repE0EEENS1_30default_config_static_selectorELNS0_4arch9wavefront6targetE0EEEvT1_: ; @_ZN7rocprim17ROCPRIM_400000_NS6detail17trampoline_kernelINS0_14default_configENS1_25partition_config_selectorILNS1_17partition_subalgoE9EiibEEZZNS1_14partition_implILS5_9ELb0ES3_jPKiN6thrust23THRUST_200600_302600_NS17counting_iteratorIiNSB_11use_defaultESD_SD_EEPNS0_10empty_typeENS0_5tupleIJPiSF_EEENSH_IJSI_SG_EEENS0_18inequality_wrapperIN6hipcub16HIPCUB_304000_NS8EqualityEEEPlJSF_EEE10hipError_tPvRmT3_T4_T5_T6_T7_T9_mT8_P12ihipStream_tbDpT10_ENKUlT_T0_E_clISt17integral_constantIbLb0EES1A_EEDaS15_S16_EUlS15_E_NS1_11comp_targetILNS1_3genE5ELNS1_11target_archE942ELNS1_3gpuE9ELNS1_3repE0EEENS1_30default_config_static_selectorELNS0_4arch9wavefront6targetE0EEEvT1_
; %bb.0:
	.section	.rodata,"a",@progbits
	.p2align	6, 0x0
	.amdhsa_kernel _ZN7rocprim17ROCPRIM_400000_NS6detail17trampoline_kernelINS0_14default_configENS1_25partition_config_selectorILNS1_17partition_subalgoE9EiibEEZZNS1_14partition_implILS5_9ELb0ES3_jPKiN6thrust23THRUST_200600_302600_NS17counting_iteratorIiNSB_11use_defaultESD_SD_EEPNS0_10empty_typeENS0_5tupleIJPiSF_EEENSH_IJSI_SG_EEENS0_18inequality_wrapperIN6hipcub16HIPCUB_304000_NS8EqualityEEEPlJSF_EEE10hipError_tPvRmT3_T4_T5_T6_T7_T9_mT8_P12ihipStream_tbDpT10_ENKUlT_T0_E_clISt17integral_constantIbLb0EES1A_EEDaS15_S16_EUlS15_E_NS1_11comp_targetILNS1_3genE5ELNS1_11target_archE942ELNS1_3gpuE9ELNS1_3repE0EEENS1_30default_config_static_selectorELNS0_4arch9wavefront6targetE0EEEvT1_
		.amdhsa_group_segment_fixed_size 0
		.amdhsa_private_segment_fixed_size 0
		.amdhsa_kernarg_size 112
		.amdhsa_user_sgpr_count 2
		.amdhsa_user_sgpr_dispatch_ptr 0
		.amdhsa_user_sgpr_queue_ptr 0
		.amdhsa_user_sgpr_kernarg_segment_ptr 1
		.amdhsa_user_sgpr_dispatch_id 0
		.amdhsa_user_sgpr_private_segment_size 0
		.amdhsa_wavefront_size32 1
		.amdhsa_uses_dynamic_stack 0
		.amdhsa_enable_private_segment 0
		.amdhsa_system_sgpr_workgroup_id_x 1
		.amdhsa_system_sgpr_workgroup_id_y 0
		.amdhsa_system_sgpr_workgroup_id_z 0
		.amdhsa_system_sgpr_workgroup_info 0
		.amdhsa_system_vgpr_workitem_id 0
		.amdhsa_next_free_vgpr 1
		.amdhsa_next_free_sgpr 1
		.amdhsa_reserve_vcc 0
		.amdhsa_float_round_mode_32 0
		.amdhsa_float_round_mode_16_64 0
		.amdhsa_float_denorm_mode_32 3
		.amdhsa_float_denorm_mode_16_64 3
		.amdhsa_fp16_overflow 0
		.amdhsa_workgroup_processor_mode 1
		.amdhsa_memory_ordered 1
		.amdhsa_forward_progress 1
		.amdhsa_inst_pref_size 0
		.amdhsa_round_robin_scheduling 0
		.amdhsa_exception_fp_ieee_invalid_op 0
		.amdhsa_exception_fp_denorm_src 0
		.amdhsa_exception_fp_ieee_div_zero 0
		.amdhsa_exception_fp_ieee_overflow 0
		.amdhsa_exception_fp_ieee_underflow 0
		.amdhsa_exception_fp_ieee_inexact 0
		.amdhsa_exception_int_div_zero 0
	.end_amdhsa_kernel
	.section	.text._ZN7rocprim17ROCPRIM_400000_NS6detail17trampoline_kernelINS0_14default_configENS1_25partition_config_selectorILNS1_17partition_subalgoE9EiibEEZZNS1_14partition_implILS5_9ELb0ES3_jPKiN6thrust23THRUST_200600_302600_NS17counting_iteratorIiNSB_11use_defaultESD_SD_EEPNS0_10empty_typeENS0_5tupleIJPiSF_EEENSH_IJSI_SG_EEENS0_18inequality_wrapperIN6hipcub16HIPCUB_304000_NS8EqualityEEEPlJSF_EEE10hipError_tPvRmT3_T4_T5_T6_T7_T9_mT8_P12ihipStream_tbDpT10_ENKUlT_T0_E_clISt17integral_constantIbLb0EES1A_EEDaS15_S16_EUlS15_E_NS1_11comp_targetILNS1_3genE5ELNS1_11target_archE942ELNS1_3gpuE9ELNS1_3repE0EEENS1_30default_config_static_selectorELNS0_4arch9wavefront6targetE0EEEvT1_,"axG",@progbits,_ZN7rocprim17ROCPRIM_400000_NS6detail17trampoline_kernelINS0_14default_configENS1_25partition_config_selectorILNS1_17partition_subalgoE9EiibEEZZNS1_14partition_implILS5_9ELb0ES3_jPKiN6thrust23THRUST_200600_302600_NS17counting_iteratorIiNSB_11use_defaultESD_SD_EEPNS0_10empty_typeENS0_5tupleIJPiSF_EEENSH_IJSI_SG_EEENS0_18inequality_wrapperIN6hipcub16HIPCUB_304000_NS8EqualityEEEPlJSF_EEE10hipError_tPvRmT3_T4_T5_T6_T7_T9_mT8_P12ihipStream_tbDpT10_ENKUlT_T0_E_clISt17integral_constantIbLb0EES1A_EEDaS15_S16_EUlS15_E_NS1_11comp_targetILNS1_3genE5ELNS1_11target_archE942ELNS1_3gpuE9ELNS1_3repE0EEENS1_30default_config_static_selectorELNS0_4arch9wavefront6targetE0EEEvT1_,comdat
.Lfunc_end2:
	.size	_ZN7rocprim17ROCPRIM_400000_NS6detail17trampoline_kernelINS0_14default_configENS1_25partition_config_selectorILNS1_17partition_subalgoE9EiibEEZZNS1_14partition_implILS5_9ELb0ES3_jPKiN6thrust23THRUST_200600_302600_NS17counting_iteratorIiNSB_11use_defaultESD_SD_EEPNS0_10empty_typeENS0_5tupleIJPiSF_EEENSH_IJSI_SG_EEENS0_18inequality_wrapperIN6hipcub16HIPCUB_304000_NS8EqualityEEEPlJSF_EEE10hipError_tPvRmT3_T4_T5_T6_T7_T9_mT8_P12ihipStream_tbDpT10_ENKUlT_T0_E_clISt17integral_constantIbLb0EES1A_EEDaS15_S16_EUlS15_E_NS1_11comp_targetILNS1_3genE5ELNS1_11target_archE942ELNS1_3gpuE9ELNS1_3repE0EEENS1_30default_config_static_selectorELNS0_4arch9wavefront6targetE0EEEvT1_, .Lfunc_end2-_ZN7rocprim17ROCPRIM_400000_NS6detail17trampoline_kernelINS0_14default_configENS1_25partition_config_selectorILNS1_17partition_subalgoE9EiibEEZZNS1_14partition_implILS5_9ELb0ES3_jPKiN6thrust23THRUST_200600_302600_NS17counting_iteratorIiNSB_11use_defaultESD_SD_EEPNS0_10empty_typeENS0_5tupleIJPiSF_EEENSH_IJSI_SG_EEENS0_18inequality_wrapperIN6hipcub16HIPCUB_304000_NS8EqualityEEEPlJSF_EEE10hipError_tPvRmT3_T4_T5_T6_T7_T9_mT8_P12ihipStream_tbDpT10_ENKUlT_T0_E_clISt17integral_constantIbLb0EES1A_EEDaS15_S16_EUlS15_E_NS1_11comp_targetILNS1_3genE5ELNS1_11target_archE942ELNS1_3gpuE9ELNS1_3repE0EEENS1_30default_config_static_selectorELNS0_4arch9wavefront6targetE0EEEvT1_
                                        ; -- End function
	.set _ZN7rocprim17ROCPRIM_400000_NS6detail17trampoline_kernelINS0_14default_configENS1_25partition_config_selectorILNS1_17partition_subalgoE9EiibEEZZNS1_14partition_implILS5_9ELb0ES3_jPKiN6thrust23THRUST_200600_302600_NS17counting_iteratorIiNSB_11use_defaultESD_SD_EEPNS0_10empty_typeENS0_5tupleIJPiSF_EEENSH_IJSI_SG_EEENS0_18inequality_wrapperIN6hipcub16HIPCUB_304000_NS8EqualityEEEPlJSF_EEE10hipError_tPvRmT3_T4_T5_T6_T7_T9_mT8_P12ihipStream_tbDpT10_ENKUlT_T0_E_clISt17integral_constantIbLb0EES1A_EEDaS15_S16_EUlS15_E_NS1_11comp_targetILNS1_3genE5ELNS1_11target_archE942ELNS1_3gpuE9ELNS1_3repE0EEENS1_30default_config_static_selectorELNS0_4arch9wavefront6targetE0EEEvT1_.num_vgpr, 0
	.set _ZN7rocprim17ROCPRIM_400000_NS6detail17trampoline_kernelINS0_14default_configENS1_25partition_config_selectorILNS1_17partition_subalgoE9EiibEEZZNS1_14partition_implILS5_9ELb0ES3_jPKiN6thrust23THRUST_200600_302600_NS17counting_iteratorIiNSB_11use_defaultESD_SD_EEPNS0_10empty_typeENS0_5tupleIJPiSF_EEENSH_IJSI_SG_EEENS0_18inequality_wrapperIN6hipcub16HIPCUB_304000_NS8EqualityEEEPlJSF_EEE10hipError_tPvRmT3_T4_T5_T6_T7_T9_mT8_P12ihipStream_tbDpT10_ENKUlT_T0_E_clISt17integral_constantIbLb0EES1A_EEDaS15_S16_EUlS15_E_NS1_11comp_targetILNS1_3genE5ELNS1_11target_archE942ELNS1_3gpuE9ELNS1_3repE0EEENS1_30default_config_static_selectorELNS0_4arch9wavefront6targetE0EEEvT1_.num_agpr, 0
	.set _ZN7rocprim17ROCPRIM_400000_NS6detail17trampoline_kernelINS0_14default_configENS1_25partition_config_selectorILNS1_17partition_subalgoE9EiibEEZZNS1_14partition_implILS5_9ELb0ES3_jPKiN6thrust23THRUST_200600_302600_NS17counting_iteratorIiNSB_11use_defaultESD_SD_EEPNS0_10empty_typeENS0_5tupleIJPiSF_EEENSH_IJSI_SG_EEENS0_18inequality_wrapperIN6hipcub16HIPCUB_304000_NS8EqualityEEEPlJSF_EEE10hipError_tPvRmT3_T4_T5_T6_T7_T9_mT8_P12ihipStream_tbDpT10_ENKUlT_T0_E_clISt17integral_constantIbLb0EES1A_EEDaS15_S16_EUlS15_E_NS1_11comp_targetILNS1_3genE5ELNS1_11target_archE942ELNS1_3gpuE9ELNS1_3repE0EEENS1_30default_config_static_selectorELNS0_4arch9wavefront6targetE0EEEvT1_.numbered_sgpr, 0
	.set _ZN7rocprim17ROCPRIM_400000_NS6detail17trampoline_kernelINS0_14default_configENS1_25partition_config_selectorILNS1_17partition_subalgoE9EiibEEZZNS1_14partition_implILS5_9ELb0ES3_jPKiN6thrust23THRUST_200600_302600_NS17counting_iteratorIiNSB_11use_defaultESD_SD_EEPNS0_10empty_typeENS0_5tupleIJPiSF_EEENSH_IJSI_SG_EEENS0_18inequality_wrapperIN6hipcub16HIPCUB_304000_NS8EqualityEEEPlJSF_EEE10hipError_tPvRmT3_T4_T5_T6_T7_T9_mT8_P12ihipStream_tbDpT10_ENKUlT_T0_E_clISt17integral_constantIbLb0EES1A_EEDaS15_S16_EUlS15_E_NS1_11comp_targetILNS1_3genE5ELNS1_11target_archE942ELNS1_3gpuE9ELNS1_3repE0EEENS1_30default_config_static_selectorELNS0_4arch9wavefront6targetE0EEEvT1_.num_named_barrier, 0
	.set _ZN7rocprim17ROCPRIM_400000_NS6detail17trampoline_kernelINS0_14default_configENS1_25partition_config_selectorILNS1_17partition_subalgoE9EiibEEZZNS1_14partition_implILS5_9ELb0ES3_jPKiN6thrust23THRUST_200600_302600_NS17counting_iteratorIiNSB_11use_defaultESD_SD_EEPNS0_10empty_typeENS0_5tupleIJPiSF_EEENSH_IJSI_SG_EEENS0_18inequality_wrapperIN6hipcub16HIPCUB_304000_NS8EqualityEEEPlJSF_EEE10hipError_tPvRmT3_T4_T5_T6_T7_T9_mT8_P12ihipStream_tbDpT10_ENKUlT_T0_E_clISt17integral_constantIbLb0EES1A_EEDaS15_S16_EUlS15_E_NS1_11comp_targetILNS1_3genE5ELNS1_11target_archE942ELNS1_3gpuE9ELNS1_3repE0EEENS1_30default_config_static_selectorELNS0_4arch9wavefront6targetE0EEEvT1_.private_seg_size, 0
	.set _ZN7rocprim17ROCPRIM_400000_NS6detail17trampoline_kernelINS0_14default_configENS1_25partition_config_selectorILNS1_17partition_subalgoE9EiibEEZZNS1_14partition_implILS5_9ELb0ES3_jPKiN6thrust23THRUST_200600_302600_NS17counting_iteratorIiNSB_11use_defaultESD_SD_EEPNS0_10empty_typeENS0_5tupleIJPiSF_EEENSH_IJSI_SG_EEENS0_18inequality_wrapperIN6hipcub16HIPCUB_304000_NS8EqualityEEEPlJSF_EEE10hipError_tPvRmT3_T4_T5_T6_T7_T9_mT8_P12ihipStream_tbDpT10_ENKUlT_T0_E_clISt17integral_constantIbLb0EES1A_EEDaS15_S16_EUlS15_E_NS1_11comp_targetILNS1_3genE5ELNS1_11target_archE942ELNS1_3gpuE9ELNS1_3repE0EEENS1_30default_config_static_selectorELNS0_4arch9wavefront6targetE0EEEvT1_.uses_vcc, 0
	.set _ZN7rocprim17ROCPRIM_400000_NS6detail17trampoline_kernelINS0_14default_configENS1_25partition_config_selectorILNS1_17partition_subalgoE9EiibEEZZNS1_14partition_implILS5_9ELb0ES3_jPKiN6thrust23THRUST_200600_302600_NS17counting_iteratorIiNSB_11use_defaultESD_SD_EEPNS0_10empty_typeENS0_5tupleIJPiSF_EEENSH_IJSI_SG_EEENS0_18inequality_wrapperIN6hipcub16HIPCUB_304000_NS8EqualityEEEPlJSF_EEE10hipError_tPvRmT3_T4_T5_T6_T7_T9_mT8_P12ihipStream_tbDpT10_ENKUlT_T0_E_clISt17integral_constantIbLb0EES1A_EEDaS15_S16_EUlS15_E_NS1_11comp_targetILNS1_3genE5ELNS1_11target_archE942ELNS1_3gpuE9ELNS1_3repE0EEENS1_30default_config_static_selectorELNS0_4arch9wavefront6targetE0EEEvT1_.uses_flat_scratch, 0
	.set _ZN7rocprim17ROCPRIM_400000_NS6detail17trampoline_kernelINS0_14default_configENS1_25partition_config_selectorILNS1_17partition_subalgoE9EiibEEZZNS1_14partition_implILS5_9ELb0ES3_jPKiN6thrust23THRUST_200600_302600_NS17counting_iteratorIiNSB_11use_defaultESD_SD_EEPNS0_10empty_typeENS0_5tupleIJPiSF_EEENSH_IJSI_SG_EEENS0_18inequality_wrapperIN6hipcub16HIPCUB_304000_NS8EqualityEEEPlJSF_EEE10hipError_tPvRmT3_T4_T5_T6_T7_T9_mT8_P12ihipStream_tbDpT10_ENKUlT_T0_E_clISt17integral_constantIbLb0EES1A_EEDaS15_S16_EUlS15_E_NS1_11comp_targetILNS1_3genE5ELNS1_11target_archE942ELNS1_3gpuE9ELNS1_3repE0EEENS1_30default_config_static_selectorELNS0_4arch9wavefront6targetE0EEEvT1_.has_dyn_sized_stack, 0
	.set _ZN7rocprim17ROCPRIM_400000_NS6detail17trampoline_kernelINS0_14default_configENS1_25partition_config_selectorILNS1_17partition_subalgoE9EiibEEZZNS1_14partition_implILS5_9ELb0ES3_jPKiN6thrust23THRUST_200600_302600_NS17counting_iteratorIiNSB_11use_defaultESD_SD_EEPNS0_10empty_typeENS0_5tupleIJPiSF_EEENSH_IJSI_SG_EEENS0_18inequality_wrapperIN6hipcub16HIPCUB_304000_NS8EqualityEEEPlJSF_EEE10hipError_tPvRmT3_T4_T5_T6_T7_T9_mT8_P12ihipStream_tbDpT10_ENKUlT_T0_E_clISt17integral_constantIbLb0EES1A_EEDaS15_S16_EUlS15_E_NS1_11comp_targetILNS1_3genE5ELNS1_11target_archE942ELNS1_3gpuE9ELNS1_3repE0EEENS1_30default_config_static_selectorELNS0_4arch9wavefront6targetE0EEEvT1_.has_recursion, 0
	.set _ZN7rocprim17ROCPRIM_400000_NS6detail17trampoline_kernelINS0_14default_configENS1_25partition_config_selectorILNS1_17partition_subalgoE9EiibEEZZNS1_14partition_implILS5_9ELb0ES3_jPKiN6thrust23THRUST_200600_302600_NS17counting_iteratorIiNSB_11use_defaultESD_SD_EEPNS0_10empty_typeENS0_5tupleIJPiSF_EEENSH_IJSI_SG_EEENS0_18inequality_wrapperIN6hipcub16HIPCUB_304000_NS8EqualityEEEPlJSF_EEE10hipError_tPvRmT3_T4_T5_T6_T7_T9_mT8_P12ihipStream_tbDpT10_ENKUlT_T0_E_clISt17integral_constantIbLb0EES1A_EEDaS15_S16_EUlS15_E_NS1_11comp_targetILNS1_3genE5ELNS1_11target_archE942ELNS1_3gpuE9ELNS1_3repE0EEENS1_30default_config_static_selectorELNS0_4arch9wavefront6targetE0EEEvT1_.has_indirect_call, 0
	.section	.AMDGPU.csdata,"",@progbits
; Kernel info:
; codeLenInByte = 0
; TotalNumSgprs: 0
; NumVgprs: 0
; ScratchSize: 0
; MemoryBound: 0
; FloatMode: 240
; IeeeMode: 1
; LDSByteSize: 0 bytes/workgroup (compile time only)
; SGPRBlocks: 0
; VGPRBlocks: 0
; NumSGPRsForWavesPerEU: 1
; NumVGPRsForWavesPerEU: 1
; Occupancy: 16
; WaveLimiterHint : 0
; COMPUTE_PGM_RSRC2:SCRATCH_EN: 0
; COMPUTE_PGM_RSRC2:USER_SGPR: 2
; COMPUTE_PGM_RSRC2:TRAP_HANDLER: 0
; COMPUTE_PGM_RSRC2:TGID_X_EN: 1
; COMPUTE_PGM_RSRC2:TGID_Y_EN: 0
; COMPUTE_PGM_RSRC2:TGID_Z_EN: 0
; COMPUTE_PGM_RSRC2:TIDIG_COMP_CNT: 0
	.section	.text._ZN7rocprim17ROCPRIM_400000_NS6detail17trampoline_kernelINS0_14default_configENS1_25partition_config_selectorILNS1_17partition_subalgoE9EiibEEZZNS1_14partition_implILS5_9ELb0ES3_jPKiN6thrust23THRUST_200600_302600_NS17counting_iteratorIiNSB_11use_defaultESD_SD_EEPNS0_10empty_typeENS0_5tupleIJPiSF_EEENSH_IJSI_SG_EEENS0_18inequality_wrapperIN6hipcub16HIPCUB_304000_NS8EqualityEEEPlJSF_EEE10hipError_tPvRmT3_T4_T5_T6_T7_T9_mT8_P12ihipStream_tbDpT10_ENKUlT_T0_E_clISt17integral_constantIbLb0EES1A_EEDaS15_S16_EUlS15_E_NS1_11comp_targetILNS1_3genE4ELNS1_11target_archE910ELNS1_3gpuE8ELNS1_3repE0EEENS1_30default_config_static_selectorELNS0_4arch9wavefront6targetE0EEEvT1_,"axG",@progbits,_ZN7rocprim17ROCPRIM_400000_NS6detail17trampoline_kernelINS0_14default_configENS1_25partition_config_selectorILNS1_17partition_subalgoE9EiibEEZZNS1_14partition_implILS5_9ELb0ES3_jPKiN6thrust23THRUST_200600_302600_NS17counting_iteratorIiNSB_11use_defaultESD_SD_EEPNS0_10empty_typeENS0_5tupleIJPiSF_EEENSH_IJSI_SG_EEENS0_18inequality_wrapperIN6hipcub16HIPCUB_304000_NS8EqualityEEEPlJSF_EEE10hipError_tPvRmT3_T4_T5_T6_T7_T9_mT8_P12ihipStream_tbDpT10_ENKUlT_T0_E_clISt17integral_constantIbLb0EES1A_EEDaS15_S16_EUlS15_E_NS1_11comp_targetILNS1_3genE4ELNS1_11target_archE910ELNS1_3gpuE8ELNS1_3repE0EEENS1_30default_config_static_selectorELNS0_4arch9wavefront6targetE0EEEvT1_,comdat
	.protected	_ZN7rocprim17ROCPRIM_400000_NS6detail17trampoline_kernelINS0_14default_configENS1_25partition_config_selectorILNS1_17partition_subalgoE9EiibEEZZNS1_14partition_implILS5_9ELb0ES3_jPKiN6thrust23THRUST_200600_302600_NS17counting_iteratorIiNSB_11use_defaultESD_SD_EEPNS0_10empty_typeENS0_5tupleIJPiSF_EEENSH_IJSI_SG_EEENS0_18inequality_wrapperIN6hipcub16HIPCUB_304000_NS8EqualityEEEPlJSF_EEE10hipError_tPvRmT3_T4_T5_T6_T7_T9_mT8_P12ihipStream_tbDpT10_ENKUlT_T0_E_clISt17integral_constantIbLb0EES1A_EEDaS15_S16_EUlS15_E_NS1_11comp_targetILNS1_3genE4ELNS1_11target_archE910ELNS1_3gpuE8ELNS1_3repE0EEENS1_30default_config_static_selectorELNS0_4arch9wavefront6targetE0EEEvT1_ ; -- Begin function _ZN7rocprim17ROCPRIM_400000_NS6detail17trampoline_kernelINS0_14default_configENS1_25partition_config_selectorILNS1_17partition_subalgoE9EiibEEZZNS1_14partition_implILS5_9ELb0ES3_jPKiN6thrust23THRUST_200600_302600_NS17counting_iteratorIiNSB_11use_defaultESD_SD_EEPNS0_10empty_typeENS0_5tupleIJPiSF_EEENSH_IJSI_SG_EEENS0_18inequality_wrapperIN6hipcub16HIPCUB_304000_NS8EqualityEEEPlJSF_EEE10hipError_tPvRmT3_T4_T5_T6_T7_T9_mT8_P12ihipStream_tbDpT10_ENKUlT_T0_E_clISt17integral_constantIbLb0EES1A_EEDaS15_S16_EUlS15_E_NS1_11comp_targetILNS1_3genE4ELNS1_11target_archE910ELNS1_3gpuE8ELNS1_3repE0EEENS1_30default_config_static_selectorELNS0_4arch9wavefront6targetE0EEEvT1_
	.globl	_ZN7rocprim17ROCPRIM_400000_NS6detail17trampoline_kernelINS0_14default_configENS1_25partition_config_selectorILNS1_17partition_subalgoE9EiibEEZZNS1_14partition_implILS5_9ELb0ES3_jPKiN6thrust23THRUST_200600_302600_NS17counting_iteratorIiNSB_11use_defaultESD_SD_EEPNS0_10empty_typeENS0_5tupleIJPiSF_EEENSH_IJSI_SG_EEENS0_18inequality_wrapperIN6hipcub16HIPCUB_304000_NS8EqualityEEEPlJSF_EEE10hipError_tPvRmT3_T4_T5_T6_T7_T9_mT8_P12ihipStream_tbDpT10_ENKUlT_T0_E_clISt17integral_constantIbLb0EES1A_EEDaS15_S16_EUlS15_E_NS1_11comp_targetILNS1_3genE4ELNS1_11target_archE910ELNS1_3gpuE8ELNS1_3repE0EEENS1_30default_config_static_selectorELNS0_4arch9wavefront6targetE0EEEvT1_
	.p2align	8
	.type	_ZN7rocprim17ROCPRIM_400000_NS6detail17trampoline_kernelINS0_14default_configENS1_25partition_config_selectorILNS1_17partition_subalgoE9EiibEEZZNS1_14partition_implILS5_9ELb0ES3_jPKiN6thrust23THRUST_200600_302600_NS17counting_iteratorIiNSB_11use_defaultESD_SD_EEPNS0_10empty_typeENS0_5tupleIJPiSF_EEENSH_IJSI_SG_EEENS0_18inequality_wrapperIN6hipcub16HIPCUB_304000_NS8EqualityEEEPlJSF_EEE10hipError_tPvRmT3_T4_T5_T6_T7_T9_mT8_P12ihipStream_tbDpT10_ENKUlT_T0_E_clISt17integral_constantIbLb0EES1A_EEDaS15_S16_EUlS15_E_NS1_11comp_targetILNS1_3genE4ELNS1_11target_archE910ELNS1_3gpuE8ELNS1_3repE0EEENS1_30default_config_static_selectorELNS0_4arch9wavefront6targetE0EEEvT1_,@function
_ZN7rocprim17ROCPRIM_400000_NS6detail17trampoline_kernelINS0_14default_configENS1_25partition_config_selectorILNS1_17partition_subalgoE9EiibEEZZNS1_14partition_implILS5_9ELb0ES3_jPKiN6thrust23THRUST_200600_302600_NS17counting_iteratorIiNSB_11use_defaultESD_SD_EEPNS0_10empty_typeENS0_5tupleIJPiSF_EEENSH_IJSI_SG_EEENS0_18inequality_wrapperIN6hipcub16HIPCUB_304000_NS8EqualityEEEPlJSF_EEE10hipError_tPvRmT3_T4_T5_T6_T7_T9_mT8_P12ihipStream_tbDpT10_ENKUlT_T0_E_clISt17integral_constantIbLb0EES1A_EEDaS15_S16_EUlS15_E_NS1_11comp_targetILNS1_3genE4ELNS1_11target_archE910ELNS1_3gpuE8ELNS1_3repE0EEENS1_30default_config_static_selectorELNS0_4arch9wavefront6targetE0EEEvT1_: ; @_ZN7rocprim17ROCPRIM_400000_NS6detail17trampoline_kernelINS0_14default_configENS1_25partition_config_selectorILNS1_17partition_subalgoE9EiibEEZZNS1_14partition_implILS5_9ELb0ES3_jPKiN6thrust23THRUST_200600_302600_NS17counting_iteratorIiNSB_11use_defaultESD_SD_EEPNS0_10empty_typeENS0_5tupleIJPiSF_EEENSH_IJSI_SG_EEENS0_18inequality_wrapperIN6hipcub16HIPCUB_304000_NS8EqualityEEEPlJSF_EEE10hipError_tPvRmT3_T4_T5_T6_T7_T9_mT8_P12ihipStream_tbDpT10_ENKUlT_T0_E_clISt17integral_constantIbLb0EES1A_EEDaS15_S16_EUlS15_E_NS1_11comp_targetILNS1_3genE4ELNS1_11target_archE910ELNS1_3gpuE8ELNS1_3repE0EEENS1_30default_config_static_selectorELNS0_4arch9wavefront6targetE0EEEvT1_
; %bb.0:
	.section	.rodata,"a",@progbits
	.p2align	6, 0x0
	.amdhsa_kernel _ZN7rocprim17ROCPRIM_400000_NS6detail17trampoline_kernelINS0_14default_configENS1_25partition_config_selectorILNS1_17partition_subalgoE9EiibEEZZNS1_14partition_implILS5_9ELb0ES3_jPKiN6thrust23THRUST_200600_302600_NS17counting_iteratorIiNSB_11use_defaultESD_SD_EEPNS0_10empty_typeENS0_5tupleIJPiSF_EEENSH_IJSI_SG_EEENS0_18inequality_wrapperIN6hipcub16HIPCUB_304000_NS8EqualityEEEPlJSF_EEE10hipError_tPvRmT3_T4_T5_T6_T7_T9_mT8_P12ihipStream_tbDpT10_ENKUlT_T0_E_clISt17integral_constantIbLb0EES1A_EEDaS15_S16_EUlS15_E_NS1_11comp_targetILNS1_3genE4ELNS1_11target_archE910ELNS1_3gpuE8ELNS1_3repE0EEENS1_30default_config_static_selectorELNS0_4arch9wavefront6targetE0EEEvT1_
		.amdhsa_group_segment_fixed_size 0
		.amdhsa_private_segment_fixed_size 0
		.amdhsa_kernarg_size 112
		.amdhsa_user_sgpr_count 2
		.amdhsa_user_sgpr_dispatch_ptr 0
		.amdhsa_user_sgpr_queue_ptr 0
		.amdhsa_user_sgpr_kernarg_segment_ptr 1
		.amdhsa_user_sgpr_dispatch_id 0
		.amdhsa_user_sgpr_private_segment_size 0
		.amdhsa_wavefront_size32 1
		.amdhsa_uses_dynamic_stack 0
		.amdhsa_enable_private_segment 0
		.amdhsa_system_sgpr_workgroup_id_x 1
		.amdhsa_system_sgpr_workgroup_id_y 0
		.amdhsa_system_sgpr_workgroup_id_z 0
		.amdhsa_system_sgpr_workgroup_info 0
		.amdhsa_system_vgpr_workitem_id 0
		.amdhsa_next_free_vgpr 1
		.amdhsa_next_free_sgpr 1
		.amdhsa_reserve_vcc 0
		.amdhsa_float_round_mode_32 0
		.amdhsa_float_round_mode_16_64 0
		.amdhsa_float_denorm_mode_32 3
		.amdhsa_float_denorm_mode_16_64 3
		.amdhsa_fp16_overflow 0
		.amdhsa_workgroup_processor_mode 1
		.amdhsa_memory_ordered 1
		.amdhsa_forward_progress 1
		.amdhsa_inst_pref_size 0
		.amdhsa_round_robin_scheduling 0
		.amdhsa_exception_fp_ieee_invalid_op 0
		.amdhsa_exception_fp_denorm_src 0
		.amdhsa_exception_fp_ieee_div_zero 0
		.amdhsa_exception_fp_ieee_overflow 0
		.amdhsa_exception_fp_ieee_underflow 0
		.amdhsa_exception_fp_ieee_inexact 0
		.amdhsa_exception_int_div_zero 0
	.end_amdhsa_kernel
	.section	.text._ZN7rocprim17ROCPRIM_400000_NS6detail17trampoline_kernelINS0_14default_configENS1_25partition_config_selectorILNS1_17partition_subalgoE9EiibEEZZNS1_14partition_implILS5_9ELb0ES3_jPKiN6thrust23THRUST_200600_302600_NS17counting_iteratorIiNSB_11use_defaultESD_SD_EEPNS0_10empty_typeENS0_5tupleIJPiSF_EEENSH_IJSI_SG_EEENS0_18inequality_wrapperIN6hipcub16HIPCUB_304000_NS8EqualityEEEPlJSF_EEE10hipError_tPvRmT3_T4_T5_T6_T7_T9_mT8_P12ihipStream_tbDpT10_ENKUlT_T0_E_clISt17integral_constantIbLb0EES1A_EEDaS15_S16_EUlS15_E_NS1_11comp_targetILNS1_3genE4ELNS1_11target_archE910ELNS1_3gpuE8ELNS1_3repE0EEENS1_30default_config_static_selectorELNS0_4arch9wavefront6targetE0EEEvT1_,"axG",@progbits,_ZN7rocprim17ROCPRIM_400000_NS6detail17trampoline_kernelINS0_14default_configENS1_25partition_config_selectorILNS1_17partition_subalgoE9EiibEEZZNS1_14partition_implILS5_9ELb0ES3_jPKiN6thrust23THRUST_200600_302600_NS17counting_iteratorIiNSB_11use_defaultESD_SD_EEPNS0_10empty_typeENS0_5tupleIJPiSF_EEENSH_IJSI_SG_EEENS0_18inequality_wrapperIN6hipcub16HIPCUB_304000_NS8EqualityEEEPlJSF_EEE10hipError_tPvRmT3_T4_T5_T6_T7_T9_mT8_P12ihipStream_tbDpT10_ENKUlT_T0_E_clISt17integral_constantIbLb0EES1A_EEDaS15_S16_EUlS15_E_NS1_11comp_targetILNS1_3genE4ELNS1_11target_archE910ELNS1_3gpuE8ELNS1_3repE0EEENS1_30default_config_static_selectorELNS0_4arch9wavefront6targetE0EEEvT1_,comdat
.Lfunc_end3:
	.size	_ZN7rocprim17ROCPRIM_400000_NS6detail17trampoline_kernelINS0_14default_configENS1_25partition_config_selectorILNS1_17partition_subalgoE9EiibEEZZNS1_14partition_implILS5_9ELb0ES3_jPKiN6thrust23THRUST_200600_302600_NS17counting_iteratorIiNSB_11use_defaultESD_SD_EEPNS0_10empty_typeENS0_5tupleIJPiSF_EEENSH_IJSI_SG_EEENS0_18inequality_wrapperIN6hipcub16HIPCUB_304000_NS8EqualityEEEPlJSF_EEE10hipError_tPvRmT3_T4_T5_T6_T7_T9_mT8_P12ihipStream_tbDpT10_ENKUlT_T0_E_clISt17integral_constantIbLb0EES1A_EEDaS15_S16_EUlS15_E_NS1_11comp_targetILNS1_3genE4ELNS1_11target_archE910ELNS1_3gpuE8ELNS1_3repE0EEENS1_30default_config_static_selectorELNS0_4arch9wavefront6targetE0EEEvT1_, .Lfunc_end3-_ZN7rocprim17ROCPRIM_400000_NS6detail17trampoline_kernelINS0_14default_configENS1_25partition_config_selectorILNS1_17partition_subalgoE9EiibEEZZNS1_14partition_implILS5_9ELb0ES3_jPKiN6thrust23THRUST_200600_302600_NS17counting_iteratorIiNSB_11use_defaultESD_SD_EEPNS0_10empty_typeENS0_5tupleIJPiSF_EEENSH_IJSI_SG_EEENS0_18inequality_wrapperIN6hipcub16HIPCUB_304000_NS8EqualityEEEPlJSF_EEE10hipError_tPvRmT3_T4_T5_T6_T7_T9_mT8_P12ihipStream_tbDpT10_ENKUlT_T0_E_clISt17integral_constantIbLb0EES1A_EEDaS15_S16_EUlS15_E_NS1_11comp_targetILNS1_3genE4ELNS1_11target_archE910ELNS1_3gpuE8ELNS1_3repE0EEENS1_30default_config_static_selectorELNS0_4arch9wavefront6targetE0EEEvT1_
                                        ; -- End function
	.set _ZN7rocprim17ROCPRIM_400000_NS6detail17trampoline_kernelINS0_14default_configENS1_25partition_config_selectorILNS1_17partition_subalgoE9EiibEEZZNS1_14partition_implILS5_9ELb0ES3_jPKiN6thrust23THRUST_200600_302600_NS17counting_iteratorIiNSB_11use_defaultESD_SD_EEPNS0_10empty_typeENS0_5tupleIJPiSF_EEENSH_IJSI_SG_EEENS0_18inequality_wrapperIN6hipcub16HIPCUB_304000_NS8EqualityEEEPlJSF_EEE10hipError_tPvRmT3_T4_T5_T6_T7_T9_mT8_P12ihipStream_tbDpT10_ENKUlT_T0_E_clISt17integral_constantIbLb0EES1A_EEDaS15_S16_EUlS15_E_NS1_11comp_targetILNS1_3genE4ELNS1_11target_archE910ELNS1_3gpuE8ELNS1_3repE0EEENS1_30default_config_static_selectorELNS0_4arch9wavefront6targetE0EEEvT1_.num_vgpr, 0
	.set _ZN7rocprim17ROCPRIM_400000_NS6detail17trampoline_kernelINS0_14default_configENS1_25partition_config_selectorILNS1_17partition_subalgoE9EiibEEZZNS1_14partition_implILS5_9ELb0ES3_jPKiN6thrust23THRUST_200600_302600_NS17counting_iteratorIiNSB_11use_defaultESD_SD_EEPNS0_10empty_typeENS0_5tupleIJPiSF_EEENSH_IJSI_SG_EEENS0_18inequality_wrapperIN6hipcub16HIPCUB_304000_NS8EqualityEEEPlJSF_EEE10hipError_tPvRmT3_T4_T5_T6_T7_T9_mT8_P12ihipStream_tbDpT10_ENKUlT_T0_E_clISt17integral_constantIbLb0EES1A_EEDaS15_S16_EUlS15_E_NS1_11comp_targetILNS1_3genE4ELNS1_11target_archE910ELNS1_3gpuE8ELNS1_3repE0EEENS1_30default_config_static_selectorELNS0_4arch9wavefront6targetE0EEEvT1_.num_agpr, 0
	.set _ZN7rocprim17ROCPRIM_400000_NS6detail17trampoline_kernelINS0_14default_configENS1_25partition_config_selectorILNS1_17partition_subalgoE9EiibEEZZNS1_14partition_implILS5_9ELb0ES3_jPKiN6thrust23THRUST_200600_302600_NS17counting_iteratorIiNSB_11use_defaultESD_SD_EEPNS0_10empty_typeENS0_5tupleIJPiSF_EEENSH_IJSI_SG_EEENS0_18inequality_wrapperIN6hipcub16HIPCUB_304000_NS8EqualityEEEPlJSF_EEE10hipError_tPvRmT3_T4_T5_T6_T7_T9_mT8_P12ihipStream_tbDpT10_ENKUlT_T0_E_clISt17integral_constantIbLb0EES1A_EEDaS15_S16_EUlS15_E_NS1_11comp_targetILNS1_3genE4ELNS1_11target_archE910ELNS1_3gpuE8ELNS1_3repE0EEENS1_30default_config_static_selectorELNS0_4arch9wavefront6targetE0EEEvT1_.numbered_sgpr, 0
	.set _ZN7rocprim17ROCPRIM_400000_NS6detail17trampoline_kernelINS0_14default_configENS1_25partition_config_selectorILNS1_17partition_subalgoE9EiibEEZZNS1_14partition_implILS5_9ELb0ES3_jPKiN6thrust23THRUST_200600_302600_NS17counting_iteratorIiNSB_11use_defaultESD_SD_EEPNS0_10empty_typeENS0_5tupleIJPiSF_EEENSH_IJSI_SG_EEENS0_18inequality_wrapperIN6hipcub16HIPCUB_304000_NS8EqualityEEEPlJSF_EEE10hipError_tPvRmT3_T4_T5_T6_T7_T9_mT8_P12ihipStream_tbDpT10_ENKUlT_T0_E_clISt17integral_constantIbLb0EES1A_EEDaS15_S16_EUlS15_E_NS1_11comp_targetILNS1_3genE4ELNS1_11target_archE910ELNS1_3gpuE8ELNS1_3repE0EEENS1_30default_config_static_selectorELNS0_4arch9wavefront6targetE0EEEvT1_.num_named_barrier, 0
	.set _ZN7rocprim17ROCPRIM_400000_NS6detail17trampoline_kernelINS0_14default_configENS1_25partition_config_selectorILNS1_17partition_subalgoE9EiibEEZZNS1_14partition_implILS5_9ELb0ES3_jPKiN6thrust23THRUST_200600_302600_NS17counting_iteratorIiNSB_11use_defaultESD_SD_EEPNS0_10empty_typeENS0_5tupleIJPiSF_EEENSH_IJSI_SG_EEENS0_18inequality_wrapperIN6hipcub16HIPCUB_304000_NS8EqualityEEEPlJSF_EEE10hipError_tPvRmT3_T4_T5_T6_T7_T9_mT8_P12ihipStream_tbDpT10_ENKUlT_T0_E_clISt17integral_constantIbLb0EES1A_EEDaS15_S16_EUlS15_E_NS1_11comp_targetILNS1_3genE4ELNS1_11target_archE910ELNS1_3gpuE8ELNS1_3repE0EEENS1_30default_config_static_selectorELNS0_4arch9wavefront6targetE0EEEvT1_.private_seg_size, 0
	.set _ZN7rocprim17ROCPRIM_400000_NS6detail17trampoline_kernelINS0_14default_configENS1_25partition_config_selectorILNS1_17partition_subalgoE9EiibEEZZNS1_14partition_implILS5_9ELb0ES3_jPKiN6thrust23THRUST_200600_302600_NS17counting_iteratorIiNSB_11use_defaultESD_SD_EEPNS0_10empty_typeENS0_5tupleIJPiSF_EEENSH_IJSI_SG_EEENS0_18inequality_wrapperIN6hipcub16HIPCUB_304000_NS8EqualityEEEPlJSF_EEE10hipError_tPvRmT3_T4_T5_T6_T7_T9_mT8_P12ihipStream_tbDpT10_ENKUlT_T0_E_clISt17integral_constantIbLb0EES1A_EEDaS15_S16_EUlS15_E_NS1_11comp_targetILNS1_3genE4ELNS1_11target_archE910ELNS1_3gpuE8ELNS1_3repE0EEENS1_30default_config_static_selectorELNS0_4arch9wavefront6targetE0EEEvT1_.uses_vcc, 0
	.set _ZN7rocprim17ROCPRIM_400000_NS6detail17trampoline_kernelINS0_14default_configENS1_25partition_config_selectorILNS1_17partition_subalgoE9EiibEEZZNS1_14partition_implILS5_9ELb0ES3_jPKiN6thrust23THRUST_200600_302600_NS17counting_iteratorIiNSB_11use_defaultESD_SD_EEPNS0_10empty_typeENS0_5tupleIJPiSF_EEENSH_IJSI_SG_EEENS0_18inequality_wrapperIN6hipcub16HIPCUB_304000_NS8EqualityEEEPlJSF_EEE10hipError_tPvRmT3_T4_T5_T6_T7_T9_mT8_P12ihipStream_tbDpT10_ENKUlT_T0_E_clISt17integral_constantIbLb0EES1A_EEDaS15_S16_EUlS15_E_NS1_11comp_targetILNS1_3genE4ELNS1_11target_archE910ELNS1_3gpuE8ELNS1_3repE0EEENS1_30default_config_static_selectorELNS0_4arch9wavefront6targetE0EEEvT1_.uses_flat_scratch, 0
	.set _ZN7rocprim17ROCPRIM_400000_NS6detail17trampoline_kernelINS0_14default_configENS1_25partition_config_selectorILNS1_17partition_subalgoE9EiibEEZZNS1_14partition_implILS5_9ELb0ES3_jPKiN6thrust23THRUST_200600_302600_NS17counting_iteratorIiNSB_11use_defaultESD_SD_EEPNS0_10empty_typeENS0_5tupleIJPiSF_EEENSH_IJSI_SG_EEENS0_18inequality_wrapperIN6hipcub16HIPCUB_304000_NS8EqualityEEEPlJSF_EEE10hipError_tPvRmT3_T4_T5_T6_T7_T9_mT8_P12ihipStream_tbDpT10_ENKUlT_T0_E_clISt17integral_constantIbLb0EES1A_EEDaS15_S16_EUlS15_E_NS1_11comp_targetILNS1_3genE4ELNS1_11target_archE910ELNS1_3gpuE8ELNS1_3repE0EEENS1_30default_config_static_selectorELNS0_4arch9wavefront6targetE0EEEvT1_.has_dyn_sized_stack, 0
	.set _ZN7rocprim17ROCPRIM_400000_NS6detail17trampoline_kernelINS0_14default_configENS1_25partition_config_selectorILNS1_17partition_subalgoE9EiibEEZZNS1_14partition_implILS5_9ELb0ES3_jPKiN6thrust23THRUST_200600_302600_NS17counting_iteratorIiNSB_11use_defaultESD_SD_EEPNS0_10empty_typeENS0_5tupleIJPiSF_EEENSH_IJSI_SG_EEENS0_18inequality_wrapperIN6hipcub16HIPCUB_304000_NS8EqualityEEEPlJSF_EEE10hipError_tPvRmT3_T4_T5_T6_T7_T9_mT8_P12ihipStream_tbDpT10_ENKUlT_T0_E_clISt17integral_constantIbLb0EES1A_EEDaS15_S16_EUlS15_E_NS1_11comp_targetILNS1_3genE4ELNS1_11target_archE910ELNS1_3gpuE8ELNS1_3repE0EEENS1_30default_config_static_selectorELNS0_4arch9wavefront6targetE0EEEvT1_.has_recursion, 0
	.set _ZN7rocprim17ROCPRIM_400000_NS6detail17trampoline_kernelINS0_14default_configENS1_25partition_config_selectorILNS1_17partition_subalgoE9EiibEEZZNS1_14partition_implILS5_9ELb0ES3_jPKiN6thrust23THRUST_200600_302600_NS17counting_iteratorIiNSB_11use_defaultESD_SD_EEPNS0_10empty_typeENS0_5tupleIJPiSF_EEENSH_IJSI_SG_EEENS0_18inequality_wrapperIN6hipcub16HIPCUB_304000_NS8EqualityEEEPlJSF_EEE10hipError_tPvRmT3_T4_T5_T6_T7_T9_mT8_P12ihipStream_tbDpT10_ENKUlT_T0_E_clISt17integral_constantIbLb0EES1A_EEDaS15_S16_EUlS15_E_NS1_11comp_targetILNS1_3genE4ELNS1_11target_archE910ELNS1_3gpuE8ELNS1_3repE0EEENS1_30default_config_static_selectorELNS0_4arch9wavefront6targetE0EEEvT1_.has_indirect_call, 0
	.section	.AMDGPU.csdata,"",@progbits
; Kernel info:
; codeLenInByte = 0
; TotalNumSgprs: 0
; NumVgprs: 0
; ScratchSize: 0
; MemoryBound: 0
; FloatMode: 240
; IeeeMode: 1
; LDSByteSize: 0 bytes/workgroup (compile time only)
; SGPRBlocks: 0
; VGPRBlocks: 0
; NumSGPRsForWavesPerEU: 1
; NumVGPRsForWavesPerEU: 1
; Occupancy: 16
; WaveLimiterHint : 0
; COMPUTE_PGM_RSRC2:SCRATCH_EN: 0
; COMPUTE_PGM_RSRC2:USER_SGPR: 2
; COMPUTE_PGM_RSRC2:TRAP_HANDLER: 0
; COMPUTE_PGM_RSRC2:TGID_X_EN: 1
; COMPUTE_PGM_RSRC2:TGID_Y_EN: 0
; COMPUTE_PGM_RSRC2:TGID_Z_EN: 0
; COMPUTE_PGM_RSRC2:TIDIG_COMP_CNT: 0
	.section	.text._ZN7rocprim17ROCPRIM_400000_NS6detail17trampoline_kernelINS0_14default_configENS1_25partition_config_selectorILNS1_17partition_subalgoE9EiibEEZZNS1_14partition_implILS5_9ELb0ES3_jPKiN6thrust23THRUST_200600_302600_NS17counting_iteratorIiNSB_11use_defaultESD_SD_EEPNS0_10empty_typeENS0_5tupleIJPiSF_EEENSH_IJSI_SG_EEENS0_18inequality_wrapperIN6hipcub16HIPCUB_304000_NS8EqualityEEEPlJSF_EEE10hipError_tPvRmT3_T4_T5_T6_T7_T9_mT8_P12ihipStream_tbDpT10_ENKUlT_T0_E_clISt17integral_constantIbLb0EES1A_EEDaS15_S16_EUlS15_E_NS1_11comp_targetILNS1_3genE3ELNS1_11target_archE908ELNS1_3gpuE7ELNS1_3repE0EEENS1_30default_config_static_selectorELNS0_4arch9wavefront6targetE0EEEvT1_,"axG",@progbits,_ZN7rocprim17ROCPRIM_400000_NS6detail17trampoline_kernelINS0_14default_configENS1_25partition_config_selectorILNS1_17partition_subalgoE9EiibEEZZNS1_14partition_implILS5_9ELb0ES3_jPKiN6thrust23THRUST_200600_302600_NS17counting_iteratorIiNSB_11use_defaultESD_SD_EEPNS0_10empty_typeENS0_5tupleIJPiSF_EEENSH_IJSI_SG_EEENS0_18inequality_wrapperIN6hipcub16HIPCUB_304000_NS8EqualityEEEPlJSF_EEE10hipError_tPvRmT3_T4_T5_T6_T7_T9_mT8_P12ihipStream_tbDpT10_ENKUlT_T0_E_clISt17integral_constantIbLb0EES1A_EEDaS15_S16_EUlS15_E_NS1_11comp_targetILNS1_3genE3ELNS1_11target_archE908ELNS1_3gpuE7ELNS1_3repE0EEENS1_30default_config_static_selectorELNS0_4arch9wavefront6targetE0EEEvT1_,comdat
	.protected	_ZN7rocprim17ROCPRIM_400000_NS6detail17trampoline_kernelINS0_14default_configENS1_25partition_config_selectorILNS1_17partition_subalgoE9EiibEEZZNS1_14partition_implILS5_9ELb0ES3_jPKiN6thrust23THRUST_200600_302600_NS17counting_iteratorIiNSB_11use_defaultESD_SD_EEPNS0_10empty_typeENS0_5tupleIJPiSF_EEENSH_IJSI_SG_EEENS0_18inequality_wrapperIN6hipcub16HIPCUB_304000_NS8EqualityEEEPlJSF_EEE10hipError_tPvRmT3_T4_T5_T6_T7_T9_mT8_P12ihipStream_tbDpT10_ENKUlT_T0_E_clISt17integral_constantIbLb0EES1A_EEDaS15_S16_EUlS15_E_NS1_11comp_targetILNS1_3genE3ELNS1_11target_archE908ELNS1_3gpuE7ELNS1_3repE0EEENS1_30default_config_static_selectorELNS0_4arch9wavefront6targetE0EEEvT1_ ; -- Begin function _ZN7rocprim17ROCPRIM_400000_NS6detail17trampoline_kernelINS0_14default_configENS1_25partition_config_selectorILNS1_17partition_subalgoE9EiibEEZZNS1_14partition_implILS5_9ELb0ES3_jPKiN6thrust23THRUST_200600_302600_NS17counting_iteratorIiNSB_11use_defaultESD_SD_EEPNS0_10empty_typeENS0_5tupleIJPiSF_EEENSH_IJSI_SG_EEENS0_18inequality_wrapperIN6hipcub16HIPCUB_304000_NS8EqualityEEEPlJSF_EEE10hipError_tPvRmT3_T4_T5_T6_T7_T9_mT8_P12ihipStream_tbDpT10_ENKUlT_T0_E_clISt17integral_constantIbLb0EES1A_EEDaS15_S16_EUlS15_E_NS1_11comp_targetILNS1_3genE3ELNS1_11target_archE908ELNS1_3gpuE7ELNS1_3repE0EEENS1_30default_config_static_selectorELNS0_4arch9wavefront6targetE0EEEvT1_
	.globl	_ZN7rocprim17ROCPRIM_400000_NS6detail17trampoline_kernelINS0_14default_configENS1_25partition_config_selectorILNS1_17partition_subalgoE9EiibEEZZNS1_14partition_implILS5_9ELb0ES3_jPKiN6thrust23THRUST_200600_302600_NS17counting_iteratorIiNSB_11use_defaultESD_SD_EEPNS0_10empty_typeENS0_5tupleIJPiSF_EEENSH_IJSI_SG_EEENS0_18inequality_wrapperIN6hipcub16HIPCUB_304000_NS8EqualityEEEPlJSF_EEE10hipError_tPvRmT3_T4_T5_T6_T7_T9_mT8_P12ihipStream_tbDpT10_ENKUlT_T0_E_clISt17integral_constantIbLb0EES1A_EEDaS15_S16_EUlS15_E_NS1_11comp_targetILNS1_3genE3ELNS1_11target_archE908ELNS1_3gpuE7ELNS1_3repE0EEENS1_30default_config_static_selectorELNS0_4arch9wavefront6targetE0EEEvT1_
	.p2align	8
	.type	_ZN7rocprim17ROCPRIM_400000_NS6detail17trampoline_kernelINS0_14default_configENS1_25partition_config_selectorILNS1_17partition_subalgoE9EiibEEZZNS1_14partition_implILS5_9ELb0ES3_jPKiN6thrust23THRUST_200600_302600_NS17counting_iteratorIiNSB_11use_defaultESD_SD_EEPNS0_10empty_typeENS0_5tupleIJPiSF_EEENSH_IJSI_SG_EEENS0_18inequality_wrapperIN6hipcub16HIPCUB_304000_NS8EqualityEEEPlJSF_EEE10hipError_tPvRmT3_T4_T5_T6_T7_T9_mT8_P12ihipStream_tbDpT10_ENKUlT_T0_E_clISt17integral_constantIbLb0EES1A_EEDaS15_S16_EUlS15_E_NS1_11comp_targetILNS1_3genE3ELNS1_11target_archE908ELNS1_3gpuE7ELNS1_3repE0EEENS1_30default_config_static_selectorELNS0_4arch9wavefront6targetE0EEEvT1_,@function
_ZN7rocprim17ROCPRIM_400000_NS6detail17trampoline_kernelINS0_14default_configENS1_25partition_config_selectorILNS1_17partition_subalgoE9EiibEEZZNS1_14partition_implILS5_9ELb0ES3_jPKiN6thrust23THRUST_200600_302600_NS17counting_iteratorIiNSB_11use_defaultESD_SD_EEPNS0_10empty_typeENS0_5tupleIJPiSF_EEENSH_IJSI_SG_EEENS0_18inequality_wrapperIN6hipcub16HIPCUB_304000_NS8EqualityEEEPlJSF_EEE10hipError_tPvRmT3_T4_T5_T6_T7_T9_mT8_P12ihipStream_tbDpT10_ENKUlT_T0_E_clISt17integral_constantIbLb0EES1A_EEDaS15_S16_EUlS15_E_NS1_11comp_targetILNS1_3genE3ELNS1_11target_archE908ELNS1_3gpuE7ELNS1_3repE0EEENS1_30default_config_static_selectorELNS0_4arch9wavefront6targetE0EEEvT1_: ; @_ZN7rocprim17ROCPRIM_400000_NS6detail17trampoline_kernelINS0_14default_configENS1_25partition_config_selectorILNS1_17partition_subalgoE9EiibEEZZNS1_14partition_implILS5_9ELb0ES3_jPKiN6thrust23THRUST_200600_302600_NS17counting_iteratorIiNSB_11use_defaultESD_SD_EEPNS0_10empty_typeENS0_5tupleIJPiSF_EEENSH_IJSI_SG_EEENS0_18inequality_wrapperIN6hipcub16HIPCUB_304000_NS8EqualityEEEPlJSF_EEE10hipError_tPvRmT3_T4_T5_T6_T7_T9_mT8_P12ihipStream_tbDpT10_ENKUlT_T0_E_clISt17integral_constantIbLb0EES1A_EEDaS15_S16_EUlS15_E_NS1_11comp_targetILNS1_3genE3ELNS1_11target_archE908ELNS1_3gpuE7ELNS1_3repE0EEENS1_30default_config_static_selectorELNS0_4arch9wavefront6targetE0EEEvT1_
; %bb.0:
	.section	.rodata,"a",@progbits
	.p2align	6, 0x0
	.amdhsa_kernel _ZN7rocprim17ROCPRIM_400000_NS6detail17trampoline_kernelINS0_14default_configENS1_25partition_config_selectorILNS1_17partition_subalgoE9EiibEEZZNS1_14partition_implILS5_9ELb0ES3_jPKiN6thrust23THRUST_200600_302600_NS17counting_iteratorIiNSB_11use_defaultESD_SD_EEPNS0_10empty_typeENS0_5tupleIJPiSF_EEENSH_IJSI_SG_EEENS0_18inequality_wrapperIN6hipcub16HIPCUB_304000_NS8EqualityEEEPlJSF_EEE10hipError_tPvRmT3_T4_T5_T6_T7_T9_mT8_P12ihipStream_tbDpT10_ENKUlT_T0_E_clISt17integral_constantIbLb0EES1A_EEDaS15_S16_EUlS15_E_NS1_11comp_targetILNS1_3genE3ELNS1_11target_archE908ELNS1_3gpuE7ELNS1_3repE0EEENS1_30default_config_static_selectorELNS0_4arch9wavefront6targetE0EEEvT1_
		.amdhsa_group_segment_fixed_size 0
		.amdhsa_private_segment_fixed_size 0
		.amdhsa_kernarg_size 112
		.amdhsa_user_sgpr_count 2
		.amdhsa_user_sgpr_dispatch_ptr 0
		.amdhsa_user_sgpr_queue_ptr 0
		.amdhsa_user_sgpr_kernarg_segment_ptr 1
		.amdhsa_user_sgpr_dispatch_id 0
		.amdhsa_user_sgpr_private_segment_size 0
		.amdhsa_wavefront_size32 1
		.amdhsa_uses_dynamic_stack 0
		.amdhsa_enable_private_segment 0
		.amdhsa_system_sgpr_workgroup_id_x 1
		.amdhsa_system_sgpr_workgroup_id_y 0
		.amdhsa_system_sgpr_workgroup_id_z 0
		.amdhsa_system_sgpr_workgroup_info 0
		.amdhsa_system_vgpr_workitem_id 0
		.amdhsa_next_free_vgpr 1
		.amdhsa_next_free_sgpr 1
		.amdhsa_reserve_vcc 0
		.amdhsa_float_round_mode_32 0
		.amdhsa_float_round_mode_16_64 0
		.amdhsa_float_denorm_mode_32 3
		.amdhsa_float_denorm_mode_16_64 3
		.amdhsa_fp16_overflow 0
		.amdhsa_workgroup_processor_mode 1
		.amdhsa_memory_ordered 1
		.amdhsa_forward_progress 1
		.amdhsa_inst_pref_size 0
		.amdhsa_round_robin_scheduling 0
		.amdhsa_exception_fp_ieee_invalid_op 0
		.amdhsa_exception_fp_denorm_src 0
		.amdhsa_exception_fp_ieee_div_zero 0
		.amdhsa_exception_fp_ieee_overflow 0
		.amdhsa_exception_fp_ieee_underflow 0
		.amdhsa_exception_fp_ieee_inexact 0
		.amdhsa_exception_int_div_zero 0
	.end_amdhsa_kernel
	.section	.text._ZN7rocprim17ROCPRIM_400000_NS6detail17trampoline_kernelINS0_14default_configENS1_25partition_config_selectorILNS1_17partition_subalgoE9EiibEEZZNS1_14partition_implILS5_9ELb0ES3_jPKiN6thrust23THRUST_200600_302600_NS17counting_iteratorIiNSB_11use_defaultESD_SD_EEPNS0_10empty_typeENS0_5tupleIJPiSF_EEENSH_IJSI_SG_EEENS0_18inequality_wrapperIN6hipcub16HIPCUB_304000_NS8EqualityEEEPlJSF_EEE10hipError_tPvRmT3_T4_T5_T6_T7_T9_mT8_P12ihipStream_tbDpT10_ENKUlT_T0_E_clISt17integral_constantIbLb0EES1A_EEDaS15_S16_EUlS15_E_NS1_11comp_targetILNS1_3genE3ELNS1_11target_archE908ELNS1_3gpuE7ELNS1_3repE0EEENS1_30default_config_static_selectorELNS0_4arch9wavefront6targetE0EEEvT1_,"axG",@progbits,_ZN7rocprim17ROCPRIM_400000_NS6detail17trampoline_kernelINS0_14default_configENS1_25partition_config_selectorILNS1_17partition_subalgoE9EiibEEZZNS1_14partition_implILS5_9ELb0ES3_jPKiN6thrust23THRUST_200600_302600_NS17counting_iteratorIiNSB_11use_defaultESD_SD_EEPNS0_10empty_typeENS0_5tupleIJPiSF_EEENSH_IJSI_SG_EEENS0_18inequality_wrapperIN6hipcub16HIPCUB_304000_NS8EqualityEEEPlJSF_EEE10hipError_tPvRmT3_T4_T5_T6_T7_T9_mT8_P12ihipStream_tbDpT10_ENKUlT_T0_E_clISt17integral_constantIbLb0EES1A_EEDaS15_S16_EUlS15_E_NS1_11comp_targetILNS1_3genE3ELNS1_11target_archE908ELNS1_3gpuE7ELNS1_3repE0EEENS1_30default_config_static_selectorELNS0_4arch9wavefront6targetE0EEEvT1_,comdat
.Lfunc_end4:
	.size	_ZN7rocprim17ROCPRIM_400000_NS6detail17trampoline_kernelINS0_14default_configENS1_25partition_config_selectorILNS1_17partition_subalgoE9EiibEEZZNS1_14partition_implILS5_9ELb0ES3_jPKiN6thrust23THRUST_200600_302600_NS17counting_iteratorIiNSB_11use_defaultESD_SD_EEPNS0_10empty_typeENS0_5tupleIJPiSF_EEENSH_IJSI_SG_EEENS0_18inequality_wrapperIN6hipcub16HIPCUB_304000_NS8EqualityEEEPlJSF_EEE10hipError_tPvRmT3_T4_T5_T6_T7_T9_mT8_P12ihipStream_tbDpT10_ENKUlT_T0_E_clISt17integral_constantIbLb0EES1A_EEDaS15_S16_EUlS15_E_NS1_11comp_targetILNS1_3genE3ELNS1_11target_archE908ELNS1_3gpuE7ELNS1_3repE0EEENS1_30default_config_static_selectorELNS0_4arch9wavefront6targetE0EEEvT1_, .Lfunc_end4-_ZN7rocprim17ROCPRIM_400000_NS6detail17trampoline_kernelINS0_14default_configENS1_25partition_config_selectorILNS1_17partition_subalgoE9EiibEEZZNS1_14partition_implILS5_9ELb0ES3_jPKiN6thrust23THRUST_200600_302600_NS17counting_iteratorIiNSB_11use_defaultESD_SD_EEPNS0_10empty_typeENS0_5tupleIJPiSF_EEENSH_IJSI_SG_EEENS0_18inequality_wrapperIN6hipcub16HIPCUB_304000_NS8EqualityEEEPlJSF_EEE10hipError_tPvRmT3_T4_T5_T6_T7_T9_mT8_P12ihipStream_tbDpT10_ENKUlT_T0_E_clISt17integral_constantIbLb0EES1A_EEDaS15_S16_EUlS15_E_NS1_11comp_targetILNS1_3genE3ELNS1_11target_archE908ELNS1_3gpuE7ELNS1_3repE0EEENS1_30default_config_static_selectorELNS0_4arch9wavefront6targetE0EEEvT1_
                                        ; -- End function
	.set _ZN7rocprim17ROCPRIM_400000_NS6detail17trampoline_kernelINS0_14default_configENS1_25partition_config_selectorILNS1_17partition_subalgoE9EiibEEZZNS1_14partition_implILS5_9ELb0ES3_jPKiN6thrust23THRUST_200600_302600_NS17counting_iteratorIiNSB_11use_defaultESD_SD_EEPNS0_10empty_typeENS0_5tupleIJPiSF_EEENSH_IJSI_SG_EEENS0_18inequality_wrapperIN6hipcub16HIPCUB_304000_NS8EqualityEEEPlJSF_EEE10hipError_tPvRmT3_T4_T5_T6_T7_T9_mT8_P12ihipStream_tbDpT10_ENKUlT_T0_E_clISt17integral_constantIbLb0EES1A_EEDaS15_S16_EUlS15_E_NS1_11comp_targetILNS1_3genE3ELNS1_11target_archE908ELNS1_3gpuE7ELNS1_3repE0EEENS1_30default_config_static_selectorELNS0_4arch9wavefront6targetE0EEEvT1_.num_vgpr, 0
	.set _ZN7rocprim17ROCPRIM_400000_NS6detail17trampoline_kernelINS0_14default_configENS1_25partition_config_selectorILNS1_17partition_subalgoE9EiibEEZZNS1_14partition_implILS5_9ELb0ES3_jPKiN6thrust23THRUST_200600_302600_NS17counting_iteratorIiNSB_11use_defaultESD_SD_EEPNS0_10empty_typeENS0_5tupleIJPiSF_EEENSH_IJSI_SG_EEENS0_18inequality_wrapperIN6hipcub16HIPCUB_304000_NS8EqualityEEEPlJSF_EEE10hipError_tPvRmT3_T4_T5_T6_T7_T9_mT8_P12ihipStream_tbDpT10_ENKUlT_T0_E_clISt17integral_constantIbLb0EES1A_EEDaS15_S16_EUlS15_E_NS1_11comp_targetILNS1_3genE3ELNS1_11target_archE908ELNS1_3gpuE7ELNS1_3repE0EEENS1_30default_config_static_selectorELNS0_4arch9wavefront6targetE0EEEvT1_.num_agpr, 0
	.set _ZN7rocprim17ROCPRIM_400000_NS6detail17trampoline_kernelINS0_14default_configENS1_25partition_config_selectorILNS1_17partition_subalgoE9EiibEEZZNS1_14partition_implILS5_9ELb0ES3_jPKiN6thrust23THRUST_200600_302600_NS17counting_iteratorIiNSB_11use_defaultESD_SD_EEPNS0_10empty_typeENS0_5tupleIJPiSF_EEENSH_IJSI_SG_EEENS0_18inequality_wrapperIN6hipcub16HIPCUB_304000_NS8EqualityEEEPlJSF_EEE10hipError_tPvRmT3_T4_T5_T6_T7_T9_mT8_P12ihipStream_tbDpT10_ENKUlT_T0_E_clISt17integral_constantIbLb0EES1A_EEDaS15_S16_EUlS15_E_NS1_11comp_targetILNS1_3genE3ELNS1_11target_archE908ELNS1_3gpuE7ELNS1_3repE0EEENS1_30default_config_static_selectorELNS0_4arch9wavefront6targetE0EEEvT1_.numbered_sgpr, 0
	.set _ZN7rocprim17ROCPRIM_400000_NS6detail17trampoline_kernelINS0_14default_configENS1_25partition_config_selectorILNS1_17partition_subalgoE9EiibEEZZNS1_14partition_implILS5_9ELb0ES3_jPKiN6thrust23THRUST_200600_302600_NS17counting_iteratorIiNSB_11use_defaultESD_SD_EEPNS0_10empty_typeENS0_5tupleIJPiSF_EEENSH_IJSI_SG_EEENS0_18inequality_wrapperIN6hipcub16HIPCUB_304000_NS8EqualityEEEPlJSF_EEE10hipError_tPvRmT3_T4_T5_T6_T7_T9_mT8_P12ihipStream_tbDpT10_ENKUlT_T0_E_clISt17integral_constantIbLb0EES1A_EEDaS15_S16_EUlS15_E_NS1_11comp_targetILNS1_3genE3ELNS1_11target_archE908ELNS1_3gpuE7ELNS1_3repE0EEENS1_30default_config_static_selectorELNS0_4arch9wavefront6targetE0EEEvT1_.num_named_barrier, 0
	.set _ZN7rocprim17ROCPRIM_400000_NS6detail17trampoline_kernelINS0_14default_configENS1_25partition_config_selectorILNS1_17partition_subalgoE9EiibEEZZNS1_14partition_implILS5_9ELb0ES3_jPKiN6thrust23THRUST_200600_302600_NS17counting_iteratorIiNSB_11use_defaultESD_SD_EEPNS0_10empty_typeENS0_5tupleIJPiSF_EEENSH_IJSI_SG_EEENS0_18inequality_wrapperIN6hipcub16HIPCUB_304000_NS8EqualityEEEPlJSF_EEE10hipError_tPvRmT3_T4_T5_T6_T7_T9_mT8_P12ihipStream_tbDpT10_ENKUlT_T0_E_clISt17integral_constantIbLb0EES1A_EEDaS15_S16_EUlS15_E_NS1_11comp_targetILNS1_3genE3ELNS1_11target_archE908ELNS1_3gpuE7ELNS1_3repE0EEENS1_30default_config_static_selectorELNS0_4arch9wavefront6targetE0EEEvT1_.private_seg_size, 0
	.set _ZN7rocprim17ROCPRIM_400000_NS6detail17trampoline_kernelINS0_14default_configENS1_25partition_config_selectorILNS1_17partition_subalgoE9EiibEEZZNS1_14partition_implILS5_9ELb0ES3_jPKiN6thrust23THRUST_200600_302600_NS17counting_iteratorIiNSB_11use_defaultESD_SD_EEPNS0_10empty_typeENS0_5tupleIJPiSF_EEENSH_IJSI_SG_EEENS0_18inequality_wrapperIN6hipcub16HIPCUB_304000_NS8EqualityEEEPlJSF_EEE10hipError_tPvRmT3_T4_T5_T6_T7_T9_mT8_P12ihipStream_tbDpT10_ENKUlT_T0_E_clISt17integral_constantIbLb0EES1A_EEDaS15_S16_EUlS15_E_NS1_11comp_targetILNS1_3genE3ELNS1_11target_archE908ELNS1_3gpuE7ELNS1_3repE0EEENS1_30default_config_static_selectorELNS0_4arch9wavefront6targetE0EEEvT1_.uses_vcc, 0
	.set _ZN7rocprim17ROCPRIM_400000_NS6detail17trampoline_kernelINS0_14default_configENS1_25partition_config_selectorILNS1_17partition_subalgoE9EiibEEZZNS1_14partition_implILS5_9ELb0ES3_jPKiN6thrust23THRUST_200600_302600_NS17counting_iteratorIiNSB_11use_defaultESD_SD_EEPNS0_10empty_typeENS0_5tupleIJPiSF_EEENSH_IJSI_SG_EEENS0_18inequality_wrapperIN6hipcub16HIPCUB_304000_NS8EqualityEEEPlJSF_EEE10hipError_tPvRmT3_T4_T5_T6_T7_T9_mT8_P12ihipStream_tbDpT10_ENKUlT_T0_E_clISt17integral_constantIbLb0EES1A_EEDaS15_S16_EUlS15_E_NS1_11comp_targetILNS1_3genE3ELNS1_11target_archE908ELNS1_3gpuE7ELNS1_3repE0EEENS1_30default_config_static_selectorELNS0_4arch9wavefront6targetE0EEEvT1_.uses_flat_scratch, 0
	.set _ZN7rocprim17ROCPRIM_400000_NS6detail17trampoline_kernelINS0_14default_configENS1_25partition_config_selectorILNS1_17partition_subalgoE9EiibEEZZNS1_14partition_implILS5_9ELb0ES3_jPKiN6thrust23THRUST_200600_302600_NS17counting_iteratorIiNSB_11use_defaultESD_SD_EEPNS0_10empty_typeENS0_5tupleIJPiSF_EEENSH_IJSI_SG_EEENS0_18inequality_wrapperIN6hipcub16HIPCUB_304000_NS8EqualityEEEPlJSF_EEE10hipError_tPvRmT3_T4_T5_T6_T7_T9_mT8_P12ihipStream_tbDpT10_ENKUlT_T0_E_clISt17integral_constantIbLb0EES1A_EEDaS15_S16_EUlS15_E_NS1_11comp_targetILNS1_3genE3ELNS1_11target_archE908ELNS1_3gpuE7ELNS1_3repE0EEENS1_30default_config_static_selectorELNS0_4arch9wavefront6targetE0EEEvT1_.has_dyn_sized_stack, 0
	.set _ZN7rocprim17ROCPRIM_400000_NS6detail17trampoline_kernelINS0_14default_configENS1_25partition_config_selectorILNS1_17partition_subalgoE9EiibEEZZNS1_14partition_implILS5_9ELb0ES3_jPKiN6thrust23THRUST_200600_302600_NS17counting_iteratorIiNSB_11use_defaultESD_SD_EEPNS0_10empty_typeENS0_5tupleIJPiSF_EEENSH_IJSI_SG_EEENS0_18inequality_wrapperIN6hipcub16HIPCUB_304000_NS8EqualityEEEPlJSF_EEE10hipError_tPvRmT3_T4_T5_T6_T7_T9_mT8_P12ihipStream_tbDpT10_ENKUlT_T0_E_clISt17integral_constantIbLb0EES1A_EEDaS15_S16_EUlS15_E_NS1_11comp_targetILNS1_3genE3ELNS1_11target_archE908ELNS1_3gpuE7ELNS1_3repE0EEENS1_30default_config_static_selectorELNS0_4arch9wavefront6targetE0EEEvT1_.has_recursion, 0
	.set _ZN7rocprim17ROCPRIM_400000_NS6detail17trampoline_kernelINS0_14default_configENS1_25partition_config_selectorILNS1_17partition_subalgoE9EiibEEZZNS1_14partition_implILS5_9ELb0ES3_jPKiN6thrust23THRUST_200600_302600_NS17counting_iteratorIiNSB_11use_defaultESD_SD_EEPNS0_10empty_typeENS0_5tupleIJPiSF_EEENSH_IJSI_SG_EEENS0_18inequality_wrapperIN6hipcub16HIPCUB_304000_NS8EqualityEEEPlJSF_EEE10hipError_tPvRmT3_T4_T5_T6_T7_T9_mT8_P12ihipStream_tbDpT10_ENKUlT_T0_E_clISt17integral_constantIbLb0EES1A_EEDaS15_S16_EUlS15_E_NS1_11comp_targetILNS1_3genE3ELNS1_11target_archE908ELNS1_3gpuE7ELNS1_3repE0EEENS1_30default_config_static_selectorELNS0_4arch9wavefront6targetE0EEEvT1_.has_indirect_call, 0
	.section	.AMDGPU.csdata,"",@progbits
; Kernel info:
; codeLenInByte = 0
; TotalNumSgprs: 0
; NumVgprs: 0
; ScratchSize: 0
; MemoryBound: 0
; FloatMode: 240
; IeeeMode: 1
; LDSByteSize: 0 bytes/workgroup (compile time only)
; SGPRBlocks: 0
; VGPRBlocks: 0
; NumSGPRsForWavesPerEU: 1
; NumVGPRsForWavesPerEU: 1
; Occupancy: 16
; WaveLimiterHint : 0
; COMPUTE_PGM_RSRC2:SCRATCH_EN: 0
; COMPUTE_PGM_RSRC2:USER_SGPR: 2
; COMPUTE_PGM_RSRC2:TRAP_HANDLER: 0
; COMPUTE_PGM_RSRC2:TGID_X_EN: 1
; COMPUTE_PGM_RSRC2:TGID_Y_EN: 0
; COMPUTE_PGM_RSRC2:TGID_Z_EN: 0
; COMPUTE_PGM_RSRC2:TIDIG_COMP_CNT: 0
	.section	.text._ZN7rocprim17ROCPRIM_400000_NS6detail17trampoline_kernelINS0_14default_configENS1_25partition_config_selectorILNS1_17partition_subalgoE9EiibEEZZNS1_14partition_implILS5_9ELb0ES3_jPKiN6thrust23THRUST_200600_302600_NS17counting_iteratorIiNSB_11use_defaultESD_SD_EEPNS0_10empty_typeENS0_5tupleIJPiSF_EEENSH_IJSI_SG_EEENS0_18inequality_wrapperIN6hipcub16HIPCUB_304000_NS8EqualityEEEPlJSF_EEE10hipError_tPvRmT3_T4_T5_T6_T7_T9_mT8_P12ihipStream_tbDpT10_ENKUlT_T0_E_clISt17integral_constantIbLb0EES1A_EEDaS15_S16_EUlS15_E_NS1_11comp_targetILNS1_3genE2ELNS1_11target_archE906ELNS1_3gpuE6ELNS1_3repE0EEENS1_30default_config_static_selectorELNS0_4arch9wavefront6targetE0EEEvT1_,"axG",@progbits,_ZN7rocprim17ROCPRIM_400000_NS6detail17trampoline_kernelINS0_14default_configENS1_25partition_config_selectorILNS1_17partition_subalgoE9EiibEEZZNS1_14partition_implILS5_9ELb0ES3_jPKiN6thrust23THRUST_200600_302600_NS17counting_iteratorIiNSB_11use_defaultESD_SD_EEPNS0_10empty_typeENS0_5tupleIJPiSF_EEENSH_IJSI_SG_EEENS0_18inequality_wrapperIN6hipcub16HIPCUB_304000_NS8EqualityEEEPlJSF_EEE10hipError_tPvRmT3_T4_T5_T6_T7_T9_mT8_P12ihipStream_tbDpT10_ENKUlT_T0_E_clISt17integral_constantIbLb0EES1A_EEDaS15_S16_EUlS15_E_NS1_11comp_targetILNS1_3genE2ELNS1_11target_archE906ELNS1_3gpuE6ELNS1_3repE0EEENS1_30default_config_static_selectorELNS0_4arch9wavefront6targetE0EEEvT1_,comdat
	.protected	_ZN7rocprim17ROCPRIM_400000_NS6detail17trampoline_kernelINS0_14default_configENS1_25partition_config_selectorILNS1_17partition_subalgoE9EiibEEZZNS1_14partition_implILS5_9ELb0ES3_jPKiN6thrust23THRUST_200600_302600_NS17counting_iteratorIiNSB_11use_defaultESD_SD_EEPNS0_10empty_typeENS0_5tupleIJPiSF_EEENSH_IJSI_SG_EEENS0_18inequality_wrapperIN6hipcub16HIPCUB_304000_NS8EqualityEEEPlJSF_EEE10hipError_tPvRmT3_T4_T5_T6_T7_T9_mT8_P12ihipStream_tbDpT10_ENKUlT_T0_E_clISt17integral_constantIbLb0EES1A_EEDaS15_S16_EUlS15_E_NS1_11comp_targetILNS1_3genE2ELNS1_11target_archE906ELNS1_3gpuE6ELNS1_3repE0EEENS1_30default_config_static_selectorELNS0_4arch9wavefront6targetE0EEEvT1_ ; -- Begin function _ZN7rocprim17ROCPRIM_400000_NS6detail17trampoline_kernelINS0_14default_configENS1_25partition_config_selectorILNS1_17partition_subalgoE9EiibEEZZNS1_14partition_implILS5_9ELb0ES3_jPKiN6thrust23THRUST_200600_302600_NS17counting_iteratorIiNSB_11use_defaultESD_SD_EEPNS0_10empty_typeENS0_5tupleIJPiSF_EEENSH_IJSI_SG_EEENS0_18inequality_wrapperIN6hipcub16HIPCUB_304000_NS8EqualityEEEPlJSF_EEE10hipError_tPvRmT3_T4_T5_T6_T7_T9_mT8_P12ihipStream_tbDpT10_ENKUlT_T0_E_clISt17integral_constantIbLb0EES1A_EEDaS15_S16_EUlS15_E_NS1_11comp_targetILNS1_3genE2ELNS1_11target_archE906ELNS1_3gpuE6ELNS1_3repE0EEENS1_30default_config_static_selectorELNS0_4arch9wavefront6targetE0EEEvT1_
	.globl	_ZN7rocprim17ROCPRIM_400000_NS6detail17trampoline_kernelINS0_14default_configENS1_25partition_config_selectorILNS1_17partition_subalgoE9EiibEEZZNS1_14partition_implILS5_9ELb0ES3_jPKiN6thrust23THRUST_200600_302600_NS17counting_iteratorIiNSB_11use_defaultESD_SD_EEPNS0_10empty_typeENS0_5tupleIJPiSF_EEENSH_IJSI_SG_EEENS0_18inequality_wrapperIN6hipcub16HIPCUB_304000_NS8EqualityEEEPlJSF_EEE10hipError_tPvRmT3_T4_T5_T6_T7_T9_mT8_P12ihipStream_tbDpT10_ENKUlT_T0_E_clISt17integral_constantIbLb0EES1A_EEDaS15_S16_EUlS15_E_NS1_11comp_targetILNS1_3genE2ELNS1_11target_archE906ELNS1_3gpuE6ELNS1_3repE0EEENS1_30default_config_static_selectorELNS0_4arch9wavefront6targetE0EEEvT1_
	.p2align	8
	.type	_ZN7rocprim17ROCPRIM_400000_NS6detail17trampoline_kernelINS0_14default_configENS1_25partition_config_selectorILNS1_17partition_subalgoE9EiibEEZZNS1_14partition_implILS5_9ELb0ES3_jPKiN6thrust23THRUST_200600_302600_NS17counting_iteratorIiNSB_11use_defaultESD_SD_EEPNS0_10empty_typeENS0_5tupleIJPiSF_EEENSH_IJSI_SG_EEENS0_18inequality_wrapperIN6hipcub16HIPCUB_304000_NS8EqualityEEEPlJSF_EEE10hipError_tPvRmT3_T4_T5_T6_T7_T9_mT8_P12ihipStream_tbDpT10_ENKUlT_T0_E_clISt17integral_constantIbLb0EES1A_EEDaS15_S16_EUlS15_E_NS1_11comp_targetILNS1_3genE2ELNS1_11target_archE906ELNS1_3gpuE6ELNS1_3repE0EEENS1_30default_config_static_selectorELNS0_4arch9wavefront6targetE0EEEvT1_,@function
_ZN7rocprim17ROCPRIM_400000_NS6detail17trampoline_kernelINS0_14default_configENS1_25partition_config_selectorILNS1_17partition_subalgoE9EiibEEZZNS1_14partition_implILS5_9ELb0ES3_jPKiN6thrust23THRUST_200600_302600_NS17counting_iteratorIiNSB_11use_defaultESD_SD_EEPNS0_10empty_typeENS0_5tupleIJPiSF_EEENSH_IJSI_SG_EEENS0_18inequality_wrapperIN6hipcub16HIPCUB_304000_NS8EqualityEEEPlJSF_EEE10hipError_tPvRmT3_T4_T5_T6_T7_T9_mT8_P12ihipStream_tbDpT10_ENKUlT_T0_E_clISt17integral_constantIbLb0EES1A_EEDaS15_S16_EUlS15_E_NS1_11comp_targetILNS1_3genE2ELNS1_11target_archE906ELNS1_3gpuE6ELNS1_3repE0EEENS1_30default_config_static_selectorELNS0_4arch9wavefront6targetE0EEEvT1_: ; @_ZN7rocprim17ROCPRIM_400000_NS6detail17trampoline_kernelINS0_14default_configENS1_25partition_config_selectorILNS1_17partition_subalgoE9EiibEEZZNS1_14partition_implILS5_9ELb0ES3_jPKiN6thrust23THRUST_200600_302600_NS17counting_iteratorIiNSB_11use_defaultESD_SD_EEPNS0_10empty_typeENS0_5tupleIJPiSF_EEENSH_IJSI_SG_EEENS0_18inequality_wrapperIN6hipcub16HIPCUB_304000_NS8EqualityEEEPlJSF_EEE10hipError_tPvRmT3_T4_T5_T6_T7_T9_mT8_P12ihipStream_tbDpT10_ENKUlT_T0_E_clISt17integral_constantIbLb0EES1A_EEDaS15_S16_EUlS15_E_NS1_11comp_targetILNS1_3genE2ELNS1_11target_archE906ELNS1_3gpuE6ELNS1_3repE0EEENS1_30default_config_static_selectorELNS0_4arch9wavefront6targetE0EEEvT1_
; %bb.0:
	.section	.rodata,"a",@progbits
	.p2align	6, 0x0
	.amdhsa_kernel _ZN7rocprim17ROCPRIM_400000_NS6detail17trampoline_kernelINS0_14default_configENS1_25partition_config_selectorILNS1_17partition_subalgoE9EiibEEZZNS1_14partition_implILS5_9ELb0ES3_jPKiN6thrust23THRUST_200600_302600_NS17counting_iteratorIiNSB_11use_defaultESD_SD_EEPNS0_10empty_typeENS0_5tupleIJPiSF_EEENSH_IJSI_SG_EEENS0_18inequality_wrapperIN6hipcub16HIPCUB_304000_NS8EqualityEEEPlJSF_EEE10hipError_tPvRmT3_T4_T5_T6_T7_T9_mT8_P12ihipStream_tbDpT10_ENKUlT_T0_E_clISt17integral_constantIbLb0EES1A_EEDaS15_S16_EUlS15_E_NS1_11comp_targetILNS1_3genE2ELNS1_11target_archE906ELNS1_3gpuE6ELNS1_3repE0EEENS1_30default_config_static_selectorELNS0_4arch9wavefront6targetE0EEEvT1_
		.amdhsa_group_segment_fixed_size 0
		.amdhsa_private_segment_fixed_size 0
		.amdhsa_kernarg_size 112
		.amdhsa_user_sgpr_count 2
		.amdhsa_user_sgpr_dispatch_ptr 0
		.amdhsa_user_sgpr_queue_ptr 0
		.amdhsa_user_sgpr_kernarg_segment_ptr 1
		.amdhsa_user_sgpr_dispatch_id 0
		.amdhsa_user_sgpr_private_segment_size 0
		.amdhsa_wavefront_size32 1
		.amdhsa_uses_dynamic_stack 0
		.amdhsa_enable_private_segment 0
		.amdhsa_system_sgpr_workgroup_id_x 1
		.amdhsa_system_sgpr_workgroup_id_y 0
		.amdhsa_system_sgpr_workgroup_id_z 0
		.amdhsa_system_sgpr_workgroup_info 0
		.amdhsa_system_vgpr_workitem_id 0
		.amdhsa_next_free_vgpr 1
		.amdhsa_next_free_sgpr 1
		.amdhsa_reserve_vcc 0
		.amdhsa_float_round_mode_32 0
		.amdhsa_float_round_mode_16_64 0
		.amdhsa_float_denorm_mode_32 3
		.amdhsa_float_denorm_mode_16_64 3
		.amdhsa_fp16_overflow 0
		.amdhsa_workgroup_processor_mode 1
		.amdhsa_memory_ordered 1
		.amdhsa_forward_progress 1
		.amdhsa_inst_pref_size 0
		.amdhsa_round_robin_scheduling 0
		.amdhsa_exception_fp_ieee_invalid_op 0
		.amdhsa_exception_fp_denorm_src 0
		.amdhsa_exception_fp_ieee_div_zero 0
		.amdhsa_exception_fp_ieee_overflow 0
		.amdhsa_exception_fp_ieee_underflow 0
		.amdhsa_exception_fp_ieee_inexact 0
		.amdhsa_exception_int_div_zero 0
	.end_amdhsa_kernel
	.section	.text._ZN7rocprim17ROCPRIM_400000_NS6detail17trampoline_kernelINS0_14default_configENS1_25partition_config_selectorILNS1_17partition_subalgoE9EiibEEZZNS1_14partition_implILS5_9ELb0ES3_jPKiN6thrust23THRUST_200600_302600_NS17counting_iteratorIiNSB_11use_defaultESD_SD_EEPNS0_10empty_typeENS0_5tupleIJPiSF_EEENSH_IJSI_SG_EEENS0_18inequality_wrapperIN6hipcub16HIPCUB_304000_NS8EqualityEEEPlJSF_EEE10hipError_tPvRmT3_T4_T5_T6_T7_T9_mT8_P12ihipStream_tbDpT10_ENKUlT_T0_E_clISt17integral_constantIbLb0EES1A_EEDaS15_S16_EUlS15_E_NS1_11comp_targetILNS1_3genE2ELNS1_11target_archE906ELNS1_3gpuE6ELNS1_3repE0EEENS1_30default_config_static_selectorELNS0_4arch9wavefront6targetE0EEEvT1_,"axG",@progbits,_ZN7rocprim17ROCPRIM_400000_NS6detail17trampoline_kernelINS0_14default_configENS1_25partition_config_selectorILNS1_17partition_subalgoE9EiibEEZZNS1_14partition_implILS5_9ELb0ES3_jPKiN6thrust23THRUST_200600_302600_NS17counting_iteratorIiNSB_11use_defaultESD_SD_EEPNS0_10empty_typeENS0_5tupleIJPiSF_EEENSH_IJSI_SG_EEENS0_18inequality_wrapperIN6hipcub16HIPCUB_304000_NS8EqualityEEEPlJSF_EEE10hipError_tPvRmT3_T4_T5_T6_T7_T9_mT8_P12ihipStream_tbDpT10_ENKUlT_T0_E_clISt17integral_constantIbLb0EES1A_EEDaS15_S16_EUlS15_E_NS1_11comp_targetILNS1_3genE2ELNS1_11target_archE906ELNS1_3gpuE6ELNS1_3repE0EEENS1_30default_config_static_selectorELNS0_4arch9wavefront6targetE0EEEvT1_,comdat
.Lfunc_end5:
	.size	_ZN7rocprim17ROCPRIM_400000_NS6detail17trampoline_kernelINS0_14default_configENS1_25partition_config_selectorILNS1_17partition_subalgoE9EiibEEZZNS1_14partition_implILS5_9ELb0ES3_jPKiN6thrust23THRUST_200600_302600_NS17counting_iteratorIiNSB_11use_defaultESD_SD_EEPNS0_10empty_typeENS0_5tupleIJPiSF_EEENSH_IJSI_SG_EEENS0_18inequality_wrapperIN6hipcub16HIPCUB_304000_NS8EqualityEEEPlJSF_EEE10hipError_tPvRmT3_T4_T5_T6_T7_T9_mT8_P12ihipStream_tbDpT10_ENKUlT_T0_E_clISt17integral_constantIbLb0EES1A_EEDaS15_S16_EUlS15_E_NS1_11comp_targetILNS1_3genE2ELNS1_11target_archE906ELNS1_3gpuE6ELNS1_3repE0EEENS1_30default_config_static_selectorELNS0_4arch9wavefront6targetE0EEEvT1_, .Lfunc_end5-_ZN7rocprim17ROCPRIM_400000_NS6detail17trampoline_kernelINS0_14default_configENS1_25partition_config_selectorILNS1_17partition_subalgoE9EiibEEZZNS1_14partition_implILS5_9ELb0ES3_jPKiN6thrust23THRUST_200600_302600_NS17counting_iteratorIiNSB_11use_defaultESD_SD_EEPNS0_10empty_typeENS0_5tupleIJPiSF_EEENSH_IJSI_SG_EEENS0_18inequality_wrapperIN6hipcub16HIPCUB_304000_NS8EqualityEEEPlJSF_EEE10hipError_tPvRmT3_T4_T5_T6_T7_T9_mT8_P12ihipStream_tbDpT10_ENKUlT_T0_E_clISt17integral_constantIbLb0EES1A_EEDaS15_S16_EUlS15_E_NS1_11comp_targetILNS1_3genE2ELNS1_11target_archE906ELNS1_3gpuE6ELNS1_3repE0EEENS1_30default_config_static_selectorELNS0_4arch9wavefront6targetE0EEEvT1_
                                        ; -- End function
	.set _ZN7rocprim17ROCPRIM_400000_NS6detail17trampoline_kernelINS0_14default_configENS1_25partition_config_selectorILNS1_17partition_subalgoE9EiibEEZZNS1_14partition_implILS5_9ELb0ES3_jPKiN6thrust23THRUST_200600_302600_NS17counting_iteratorIiNSB_11use_defaultESD_SD_EEPNS0_10empty_typeENS0_5tupleIJPiSF_EEENSH_IJSI_SG_EEENS0_18inequality_wrapperIN6hipcub16HIPCUB_304000_NS8EqualityEEEPlJSF_EEE10hipError_tPvRmT3_T4_T5_T6_T7_T9_mT8_P12ihipStream_tbDpT10_ENKUlT_T0_E_clISt17integral_constantIbLb0EES1A_EEDaS15_S16_EUlS15_E_NS1_11comp_targetILNS1_3genE2ELNS1_11target_archE906ELNS1_3gpuE6ELNS1_3repE0EEENS1_30default_config_static_selectorELNS0_4arch9wavefront6targetE0EEEvT1_.num_vgpr, 0
	.set _ZN7rocprim17ROCPRIM_400000_NS6detail17trampoline_kernelINS0_14default_configENS1_25partition_config_selectorILNS1_17partition_subalgoE9EiibEEZZNS1_14partition_implILS5_9ELb0ES3_jPKiN6thrust23THRUST_200600_302600_NS17counting_iteratorIiNSB_11use_defaultESD_SD_EEPNS0_10empty_typeENS0_5tupleIJPiSF_EEENSH_IJSI_SG_EEENS0_18inequality_wrapperIN6hipcub16HIPCUB_304000_NS8EqualityEEEPlJSF_EEE10hipError_tPvRmT3_T4_T5_T6_T7_T9_mT8_P12ihipStream_tbDpT10_ENKUlT_T0_E_clISt17integral_constantIbLb0EES1A_EEDaS15_S16_EUlS15_E_NS1_11comp_targetILNS1_3genE2ELNS1_11target_archE906ELNS1_3gpuE6ELNS1_3repE0EEENS1_30default_config_static_selectorELNS0_4arch9wavefront6targetE0EEEvT1_.num_agpr, 0
	.set _ZN7rocprim17ROCPRIM_400000_NS6detail17trampoline_kernelINS0_14default_configENS1_25partition_config_selectorILNS1_17partition_subalgoE9EiibEEZZNS1_14partition_implILS5_9ELb0ES3_jPKiN6thrust23THRUST_200600_302600_NS17counting_iteratorIiNSB_11use_defaultESD_SD_EEPNS0_10empty_typeENS0_5tupleIJPiSF_EEENSH_IJSI_SG_EEENS0_18inequality_wrapperIN6hipcub16HIPCUB_304000_NS8EqualityEEEPlJSF_EEE10hipError_tPvRmT3_T4_T5_T6_T7_T9_mT8_P12ihipStream_tbDpT10_ENKUlT_T0_E_clISt17integral_constantIbLb0EES1A_EEDaS15_S16_EUlS15_E_NS1_11comp_targetILNS1_3genE2ELNS1_11target_archE906ELNS1_3gpuE6ELNS1_3repE0EEENS1_30default_config_static_selectorELNS0_4arch9wavefront6targetE0EEEvT1_.numbered_sgpr, 0
	.set _ZN7rocprim17ROCPRIM_400000_NS6detail17trampoline_kernelINS0_14default_configENS1_25partition_config_selectorILNS1_17partition_subalgoE9EiibEEZZNS1_14partition_implILS5_9ELb0ES3_jPKiN6thrust23THRUST_200600_302600_NS17counting_iteratorIiNSB_11use_defaultESD_SD_EEPNS0_10empty_typeENS0_5tupleIJPiSF_EEENSH_IJSI_SG_EEENS0_18inequality_wrapperIN6hipcub16HIPCUB_304000_NS8EqualityEEEPlJSF_EEE10hipError_tPvRmT3_T4_T5_T6_T7_T9_mT8_P12ihipStream_tbDpT10_ENKUlT_T0_E_clISt17integral_constantIbLb0EES1A_EEDaS15_S16_EUlS15_E_NS1_11comp_targetILNS1_3genE2ELNS1_11target_archE906ELNS1_3gpuE6ELNS1_3repE0EEENS1_30default_config_static_selectorELNS0_4arch9wavefront6targetE0EEEvT1_.num_named_barrier, 0
	.set _ZN7rocprim17ROCPRIM_400000_NS6detail17trampoline_kernelINS0_14default_configENS1_25partition_config_selectorILNS1_17partition_subalgoE9EiibEEZZNS1_14partition_implILS5_9ELb0ES3_jPKiN6thrust23THRUST_200600_302600_NS17counting_iteratorIiNSB_11use_defaultESD_SD_EEPNS0_10empty_typeENS0_5tupleIJPiSF_EEENSH_IJSI_SG_EEENS0_18inequality_wrapperIN6hipcub16HIPCUB_304000_NS8EqualityEEEPlJSF_EEE10hipError_tPvRmT3_T4_T5_T6_T7_T9_mT8_P12ihipStream_tbDpT10_ENKUlT_T0_E_clISt17integral_constantIbLb0EES1A_EEDaS15_S16_EUlS15_E_NS1_11comp_targetILNS1_3genE2ELNS1_11target_archE906ELNS1_3gpuE6ELNS1_3repE0EEENS1_30default_config_static_selectorELNS0_4arch9wavefront6targetE0EEEvT1_.private_seg_size, 0
	.set _ZN7rocprim17ROCPRIM_400000_NS6detail17trampoline_kernelINS0_14default_configENS1_25partition_config_selectorILNS1_17partition_subalgoE9EiibEEZZNS1_14partition_implILS5_9ELb0ES3_jPKiN6thrust23THRUST_200600_302600_NS17counting_iteratorIiNSB_11use_defaultESD_SD_EEPNS0_10empty_typeENS0_5tupleIJPiSF_EEENSH_IJSI_SG_EEENS0_18inequality_wrapperIN6hipcub16HIPCUB_304000_NS8EqualityEEEPlJSF_EEE10hipError_tPvRmT3_T4_T5_T6_T7_T9_mT8_P12ihipStream_tbDpT10_ENKUlT_T0_E_clISt17integral_constantIbLb0EES1A_EEDaS15_S16_EUlS15_E_NS1_11comp_targetILNS1_3genE2ELNS1_11target_archE906ELNS1_3gpuE6ELNS1_3repE0EEENS1_30default_config_static_selectorELNS0_4arch9wavefront6targetE0EEEvT1_.uses_vcc, 0
	.set _ZN7rocprim17ROCPRIM_400000_NS6detail17trampoline_kernelINS0_14default_configENS1_25partition_config_selectorILNS1_17partition_subalgoE9EiibEEZZNS1_14partition_implILS5_9ELb0ES3_jPKiN6thrust23THRUST_200600_302600_NS17counting_iteratorIiNSB_11use_defaultESD_SD_EEPNS0_10empty_typeENS0_5tupleIJPiSF_EEENSH_IJSI_SG_EEENS0_18inequality_wrapperIN6hipcub16HIPCUB_304000_NS8EqualityEEEPlJSF_EEE10hipError_tPvRmT3_T4_T5_T6_T7_T9_mT8_P12ihipStream_tbDpT10_ENKUlT_T0_E_clISt17integral_constantIbLb0EES1A_EEDaS15_S16_EUlS15_E_NS1_11comp_targetILNS1_3genE2ELNS1_11target_archE906ELNS1_3gpuE6ELNS1_3repE0EEENS1_30default_config_static_selectorELNS0_4arch9wavefront6targetE0EEEvT1_.uses_flat_scratch, 0
	.set _ZN7rocprim17ROCPRIM_400000_NS6detail17trampoline_kernelINS0_14default_configENS1_25partition_config_selectorILNS1_17partition_subalgoE9EiibEEZZNS1_14partition_implILS5_9ELb0ES3_jPKiN6thrust23THRUST_200600_302600_NS17counting_iteratorIiNSB_11use_defaultESD_SD_EEPNS0_10empty_typeENS0_5tupleIJPiSF_EEENSH_IJSI_SG_EEENS0_18inequality_wrapperIN6hipcub16HIPCUB_304000_NS8EqualityEEEPlJSF_EEE10hipError_tPvRmT3_T4_T5_T6_T7_T9_mT8_P12ihipStream_tbDpT10_ENKUlT_T0_E_clISt17integral_constantIbLb0EES1A_EEDaS15_S16_EUlS15_E_NS1_11comp_targetILNS1_3genE2ELNS1_11target_archE906ELNS1_3gpuE6ELNS1_3repE0EEENS1_30default_config_static_selectorELNS0_4arch9wavefront6targetE0EEEvT1_.has_dyn_sized_stack, 0
	.set _ZN7rocprim17ROCPRIM_400000_NS6detail17trampoline_kernelINS0_14default_configENS1_25partition_config_selectorILNS1_17partition_subalgoE9EiibEEZZNS1_14partition_implILS5_9ELb0ES3_jPKiN6thrust23THRUST_200600_302600_NS17counting_iteratorIiNSB_11use_defaultESD_SD_EEPNS0_10empty_typeENS0_5tupleIJPiSF_EEENSH_IJSI_SG_EEENS0_18inequality_wrapperIN6hipcub16HIPCUB_304000_NS8EqualityEEEPlJSF_EEE10hipError_tPvRmT3_T4_T5_T6_T7_T9_mT8_P12ihipStream_tbDpT10_ENKUlT_T0_E_clISt17integral_constantIbLb0EES1A_EEDaS15_S16_EUlS15_E_NS1_11comp_targetILNS1_3genE2ELNS1_11target_archE906ELNS1_3gpuE6ELNS1_3repE0EEENS1_30default_config_static_selectorELNS0_4arch9wavefront6targetE0EEEvT1_.has_recursion, 0
	.set _ZN7rocprim17ROCPRIM_400000_NS6detail17trampoline_kernelINS0_14default_configENS1_25partition_config_selectorILNS1_17partition_subalgoE9EiibEEZZNS1_14partition_implILS5_9ELb0ES3_jPKiN6thrust23THRUST_200600_302600_NS17counting_iteratorIiNSB_11use_defaultESD_SD_EEPNS0_10empty_typeENS0_5tupleIJPiSF_EEENSH_IJSI_SG_EEENS0_18inequality_wrapperIN6hipcub16HIPCUB_304000_NS8EqualityEEEPlJSF_EEE10hipError_tPvRmT3_T4_T5_T6_T7_T9_mT8_P12ihipStream_tbDpT10_ENKUlT_T0_E_clISt17integral_constantIbLb0EES1A_EEDaS15_S16_EUlS15_E_NS1_11comp_targetILNS1_3genE2ELNS1_11target_archE906ELNS1_3gpuE6ELNS1_3repE0EEENS1_30default_config_static_selectorELNS0_4arch9wavefront6targetE0EEEvT1_.has_indirect_call, 0
	.section	.AMDGPU.csdata,"",@progbits
; Kernel info:
; codeLenInByte = 0
; TotalNumSgprs: 0
; NumVgprs: 0
; ScratchSize: 0
; MemoryBound: 0
; FloatMode: 240
; IeeeMode: 1
; LDSByteSize: 0 bytes/workgroup (compile time only)
; SGPRBlocks: 0
; VGPRBlocks: 0
; NumSGPRsForWavesPerEU: 1
; NumVGPRsForWavesPerEU: 1
; Occupancy: 16
; WaveLimiterHint : 0
; COMPUTE_PGM_RSRC2:SCRATCH_EN: 0
; COMPUTE_PGM_RSRC2:USER_SGPR: 2
; COMPUTE_PGM_RSRC2:TRAP_HANDLER: 0
; COMPUTE_PGM_RSRC2:TGID_X_EN: 1
; COMPUTE_PGM_RSRC2:TGID_Y_EN: 0
; COMPUTE_PGM_RSRC2:TGID_Z_EN: 0
; COMPUTE_PGM_RSRC2:TIDIG_COMP_CNT: 0
	.section	.text._ZN7rocprim17ROCPRIM_400000_NS6detail17trampoline_kernelINS0_14default_configENS1_25partition_config_selectorILNS1_17partition_subalgoE9EiibEEZZNS1_14partition_implILS5_9ELb0ES3_jPKiN6thrust23THRUST_200600_302600_NS17counting_iteratorIiNSB_11use_defaultESD_SD_EEPNS0_10empty_typeENS0_5tupleIJPiSF_EEENSH_IJSI_SG_EEENS0_18inequality_wrapperIN6hipcub16HIPCUB_304000_NS8EqualityEEEPlJSF_EEE10hipError_tPvRmT3_T4_T5_T6_T7_T9_mT8_P12ihipStream_tbDpT10_ENKUlT_T0_E_clISt17integral_constantIbLb0EES1A_EEDaS15_S16_EUlS15_E_NS1_11comp_targetILNS1_3genE10ELNS1_11target_archE1200ELNS1_3gpuE4ELNS1_3repE0EEENS1_30default_config_static_selectorELNS0_4arch9wavefront6targetE0EEEvT1_,"axG",@progbits,_ZN7rocprim17ROCPRIM_400000_NS6detail17trampoline_kernelINS0_14default_configENS1_25partition_config_selectorILNS1_17partition_subalgoE9EiibEEZZNS1_14partition_implILS5_9ELb0ES3_jPKiN6thrust23THRUST_200600_302600_NS17counting_iteratorIiNSB_11use_defaultESD_SD_EEPNS0_10empty_typeENS0_5tupleIJPiSF_EEENSH_IJSI_SG_EEENS0_18inequality_wrapperIN6hipcub16HIPCUB_304000_NS8EqualityEEEPlJSF_EEE10hipError_tPvRmT3_T4_T5_T6_T7_T9_mT8_P12ihipStream_tbDpT10_ENKUlT_T0_E_clISt17integral_constantIbLb0EES1A_EEDaS15_S16_EUlS15_E_NS1_11comp_targetILNS1_3genE10ELNS1_11target_archE1200ELNS1_3gpuE4ELNS1_3repE0EEENS1_30default_config_static_selectorELNS0_4arch9wavefront6targetE0EEEvT1_,comdat
	.protected	_ZN7rocprim17ROCPRIM_400000_NS6detail17trampoline_kernelINS0_14default_configENS1_25partition_config_selectorILNS1_17partition_subalgoE9EiibEEZZNS1_14partition_implILS5_9ELb0ES3_jPKiN6thrust23THRUST_200600_302600_NS17counting_iteratorIiNSB_11use_defaultESD_SD_EEPNS0_10empty_typeENS0_5tupleIJPiSF_EEENSH_IJSI_SG_EEENS0_18inequality_wrapperIN6hipcub16HIPCUB_304000_NS8EqualityEEEPlJSF_EEE10hipError_tPvRmT3_T4_T5_T6_T7_T9_mT8_P12ihipStream_tbDpT10_ENKUlT_T0_E_clISt17integral_constantIbLb0EES1A_EEDaS15_S16_EUlS15_E_NS1_11comp_targetILNS1_3genE10ELNS1_11target_archE1200ELNS1_3gpuE4ELNS1_3repE0EEENS1_30default_config_static_selectorELNS0_4arch9wavefront6targetE0EEEvT1_ ; -- Begin function _ZN7rocprim17ROCPRIM_400000_NS6detail17trampoline_kernelINS0_14default_configENS1_25partition_config_selectorILNS1_17partition_subalgoE9EiibEEZZNS1_14partition_implILS5_9ELb0ES3_jPKiN6thrust23THRUST_200600_302600_NS17counting_iteratorIiNSB_11use_defaultESD_SD_EEPNS0_10empty_typeENS0_5tupleIJPiSF_EEENSH_IJSI_SG_EEENS0_18inequality_wrapperIN6hipcub16HIPCUB_304000_NS8EqualityEEEPlJSF_EEE10hipError_tPvRmT3_T4_T5_T6_T7_T9_mT8_P12ihipStream_tbDpT10_ENKUlT_T0_E_clISt17integral_constantIbLb0EES1A_EEDaS15_S16_EUlS15_E_NS1_11comp_targetILNS1_3genE10ELNS1_11target_archE1200ELNS1_3gpuE4ELNS1_3repE0EEENS1_30default_config_static_selectorELNS0_4arch9wavefront6targetE0EEEvT1_
	.globl	_ZN7rocprim17ROCPRIM_400000_NS6detail17trampoline_kernelINS0_14default_configENS1_25partition_config_selectorILNS1_17partition_subalgoE9EiibEEZZNS1_14partition_implILS5_9ELb0ES3_jPKiN6thrust23THRUST_200600_302600_NS17counting_iteratorIiNSB_11use_defaultESD_SD_EEPNS0_10empty_typeENS0_5tupleIJPiSF_EEENSH_IJSI_SG_EEENS0_18inequality_wrapperIN6hipcub16HIPCUB_304000_NS8EqualityEEEPlJSF_EEE10hipError_tPvRmT3_T4_T5_T6_T7_T9_mT8_P12ihipStream_tbDpT10_ENKUlT_T0_E_clISt17integral_constantIbLb0EES1A_EEDaS15_S16_EUlS15_E_NS1_11comp_targetILNS1_3genE10ELNS1_11target_archE1200ELNS1_3gpuE4ELNS1_3repE0EEENS1_30default_config_static_selectorELNS0_4arch9wavefront6targetE0EEEvT1_
	.p2align	8
	.type	_ZN7rocprim17ROCPRIM_400000_NS6detail17trampoline_kernelINS0_14default_configENS1_25partition_config_selectorILNS1_17partition_subalgoE9EiibEEZZNS1_14partition_implILS5_9ELb0ES3_jPKiN6thrust23THRUST_200600_302600_NS17counting_iteratorIiNSB_11use_defaultESD_SD_EEPNS0_10empty_typeENS0_5tupleIJPiSF_EEENSH_IJSI_SG_EEENS0_18inequality_wrapperIN6hipcub16HIPCUB_304000_NS8EqualityEEEPlJSF_EEE10hipError_tPvRmT3_T4_T5_T6_T7_T9_mT8_P12ihipStream_tbDpT10_ENKUlT_T0_E_clISt17integral_constantIbLb0EES1A_EEDaS15_S16_EUlS15_E_NS1_11comp_targetILNS1_3genE10ELNS1_11target_archE1200ELNS1_3gpuE4ELNS1_3repE0EEENS1_30default_config_static_selectorELNS0_4arch9wavefront6targetE0EEEvT1_,@function
_ZN7rocprim17ROCPRIM_400000_NS6detail17trampoline_kernelINS0_14default_configENS1_25partition_config_selectorILNS1_17partition_subalgoE9EiibEEZZNS1_14partition_implILS5_9ELb0ES3_jPKiN6thrust23THRUST_200600_302600_NS17counting_iteratorIiNSB_11use_defaultESD_SD_EEPNS0_10empty_typeENS0_5tupleIJPiSF_EEENSH_IJSI_SG_EEENS0_18inequality_wrapperIN6hipcub16HIPCUB_304000_NS8EqualityEEEPlJSF_EEE10hipError_tPvRmT3_T4_T5_T6_T7_T9_mT8_P12ihipStream_tbDpT10_ENKUlT_T0_E_clISt17integral_constantIbLb0EES1A_EEDaS15_S16_EUlS15_E_NS1_11comp_targetILNS1_3genE10ELNS1_11target_archE1200ELNS1_3gpuE4ELNS1_3repE0EEENS1_30default_config_static_selectorELNS0_4arch9wavefront6targetE0EEEvT1_: ; @_ZN7rocprim17ROCPRIM_400000_NS6detail17trampoline_kernelINS0_14default_configENS1_25partition_config_selectorILNS1_17partition_subalgoE9EiibEEZZNS1_14partition_implILS5_9ELb0ES3_jPKiN6thrust23THRUST_200600_302600_NS17counting_iteratorIiNSB_11use_defaultESD_SD_EEPNS0_10empty_typeENS0_5tupleIJPiSF_EEENSH_IJSI_SG_EEENS0_18inequality_wrapperIN6hipcub16HIPCUB_304000_NS8EqualityEEEPlJSF_EEE10hipError_tPvRmT3_T4_T5_T6_T7_T9_mT8_P12ihipStream_tbDpT10_ENKUlT_T0_E_clISt17integral_constantIbLb0EES1A_EEDaS15_S16_EUlS15_E_NS1_11comp_targetILNS1_3genE10ELNS1_11target_archE1200ELNS1_3gpuE4ELNS1_3repE0EEENS1_30default_config_static_selectorELNS0_4arch9wavefront6targetE0EEEvT1_
; %bb.0:
	s_clause 0x3
	s_load_b128 s[4:7], s[0:1], 0x8
	s_load_b128 s[12:15], s[0:1], 0x40
	s_load_b32 s16, s[0:1], 0x68
	s_load_b64 s[2:3], s[0:1], 0x50
	s_mov_b32 s17, 0
	v_lshlrev_b32_e32 v34, 2, v0
	s_wait_kmcnt 0x0
	s_lshl_b64 s[8:9], s[6:7], 2
	s_load_b64 s[10:11], s[14:15], 0x0
	s_add_co_i32 s18, s16, -1
	s_mulk_i32 s16, 0xa80
	s_add_nc_u64 s[14:15], s[4:5], s[8:9]
	s_add_nc_u64 s[4:5], s[6:7], s[16:17]
	s_add_co_i32 s8, s16, s6
	v_cmp_le_u64_e64 s3, s[2:3], s[4:5]
	s_sub_co_i32 s9, s2, s8
	s_cmp_eq_u32 ttmp9, s18
	s_mul_i32 s4, ttmp9, 0xa80
	s_cselect_b32 s16, -1, 0
	s_mov_b32 s5, s17
	s_and_b32 s18, s16, s3
	s_wait_alu 0xfffe
	s_lshl_b64 s[2:3], s[4:5], 2
	s_xor_b32 s17, s18, -1
	s_mov_b32 s8, -1
	s_and_b32 vcc_lo, exec_lo, s17
	s_wait_alu 0xfffe
	s_add_nc_u64 s[2:3], s[14:15], s[2:3]
	s_cbranch_vccz .LBB6_2
; %bb.1:
	v_lshlrev_b32_e32 v1, 2, v0
	s_mov_b32 s8, 0
	s_clause 0x6
	global_load_b32 v2, v1, s[2:3]
	global_load_b32 v3, v1, s[2:3] offset:1536
	global_load_b32 v4, v1, s[2:3] offset:3072
	;; [unrolled: 1-line block ×6, first 2 shown]
	s_wait_loadcnt 0x5
	ds_store_2addr_stride64_b32 v1, v2, v3 offset1:6
	s_wait_loadcnt 0x3
	ds_store_2addr_stride64_b32 v1, v4, v5 offset0:12 offset1:18
	s_wait_loadcnt 0x1
	ds_store_2addr_stride64_b32 v1, v6, v7 offset0:24 offset1:30
	s_wait_loadcnt 0x0
	ds_store_b32 v1, v8 offset:9216
	s_wait_dscnt 0x0
	s_barrier_signal -1
	s_barrier_wait -1
.LBB6_2:
	s_load_b32 s5, s[0:1], 0x18
	s_and_not1_b32 vcc_lo, exec_lo, s8
	s_addk_co_i32 s9, 0xa80
	s_cbranch_vccnz .LBB6_18
; %bb.3:
	v_mov_b32_e32 v1, 0
	s_mov_b32 s8, exec_lo
	s_delay_alu instid0(VALU_DEP_1)
	v_dual_mov_b32 v2, v1 :: v_dual_mov_b32 v3, v1
	v_dual_mov_b32 v4, v1 :: v_dual_mov_b32 v5, v1
	;; [unrolled: 1-line block ×3, first 2 shown]
	v_cmpx_gt_u32_e64 s9, v0
	s_cbranch_execz .LBB6_5
; %bb.4:
	v_dual_mov_b32 v3, v1 :: v_dual_lshlrev_b32 v2, 2, v0
	v_mov_b32_e32 v8, v1
	v_dual_mov_b32 v4, v1 :: v_dual_mov_b32 v5, v1
	global_load_b32 v2, v2, s[2:3]
	v_dual_mov_b32 v6, v1 :: v_dual_mov_b32 v7, v1
	s_wait_loadcnt 0x0
	v_mov_b32_e32 v1, v2
	v_mov_b32_e32 v2, v3
	;; [unrolled: 1-line block ×7, first 2 shown]
.LBB6_5:
	s_or_b32 exec_lo, exec_lo, s8
	v_add_nc_u32_e32 v8, 0x180, v0
	s_mov_b32 s8, exec_lo
	s_delay_alu instid0(VALU_DEP_1)
	v_cmpx_gt_u32_e64 s9, v8
	s_cbranch_execz .LBB6_7
; %bb.6:
	v_lshlrev_b32_e32 v2, 2, v0
	global_load_b32 v2, v2, s[2:3] offset:1536
.LBB6_7:
	s_wait_alu 0xfffe
	s_or_b32 exec_lo, exec_lo, s8
	v_add_nc_u32_e32 v8, 0x300, v0
	s_mov_b32 s8, exec_lo
	s_delay_alu instid0(VALU_DEP_1)
	v_cmpx_gt_u32_e64 s9, v8
	s_cbranch_execz .LBB6_9
; %bb.8:
	v_lshlrev_b32_e32 v3, 2, v0
	global_load_b32 v3, v3, s[2:3] offset:3072
.LBB6_9:
	s_wait_alu 0xfffe
	;; [unrolled: 11-line block ×3, first 2 shown]
	s_or_b32 exec_lo, exec_lo, s8
	v_or_b32_e32 v8, 0x600, v0
	s_mov_b32 s8, exec_lo
	s_delay_alu instid0(VALU_DEP_1)
	v_cmpx_gt_u32_e64 s9, v8
	s_cbranch_execz .LBB6_13
; %bb.12:
	v_lshlrev_b32_e32 v5, 2, v0
	global_load_b32 v5, v5, s[2:3] offset:6144
.LBB6_13:
	s_wait_alu 0xfffe
	s_or_b32 exec_lo, exec_lo, s8
	v_add_nc_u32_e32 v8, 0x780, v0
	s_mov_b32 s8, exec_lo
	s_delay_alu instid0(VALU_DEP_1)
	v_cmpx_gt_u32_e64 s9, v8
	s_cbranch_execz .LBB6_15
; %bb.14:
	v_lshlrev_b32_e32 v6, 2, v0
	global_load_b32 v6, v6, s[2:3] offset:7680
.LBB6_15:
	s_wait_alu 0xfffe
	s_or_b32 exec_lo, exec_lo, s8
	v_add_nc_u32_e32 v8, 0x900, v0
	s_mov_b32 s8, exec_lo
	s_delay_alu instid0(VALU_DEP_1)
	v_cmpx_gt_u32_e64 s9, v8
	s_cbranch_execz .LBB6_17
; %bb.16:
	v_lshlrev_b32_e32 v7, 2, v0
	global_load_b32 v7, v7, s[2:3] offset:9216
.LBB6_17:
	s_wait_alu 0xfffe
	s_or_b32 exec_lo, exec_lo, s8
	v_lshlrev_b32_e32 v8, 2, v0
	s_wait_loadcnt 0x0
	ds_store_2addr_stride64_b32 v8, v1, v2 offset1:6
	ds_store_2addr_stride64_b32 v8, v3, v4 offset0:12 offset1:18
	ds_store_2addr_stride64_b32 v8, v5, v6 offset0:24 offset1:30
	ds_store_b32 v8, v7 offset:9216
	s_wait_dscnt 0x0
	s_barrier_signal -1
	s_barrier_wait -1
.LBB6_18:
	v_mul_u32_u24_e32 v20, 7, v0
	global_inv scope:SCOPE_SE
	s_add_co_i32 s4, s4, s6
	s_and_b32 vcc_lo, exec_lo, s17
	s_wait_kmcnt 0x0
	s_wait_alu 0xfffe
	s_add_co_i32 s4, s4, s5
	v_lshlrev_b32_e32 v5, 2, v20
	s_wait_alu 0xfffe
	v_add_nc_u32_e32 v1, s4, v0
	s_mov_b32 s4, -1
	ds_load_2addr_b32 v[11:12], v5 offset0:2 offset1:3
	ds_load_2addr_b32 v[13:14], v5 offset1:1
	ds_load_2addr_b32 v[9:10], v5 offset0:3 offset1:4
	ds_load_2addr_b32 v[18:19], v5 offset0:1 offset1:2
	;; [unrolled: 1-line block ×3, first 2 shown]
	v_add_nc_u32_e32 v2, 0x180, v1
	v_add_nc_u32_e32 v3, 0x300, v1
	;; [unrolled: 1-line block ×6, first 2 shown]
	s_wait_loadcnt_dscnt 0x0
	s_barrier_signal -1
	s_barrier_wait -1
	global_inv scope:SCOPE_SE
	s_cbranch_vccz .LBB6_20
; %bb.19:
	v_lshlrev_b32_e32 v17, 2, v0
	s_mov_b32 s4, 0
	ds_store_2addr_stride64_b32 v17, v1, v2 offset1:6
	ds_store_2addr_stride64_b32 v17, v3, v4 offset0:12 offset1:18
	ds_store_2addr_stride64_b32 v17, v6, v15 offset0:24 offset1:30
	ds_store_b32 v17, v16 offset:9216
	s_wait_loadcnt_dscnt 0x0
	s_barrier_signal -1
	s_barrier_wait -1
.LBB6_20:
	v_mad_i32_i24 v21, 0xffffffe8, v0, v5
	s_wait_alu 0xfffe
	s_and_not1_b32 vcc_lo, exec_lo, s4
	s_cbranch_vccnz .LBB6_22
; %bb.21:
	ds_store_2addr_stride64_b32 v21, v1, v2 offset1:6
	ds_store_2addr_stride64_b32 v21, v3, v4 offset0:12 offset1:18
	ds_store_2addr_stride64_b32 v21, v6, v15 offset0:24 offset1:30
	ds_store_b32 v21, v16 offset:9216
	s_wait_loadcnt_dscnt 0x0
	s_barrier_signal -1
	s_barrier_wait -1
.LBB6_22:
	s_wait_loadcnt 0x0
	global_inv scope:SCOPE_SE
	ds_load_b32 v35, v5 offset:24
	ds_load_2addr_b32 v[1:2], v5 offset0:4 offset1:5
	ds_load_2addr_b32 v[3:4], v5 offset0:2 offset1:3
	ds_load_2addr_b32 v[5:6], v5 offset1:1
	s_cmp_lg_u32 ttmp9, 0
	s_mov_b32 s8, 0
	s_cselect_b32 s19, -1, 0
	s_cmp_lg_u64 s[6:7], 0
	s_wait_loadcnt_dscnt 0x0
	s_cselect_b32 s4, -1, 0
	s_barrier_signal -1
	s_wait_alu 0xfffe
	s_or_b32 s4, s19, s4
	s_barrier_wait -1
	s_wait_alu 0xfffe
	s_and_b32 vcc_lo, exec_lo, s4
	global_inv scope:SCOPE_SE
	s_cbranch_vccz .LBB6_27
; %bb.23:
	s_add_nc_u64 s[2:3], s[2:3], -4
	v_lshlrev_b32_e32 v15, 2, v0
	s_load_b32 s3, s[2:3], 0x0
	s_and_b32 vcc_lo, exec_lo, s17
	ds_store_b32 v15, v8
	s_cbranch_vccz .LBB6_29
; %bb.24:
	s_wait_kmcnt 0x0
	v_mov_b32_e32 v16, s3
	s_mov_b32 s4, 0
	s_mov_b32 s2, exec_lo
	s_wait_loadcnt_dscnt 0x0
	s_barrier_signal -1
	s_barrier_wait -1
	global_inv scope:SCOPE_SE
	v_cmpx_ne_u32_e32 0, v0
; %bb.25:
	v_add_nc_u32_e32 v16, -4, v15
	ds_load_b32 v16, v16
; %bb.26:
	s_wait_alu 0xfffe
	s_or_b32 exec_lo, exec_lo, s2
	v_cmp_ne_u32_e32 vcc_lo, v11, v12
	s_wait_dscnt 0x0
	v_cmp_ne_u32_e64 s2, v16, v13
	v_cndmask_b32_e64 v17, 0, 1, vcc_lo
	v_cmp_ne_u32_e32 vcc_lo, v14, v11
	s_delay_alu instid0(VALU_DEP_2) | instskip(SKIP_3) | instid1(VALU_DEP_2)
	v_lshlrev_b16 v17, 8, v17
	s_wait_alu 0xfffd
	v_cndmask_b32_e64 v22, 0, 1, vcc_lo
	v_cmp_ne_u32_e32 vcc_lo, v13, v14
	v_or_b32_e32 v17, v22, v17
	s_wait_alu 0xfffd
	v_cndmask_b32_e64 v23, 0, 1, vcc_lo
	v_cmp_ne_u32_e32 vcc_lo, v7, v8
	s_delay_alu instid0(VALU_DEP_3) | instskip(NEXT) | instid1(VALU_DEP_3)
	v_lshlrev_b32_e32 v17, 16, v17
	v_lshlrev_b16 v23, 8, v23
	s_wait_alu 0xfffd
	v_cndmask_b32_e64 v36, 0, 1, vcc_lo
	v_cmp_ne_u32_e32 vcc_lo, v10, v7
	s_delay_alu instid0(VALU_DEP_3) | instskip(SKIP_3) | instid1(VALU_DEP_3)
	v_and_b32_e32 v22, 0xffff, v23
	s_wait_alu 0xfffd
	v_cndmask_b32_e64 v37, 0, 1, vcc_lo
	v_cmp_ne_u32_e32 vcc_lo, v12, v10
	v_or_b32_e32 v22, v22, v17
	s_wait_alu 0xfffd
	v_cndmask_b32_e64 v23, 0, 1, vcc_lo
	s_and_b32 vcc_lo, exec_lo, s4
	s_wait_alu 0xfffe
	s_cbranch_vccnz .LBB6_30
	s_branch .LBB6_33
.LBB6_27:
                                        ; implicit-def: $sgpr2
                                        ; implicit-def: $vgpr36
                                        ; implicit-def: $vgpr37
                                        ; implicit-def: $vgpr23
                                        ; implicit-def: $vgpr22
	s_branch .LBB6_34
.LBB6_28:
                                        ; implicit-def: $vgpr15
                                        ; implicit-def: $vgpr39
                                        ; implicit-def: $vgpr38
                                        ; implicit-def: $vgpr17
	s_branch .LBB6_42
.LBB6_29:
                                        ; implicit-def: $sgpr2
                                        ; implicit-def: $vgpr36
                                        ; implicit-def: $vgpr37
                                        ; implicit-def: $vgpr23
                                        ; implicit-def: $vgpr22
	s_cbranch_execz .LBB6_33
.LBB6_30:
	s_wait_kmcnt 0x0
	v_mov_b32_e32 v16, s3
	s_mov_b32 s2, exec_lo
	s_wait_loadcnt_dscnt 0x0
	s_barrier_signal -1
	s_barrier_wait -1
	global_inv scope:SCOPE_SE
	v_cmpx_ne_u32_e32 0, v0
; %bb.31:
	v_add_nc_u32_e32 v15, -4, v15
	ds_load_b32 v16, v15
; %bb.32:
	s_wait_alu 0xfffe
	s_or_b32 exec_lo, exec_lo, s2
	v_add_nc_u32_e32 v17, 3, v20
	v_add_nc_u32_e32 v15, 6, v20
	v_cmp_ne_u32_e64 s4, v11, v12
	v_add_nc_u32_e32 v23, 2, v20
	v_cmp_ne_u32_e64 s7, v14, v11
	v_cmp_gt_u32_e64 s3, s9, v17
	v_cmp_gt_u32_e64 s2, s9, v15
	v_add_nc_u32_e32 v15, 1, v20
	v_cmp_gt_u32_e64 s6, s9, v23
	v_add_nc_u32_e32 v22, 5, v20
	s_and_b32 s3, s3, s4
	v_cmp_ne_u32_e64 s4, v13, v14
	s_wait_alu 0xfffe
	v_cndmask_b32_e64 v17, 0, 1, s3
	v_cmp_gt_u32_e64 s3, s9, v15
	s_and_b32 s6, s6, s7
	v_cmp_ne_u32_e32 vcc_lo, v7, v8
	v_cmp_gt_u32_e64 s5, s9, v22
	v_cndmask_b32_e64 v15, 0, 1, s6
	s_and_b32 s3, s3, s4
	v_lshlrev_b16 v17, 8, v17
	s_wait_alu 0xfffe
	v_cndmask_b32_e64 v22, 0, 1, s3
	v_cmp_ne_u32_e64 s8, v10, v7
	v_add_nc_u32_e32 v23, 4, v20
	s_and_b32 s2, s2, vcc_lo
	v_or_b32_e32 v15, v15, v17
	v_lshlrev_b16 v17, 8, v22
	s_wait_alu 0xfffe
	v_cndmask_b32_e64 v36, 0, 1, s2
	s_and_b32 s2, s5, s8
	v_cmp_gt_u32_e32 vcc_lo, s9, v23
	s_wait_alu 0xfffe
	v_cndmask_b32_e64 v37, 0, 1, s2
	v_cmp_ne_u32_e64 s2, v12, v10
	v_lshlrev_b32_e32 v15, 16, v15
	v_and_b32_e32 v17, 0xffff, v17
	v_cmp_gt_u32_e64 s3, s9, v20
	s_wait_dscnt 0x0
	v_cmp_ne_u32_e64 s4, v16, v13
	s_and_b32 s2, vcc_lo, s2
	s_wait_alu 0xfffe
	v_cndmask_b32_e64 v23, 0, 1, s2
	v_or_b32_e32 v22, v17, v15
	s_and_b32 s2, s3, s4
.LBB6_33:
	s_wait_kmcnt 0x0
	s_mov_b32 s8, -1
	s_cbranch_execnz .LBB6_28
.LBB6_34:
	v_cmp_ne_u32_e64 s2, v7, v8
	v_cmp_ne_u32_e64 s3, v10, v7
	;; [unrolled: 1-line block ×3, first 2 shown]
	s_and_b32 vcc_lo, exec_lo, s17
	ds_store_b32 v21, v8
	s_wait_alu 0xfffe
	s_cbranch_vccz .LBB6_38
; %bb.35:
	v_cmp_ne_u32_e32 vcc_lo, v13, v14
	s_wait_alu 0xf1ff
	v_cndmask_b32_e64 v36, 0, 1, s2
	v_cndmask_b32_e64 v37, 0, 1, s3
	;; [unrolled: 1-line block ×3, first 2 shown]
	v_mov_b32_e32 v15, 1
	s_wait_alu 0xfffd
	v_cndmask_b32_e64 v39, 0, 1, vcc_lo
	v_cmp_ne_u32_e32 vcc_lo, v14, v11
	s_mov_b32 s3, 0
	s_mov_b32 s4, exec_lo
	s_wait_loadcnt_dscnt 0x0
	s_barrier_signal -1
	s_wait_alu 0xfffd
	v_cndmask_b32_e64 v38, 0, 1, vcc_lo
	v_cmp_ne_u32_e32 vcc_lo, v11, v12
	s_barrier_wait -1
	global_inv scope:SCOPE_SE
                                        ; implicit-def: $sgpr2
                                        ; implicit-def: $vgpr22
	s_wait_alu 0xfffd
	v_cndmask_b32_e64 v17, 0, 1, vcc_lo
	v_cmpx_ne_u32_e32 0, v0
	s_wait_alu 0xfffe
	s_xor_b32 s4, exec_lo, s4
	s_cbranch_execz .LBB6_37
; %bb.36:
	v_add_nc_u32_e32 v22, -4, v21
	v_lshlrev_b16 v23, 8, v17
	v_lshlrev_b16 v24, 8, v39
	s_or_b32 s8, s8, exec_lo
	ds_load_b32 v22, v22
	v_or_b32_e32 v23, v38, v23
	v_or_b32_e32 v24, 1, v24
	s_delay_alu instid0(VALU_DEP_2) | instskip(NEXT) | instid1(VALU_DEP_2)
	v_lshlrev_b32_e32 v23, 16, v23
	v_and_b32_e32 v24, 0xffff, v24
	s_delay_alu instid0(VALU_DEP_1) | instskip(SKIP_2) | instid1(VALU_DEP_2)
	v_or_b32_e32 v23, v24, v23
	s_wait_dscnt 0x0
	v_cmp_ne_u32_e64 s2, v22, v13
	v_perm_b32 v22, v23, v23, 0x3020104
.LBB6_37:
	s_wait_alu 0xfffe
	s_or_b32 exec_lo, exec_lo, s4
	v_mov_b32_e32 v23, v16
	s_and_b32 vcc_lo, exec_lo, s3
	s_wait_alu 0xfffe
	s_cbranch_vccnz .LBB6_39
	s_branch .LBB6_42
.LBB6_38:
                                        ; implicit-def: $sgpr2
                                        ; implicit-def: $vgpr36
                                        ; implicit-def: $vgpr37
                                        ; implicit-def: $vgpr23
                                        ; implicit-def: $vgpr22
                                        ; implicit-def: $vgpr15
                                        ; implicit-def: $vgpr39
                                        ; implicit-def: $vgpr38
                                        ; implicit-def: $vgpr17
	s_cbranch_execz .LBB6_42
.LBB6_39:
	v_add_nc_u32_e32 v16, 4, v20
	v_add_nc_u32_e32 v15, 6, v20
	v_cmp_ne_u32_e64 s2, v12, v10
	v_add_nc_u32_e32 v17, 2, v20
	v_cmp_ne_u32_e64 s5, v14, v19
	v_cmp_gt_u32_e64 s4, s9, v16
	v_cmp_gt_u32_e64 s3, s9, v15
	v_add_nc_u32_e32 v15, 3, v20
	v_cmp_ne_u32_e64 s6, v11, v9
	v_cmp_gt_u32_e64 s7, s9, v17
	s_and_b32 s2, s4, s2
	v_cmp_ne_u32_e32 vcc_lo, v7, v8
	s_wait_alu 0xfffe
	v_cndmask_b32_e64 v24, 0, 1, s2
	v_cmp_gt_u32_e64 s2, s9, v15
	s_and_b32 s4, s7, s5
	v_add_nc_u32_e32 v9, 5, v20
	s_wait_alu 0xfffe
	v_cndmask_b32_e64 v25, 0, 1, s4
	v_lshlrev_b16 v15, 8, v24
	s_and_b32 s2, s2, s6
	v_add_nc_u32_e32 v16, 1, v20
	s_wait_alu 0xfffe
	v_cndmask_b32_e64 v26, 0, 1, s2
	s_and_b32 s2, s3, vcc_lo
	v_cmp_gt_u32_e32 vcc_lo, s9, v9
	v_lshlrev_b16 v9, 8, v25
	s_wait_alu 0xfffe
	v_cndmask_b32_e64 v36, 0, 1, s2
	v_or_b32_e32 v17, v26, v15
	v_cmp_ne_u32_e64 s2, v10, v7
	v_cmp_ne_u32_e64 s3, v13, v18
	v_cmp_gt_u32_e64 s4, s9, v16
	v_and_b32_e32 v15, 0xffff, v9
	v_lshlrev_b32_e32 v16, 16, v17
	s_and_b32 s2, vcc_lo, s2
	s_wait_loadcnt_dscnt 0x0
	s_wait_alu 0xfffe
	v_cndmask_b32_e64 v37, 0, 1, s2
	s_and_b32 s2, s4, s3
	v_or_b32_e32 v18, v15, v16
	s_wait_alu 0xfffe
	v_cndmask_b32_e64 v19, 0, 1, s2
	v_mov_b32_e32 v15, 1
	s_mov_b32 s3, exec_lo
	s_barrier_signal -1
	s_barrier_wait -1
	global_inv scope:SCOPE_SE
                                        ; implicit-def: $sgpr2
                                        ; implicit-def: $vgpr23
                                        ; implicit-def: $vgpr22
	v_cmpx_ne_u32_e32 0, v0
	s_cbranch_execz .LBB6_41
; %bb.40:
	v_lshlrev_b16 v22, 8, v26
	v_lshlrev_b16 v23, 8, v19
	v_add_nc_u32_e32 v21, -4, v21
	v_lshlrev_b16 v26, 8, v37
	v_cmp_gt_u32_e32 vcc_lo, s9, v20
	v_lshrrev_b32_e32 v22, 8, v22
	v_lshrrev_b32_e32 v23, 8, v23
	ds_load_b32 v21, v21
	v_or_b32_e32 v24, v24, v26
	s_or_b32 s8, s8, exec_lo
	v_lshlrev_b16 v22, 8, v22
	v_lshlrev_b16 v23, 8, v23
	s_delay_alu instid0(VALU_DEP_3) | instskip(NEXT) | instid1(VALU_DEP_3)
	v_and_b32_e32 v24, 0xffff, v24
	v_or_b32_e32 v22, v25, v22
	s_delay_alu instid0(VALU_DEP_3) | instskip(NEXT) | instid1(VALU_DEP_2)
	v_or_b32_e32 v23, 1, v23
	v_lshlrev_b32_e32 v22, 16, v22
	s_delay_alu instid0(VALU_DEP_2) | instskip(NEXT) | instid1(VALU_DEP_1)
	v_and_b32_e32 v23, 0xffff, v23
	v_or_b32_e32 v22, v23, v22
	s_wait_dscnt 0x0
	v_cmp_ne_u32_e64 s2, v21, v13
	v_lshl_or_b32 v23, v36, 16, v24
	s_delay_alu instid0(VALU_DEP_3)
	v_perm_b32 v22, v22, v22, 0x3020104
	s_and_b32 s2, vcc_lo, s2
.LBB6_41:
	s_wait_alu 0xfffe
	s_or_b32 exec_lo, exec_lo, s3
	v_or_b32_e32 v39, v19, v9
	v_lshrrev_b32_e32 v16, 24, v16
	v_lshrrev_b32_e32 v38, 8, v18
.LBB6_42:
	s_wait_alu 0xfffe
	s_and_saveexec_b32 s3, s8
; %bb.43:
	v_lshrrev_b32_e32 v17, 24, v22
	v_lshrrev_b32_e32 v38, 16, v22
	;; [unrolled: 1-line block ×3, first 2 shown]
	v_cndmask_b32_e64 v15, 0, 1, s2
	v_mov_b32_e32 v16, v23
; %bb.44:
	s_wait_alu 0xfffe
	s_or_b32 exec_lo, exec_lo, s3
	s_load_b64 s[14:15], s[0:1], 0x60
	s_and_not1_b32 vcc_lo, exec_lo, s18
	s_wait_alu 0xfffe
	s_cbranch_vccnz .LBB6_48
; %bb.45:
	v_perm_b32 v9, v15, v39, 0xc0c0004
	v_perm_b32 v15, v38, v17, 0xc0c0004
	v_cmp_gt_u32_e32 vcc_lo, s9, v20
	v_and_b32_e32 v17, 0xff, v36
	v_perm_b32 v16, v16, v37, 0xc0c0004
	v_add_nc_u32_e32 v18, 1, v20
	v_lshl_or_b32 v9, v15, 16, v9
	s_delay_alu instid0(VALU_DEP_4) | instskip(SKIP_1) | instid1(VALU_DEP_2)
	v_lshlrev_b32_e32 v17, 16, v17
	s_wait_alu 0xfffd
	v_cndmask_b32_e32 v15, 0, v9, vcc_lo
	v_cmp_gt_u32_e32 vcc_lo, s9, v18
	s_delay_alu instid0(VALU_DEP_3) | instskip(SKIP_3) | instid1(VALU_DEP_4)
	v_or_b32_e32 v16, v16, v17
	v_add_nc_u32_e32 v17, 2, v20
	v_add_nc_u32_e32 v18, 4, v20
	v_and_b32_e32 v15, 0xff, v15
	v_and_b32_e32 v19, 0xffff00, v16
	s_wait_alu 0xfffd
	s_delay_alu instid0(VALU_DEP_2) | instskip(SKIP_1) | instid1(VALU_DEP_2)
	v_cndmask_b32_e32 v15, v15, v9, vcc_lo
	v_cmp_gt_u32_e32 vcc_lo, s9, v17
	v_and_b32_e32 v15, 0xffff, v15
	s_wait_alu 0xfffd
	s_delay_alu instid0(VALU_DEP_1) | instskip(SKIP_2) | instid1(VALU_DEP_3)
	v_cndmask_b32_e32 v15, v15, v9, vcc_lo
	v_cmp_gt_u32_e32 vcc_lo, s9, v18
	v_add_nc_u32_e32 v18, 5, v20
	v_and_b32_e32 v15, 0xffffff, v15
	s_wait_alu 0xfffd
	v_cndmask_b32_e32 v17, v19, v16, vcc_lo
	v_add_nc_u32_e32 v19, 3, v20
	v_cmp_gt_u32_e64 s2, s9, v18
	s_delay_alu instid0(VALU_DEP_3) | instskip(NEXT) | instid1(VALU_DEP_3)
	v_and_b32_e32 v17, 0xffff00ff, v17
	v_cmp_gt_u32_e64 s3, s9, v19
	s_or_b32 vcc_lo, s2, vcc_lo
	v_cndmask_b32_e64 v16, v17, v16, s2
	v_cndmask_b32_e64 v15, v15, v9, s3
	s_mov_b32 s2, exec_lo
	s_delay_alu instid0(VALU_DEP_2) | instskip(SKIP_1) | instid1(VALU_DEP_2)
	v_lshrrev_b32_e32 v36, 16, v16
	s_wait_alu 0xfffe
	v_cndmask_b32_e32 v15, v15, v9, vcc_lo
	v_add_nc_u32_e32 v9, 6, v20
	v_lshrrev_b32_e32 v37, 8, v16
	s_delay_alu instid0(VALU_DEP_3)
	v_lshrrev_b64 v[17:18], 24, v[15:16]
	v_lshrrev_b32_e32 v38, 16, v15
	v_lshrrev_b32_e32 v39, 8, v15
	v_cmpx_le_u32_e64 s9, v9
; %bb.46:
	v_mov_b32_e32 v36, 0
; %bb.47:
	s_or_b32 exec_lo, exec_lo, s2
.LBB6_48:
	v_and_b32_e32 v27, 0xff, v15
	v_and_b32_e32 v29, 0xff, v39
	;; [unrolled: 1-line block ×6, first 2 shown]
	v_mbcnt_lo_u32_b32 v42, -1, 0
	v_add3_u32 v9, v29, v27, v31
	v_and_b32_e32 v41, 0xff, v37
	v_and_b32_e32 v18, 0xff, v36
	v_min_u32_e32 v19, 0x160, v19
	v_and_b32_e32 v20, 15, v42
	v_add3_u32 v9, v9, v33, v40
	v_lshrrev_b32_e32 v43, 5, v0
	s_and_b32 vcc_lo, exec_lo, s19
	s_mov_b32 s8, -1
	v_cmp_eq_u32_e64 s5, 0, v20
	v_add3_u32 v44, v9, v41, v18
	v_and_b32_e32 v9, 16, v42
	v_or_b32_e32 v18, 31, v19
	v_cmp_lt_u32_e64 s4, 1, v20
	v_cmp_lt_u32_e64 s3, 3, v20
	;; [unrolled: 1-line block ×3, first 2 shown]
	v_cmp_eq_u32_e64 s7, 0, v9
	v_cmp_eq_u32_e64 s6, v0, v18
	s_wait_loadcnt_dscnt 0x0
	s_barrier_signal -1
	s_barrier_wait -1
	global_inv scope:SCOPE_SE
                                        ; implicit-def: $vgpr20
                                        ; implicit-def: $vgpr22
                                        ; implicit-def: $vgpr24
                                        ; implicit-def: $vgpr26
                                        ; implicit-def: $vgpr28
                                        ; implicit-def: $vgpr30
                                        ; implicit-def: $vgpr32
                                        ; implicit-def: $vgpr9
                                        ; implicit-def: $vgpr18
	s_wait_alu 0xfffe
	s_cbranch_vccz .LBB6_74
; %bb.49:
	v_mov_b32_dpp v9, v44 row_shr:1 row_mask:0xf bank_mask:0xf
	s_wait_alu 0xf1ff
	s_delay_alu instid0(VALU_DEP_1) | instskip(NEXT) | instid1(VALU_DEP_1)
	v_cndmask_b32_e64 v9, v9, 0, s5
	v_add_nc_u32_e32 v9, v9, v44
	s_delay_alu instid0(VALU_DEP_1) | instskip(NEXT) | instid1(VALU_DEP_1)
	v_mov_b32_dpp v18, v9 row_shr:2 row_mask:0xf bank_mask:0xf
	v_cndmask_b32_e64 v18, 0, v18, s4
	s_delay_alu instid0(VALU_DEP_1) | instskip(NEXT) | instid1(VALU_DEP_1)
	v_add_nc_u32_e32 v9, v9, v18
	v_mov_b32_dpp v18, v9 row_shr:4 row_mask:0xf bank_mask:0xf
	s_delay_alu instid0(VALU_DEP_1) | instskip(NEXT) | instid1(VALU_DEP_1)
	v_cndmask_b32_e64 v18, 0, v18, s3
	v_add_nc_u32_e32 v9, v9, v18
	s_delay_alu instid0(VALU_DEP_1) | instskip(NEXT) | instid1(VALU_DEP_1)
	v_mov_b32_dpp v18, v9 row_shr:8 row_mask:0xf bank_mask:0xf
	v_cndmask_b32_e64 v18, 0, v18, s2
	s_delay_alu instid0(VALU_DEP_1) | instskip(SKIP_3) | instid1(VALU_DEP_1)
	v_add_nc_u32_e32 v9, v9, v18
	ds_swizzle_b32 v18, v9 offset:swizzle(BROADCAST,32,15)
	s_wait_dscnt 0x0
	v_cndmask_b32_e64 v18, v18, 0, s7
	v_add_nc_u32_e32 v18, v9, v18
	s_and_saveexec_b32 s8, s6
; %bb.50:
	v_lshlrev_b32_e32 v9, 2, v43
	ds_store_b32 v9, v18
; %bb.51:
	s_wait_alu 0xfffe
	s_or_b32 exec_lo, exec_lo, s8
	s_delay_alu instid0(SALU_CYCLE_1)
	s_mov_b32 s8, exec_lo
	s_wait_loadcnt_dscnt 0x0
	s_barrier_signal -1
	s_barrier_wait -1
	global_inv scope:SCOPE_SE
	v_cmpx_gt_u32_e32 12, v0
	s_cbranch_execz .LBB6_53
; %bb.52:
	v_lshlrev_b32_e32 v9, 2, v0
	ds_load_b32 v19, v9
	s_wait_dscnt 0x0
	v_mov_b32_dpp v20, v19 row_shr:1 row_mask:0xf bank_mask:0xf
	s_delay_alu instid0(VALU_DEP_1) | instskip(NEXT) | instid1(VALU_DEP_1)
	v_cndmask_b32_e64 v20, v20, 0, s5
	v_add_nc_u32_e32 v19, v20, v19
	s_delay_alu instid0(VALU_DEP_1) | instskip(NEXT) | instid1(VALU_DEP_1)
	v_mov_b32_dpp v20, v19 row_shr:2 row_mask:0xf bank_mask:0xf
	v_cndmask_b32_e64 v20, 0, v20, s4
	s_delay_alu instid0(VALU_DEP_1) | instskip(NEXT) | instid1(VALU_DEP_1)
	v_add_nc_u32_e32 v19, v19, v20
	v_mov_b32_dpp v20, v19 row_shr:4 row_mask:0xf bank_mask:0xf
	s_delay_alu instid0(VALU_DEP_1) | instskip(NEXT) | instid1(VALU_DEP_1)
	v_cndmask_b32_e64 v20, 0, v20, s3
	v_add_nc_u32_e32 v19, v19, v20
	s_delay_alu instid0(VALU_DEP_1) | instskip(NEXT) | instid1(VALU_DEP_1)
	v_mov_b32_dpp v20, v19 row_shr:8 row_mask:0xf bank_mask:0xf
	v_cndmask_b32_e64 v20, 0, v20, s2
	s_delay_alu instid0(VALU_DEP_1)
	v_add_nc_u32_e32 v19, v19, v20
	ds_store_b32 v9, v19
.LBB6_53:
	s_wait_alu 0xfffe
	s_or_b32 exec_lo, exec_lo, s8
	s_delay_alu instid0(SALU_CYCLE_1)
	s_mov_b32 s9, exec_lo
	v_cmp_gt_u32_e32 vcc_lo, 32, v0
	s_wait_loadcnt_dscnt 0x0
	s_barrier_signal -1
	s_barrier_wait -1
	global_inv scope:SCOPE_SE
                                        ; implicit-def: $vgpr9
	v_cmpx_lt_u32_e32 31, v0
	s_cbranch_execz .LBB6_55
; %bb.54:
	v_lshl_add_u32 v9, v43, 2, -4
	ds_load_b32 v9, v9
	s_wait_dscnt 0x0
	v_add_nc_u32_e32 v18, v9, v18
.LBB6_55:
	s_wait_alu 0xfffe
	s_or_b32 exec_lo, exec_lo, s9
	v_sub_co_u32 v19, s8, v42, 1
	s_delay_alu instid0(VALU_DEP_1) | instskip(SKIP_1) | instid1(VALU_DEP_1)
	v_cmp_gt_i32_e64 s9, 0, v19
	s_wait_alu 0xf1ff
	v_cndmask_b32_e64 v19, v19, v42, s9
	s_delay_alu instid0(VALU_DEP_1)
	v_lshlrev_b32_e32 v19, 2, v19
	ds_bpermute_b32 v26, v19, v18
	s_and_saveexec_b32 s9, vcc_lo
	s_cbranch_execz .LBB6_73
; %bb.56:
	v_mov_b32_e32 v22, 0
	ds_load_b32 v18, v22 offset:44
	s_and_saveexec_b32 s18, s8
	s_cbranch_execz .LBB6_58
; %bb.57:
	s_add_co_i32 s20, ttmp9, 32
	s_mov_b32 s21, 0
	v_mov_b32_e32 v19, 1
	s_lshl_b64 s[20:21], s[20:21], 3
	s_wait_kmcnt 0x0
	s_add_nc_u64 s[20:21], s[14:15], s[20:21]
	s_wait_dscnt 0x0
	global_store_b64 v22, v[18:19], s[20:21] scope:SCOPE_DEV
.LBB6_58:
	s_or_b32 exec_lo, exec_lo, s18
	v_xad_u32 v20, v42, -1, ttmp9
	s_mov_b32 s19, 0
	s_mov_b32 s18, exec_lo
	s_delay_alu instid0(VALU_DEP_1) | instskip(NEXT) | instid1(VALU_DEP_1)
	v_add_nc_u32_e32 v21, 32, v20
	v_lshlrev_b64_e32 v[21:22], 3, v[21:22]
	s_wait_kmcnt 0x0
	s_delay_alu instid0(VALU_DEP_1) | instskip(SKIP_1) | instid1(VALU_DEP_2)
	v_add_co_u32 v24, vcc_lo, s14, v21
	s_wait_alu 0xfffd
	v_add_co_ci_u32_e64 v25, null, s15, v22, vcc_lo
	global_load_b64 v[22:23], v[24:25], off scope:SCOPE_DEV
	s_wait_loadcnt 0x0
	v_and_b32_e32 v19, 0xff, v23
	s_delay_alu instid0(VALU_DEP_1)
	v_cmpx_eq_u16_e32 0, v19
	s_cbranch_execz .LBB6_61
.LBB6_59:                               ; =>This Inner Loop Header: Depth=1
	global_load_b64 v[22:23], v[24:25], off scope:SCOPE_DEV
	s_wait_loadcnt 0x0
	v_and_b32_e32 v19, 0xff, v23
	s_delay_alu instid0(VALU_DEP_1) | instskip(SKIP_1) | instid1(SALU_CYCLE_1)
	v_cmp_ne_u16_e32 vcc_lo, 0, v19
	s_or_b32 s19, vcc_lo, s19
	s_and_not1_b32 exec_lo, exec_lo, s19
	s_cbranch_execnz .LBB6_59
; %bb.60:
	s_or_b32 exec_lo, exec_lo, s19
.LBB6_61:
	s_delay_alu instid0(SALU_CYCLE_1)
	s_or_b32 exec_lo, exec_lo, s18
	v_cmp_ne_u32_e32 vcc_lo, 31, v42
	v_lshlrev_b32_e64 v30, v42, -1
	v_add_nc_u32_e32 v45, 2, v42
	v_add_nc_u32_e32 v47, 4, v42
	;; [unrolled: 1-line block ×3, first 2 shown]
	s_wait_alu 0xfffd
	v_add_co_ci_u32_e64 v19, null, 0, v42, vcc_lo
	v_lshl_or_b32 v50, v42, 2, 64
	v_add_nc_u32_e32 v51, 16, v42
	s_delay_alu instid0(VALU_DEP_3)
	v_lshlrev_b32_e32 v28, 2, v19
	v_and_b32_e32 v19, 0xff, v23
	ds_bpermute_b32 v21, v28, v22
	v_cmp_eq_u16_e32 vcc_lo, 2, v19
	s_wait_alu 0xfffd
	v_and_or_b32 v19, vcc_lo, v30, 0x80000000
	v_cmp_gt_u32_e32 vcc_lo, 30, v42
	s_delay_alu instid0(VALU_DEP_2) | instskip(SKIP_2) | instid1(VALU_DEP_2)
	v_ctz_i32_b32_e32 v19, v19
	s_wait_alu 0xfffd
	v_cndmask_b32_e64 v24, 0, 2, vcc_lo
	v_cmp_lt_u32_e32 vcc_lo, v42, v19
	s_delay_alu instid0(VALU_DEP_2) | instskip(SKIP_4) | instid1(VALU_DEP_2)
	v_add_lshl_u32 v32, v24, v42, 2
	s_wait_dscnt 0x0
	s_wait_alu 0xfffd
	v_cndmask_b32_e32 v21, 0, v21, vcc_lo
	v_cmp_gt_u32_e32 vcc_lo, 28, v42
	v_add_nc_u32_e32 v21, v21, v22
	s_wait_alu 0xfffd
	v_cndmask_b32_e64 v24, 0, 4, vcc_lo
	v_cmp_le_u32_e32 vcc_lo, v45, v19
	ds_bpermute_b32 v22, v32, v21
	v_add_lshl_u32 v46, v24, v42, 2
	s_wait_dscnt 0x0
	s_wait_alu 0xfffd
	v_cndmask_b32_e32 v22, 0, v22, vcc_lo
	v_cmp_gt_u32_e32 vcc_lo, 24, v42
	s_delay_alu instid0(VALU_DEP_2)
	v_add_nc_u32_e32 v21, v21, v22
	s_wait_alu 0xfffd
	v_cndmask_b32_e64 v24, 0, 8, vcc_lo
	v_cmp_le_u32_e32 vcc_lo, v47, v19
	ds_bpermute_b32 v22, v46, v21
	v_add_lshl_u32 v48, v24, v42, 2
	s_wait_dscnt 0x0
	s_wait_alu 0xfffd
	v_cndmask_b32_e32 v22, 0, v22, vcc_lo
	v_cmp_le_u32_e32 vcc_lo, v49, v19
	s_delay_alu instid0(VALU_DEP_2)
	v_add_nc_u32_e32 v21, v21, v22
	ds_bpermute_b32 v22, v48, v21
	s_wait_dscnt 0x0
	s_wait_alu 0xfffd
	v_cndmask_b32_e32 v22, 0, v22, vcc_lo
	v_cmp_le_u32_e32 vcc_lo, v51, v19
	s_delay_alu instid0(VALU_DEP_2) | instskip(SKIP_4) | instid1(VALU_DEP_1)
	v_add_nc_u32_e32 v21, v21, v22
	ds_bpermute_b32 v22, v50, v21
	s_wait_dscnt 0x0
	s_wait_alu 0xfffd
	v_cndmask_b32_e32 v19, 0, v22, vcc_lo
	v_dual_mov_b32 v21, 0 :: v_dual_add_nc_u32 v22, v21, v19
	s_branch .LBB6_64
.LBB6_62:                               ;   in Loop: Header=BB6_64 Depth=1
	s_or_b32 exec_lo, exec_lo, s18
	ds_bpermute_b32 v25, v28, v22
	v_and_b32_e32 v24, 0xff, v23
	v_subrev_nc_u32_e32 v20, 32, v20
	s_mov_b32 s18, 0
	s_delay_alu instid0(VALU_DEP_2) | instskip(SKIP_2) | instid1(VALU_DEP_1)
	v_cmp_eq_u16_e32 vcc_lo, 2, v24
	s_wait_alu 0xfffd
	v_and_or_b32 v24, vcc_lo, v30, 0x80000000
	v_ctz_i32_b32_e32 v24, v24
	s_delay_alu instid0(VALU_DEP_1) | instskip(SKIP_4) | instid1(VALU_DEP_2)
	v_cmp_lt_u32_e32 vcc_lo, v42, v24
	s_wait_dscnt 0x0
	s_wait_alu 0xfffd
	v_cndmask_b32_e32 v25, 0, v25, vcc_lo
	v_cmp_le_u32_e32 vcc_lo, v45, v24
	v_add_nc_u32_e32 v22, v25, v22
	ds_bpermute_b32 v25, v32, v22
	s_wait_dscnt 0x0
	s_wait_alu 0xfffd
	v_cndmask_b32_e32 v25, 0, v25, vcc_lo
	v_cmp_le_u32_e32 vcc_lo, v47, v24
	s_delay_alu instid0(VALU_DEP_2)
	v_add_nc_u32_e32 v22, v22, v25
	ds_bpermute_b32 v25, v46, v22
	s_wait_dscnt 0x0
	s_wait_alu 0xfffd
	v_cndmask_b32_e32 v25, 0, v25, vcc_lo
	v_cmp_le_u32_e32 vcc_lo, v49, v24
	s_delay_alu instid0(VALU_DEP_2)
	v_add_nc_u32_e32 v22, v22, v25
	ds_bpermute_b32 v25, v48, v22
	s_wait_dscnt 0x0
	s_wait_alu 0xfffd
	v_cndmask_b32_e32 v25, 0, v25, vcc_lo
	v_cmp_le_u32_e32 vcc_lo, v51, v24
	s_delay_alu instid0(VALU_DEP_2) | instskip(SKIP_4) | instid1(VALU_DEP_1)
	v_add_nc_u32_e32 v22, v22, v25
	ds_bpermute_b32 v25, v50, v22
	s_wait_dscnt 0x0
	s_wait_alu 0xfffd
	v_cndmask_b32_e32 v24, 0, v25, vcc_lo
	v_add3_u32 v22, v24, v19, v22
.LBB6_63:                               ;   in Loop: Header=BB6_64 Depth=1
	s_and_b32 vcc_lo, exec_lo, s18
	s_wait_alu 0xfffe
	s_cbranch_vccnz .LBB6_69
.LBB6_64:                               ; =>This Loop Header: Depth=1
                                        ;     Child Loop BB6_67 Depth 2
	v_and_b32_e32 v19, 0xff, v23
	s_mov_b32 s18, -1
                                        ; implicit-def: $vgpr23
	s_delay_alu instid0(VALU_DEP_1)
	v_cmp_ne_u16_e32 vcc_lo, 2, v19
	v_mov_b32_e32 v19, v22
                                        ; implicit-def: $vgpr22
	s_cmp_lg_u32 vcc_lo, exec_lo
	s_cbranch_scc1 .LBB6_63
; %bb.65:                               ;   in Loop: Header=BB6_64 Depth=1
	v_lshlrev_b64_e32 v[22:23], 3, v[20:21]
	s_mov_b32 s18, exec_lo
	s_delay_alu instid0(VALU_DEP_1) | instskip(SKIP_1) | instid1(VALU_DEP_2)
	v_add_co_u32 v24, vcc_lo, s14, v22
	s_wait_alu 0xfffd
	v_add_co_ci_u32_e64 v25, null, s15, v23, vcc_lo
	global_load_b64 v[22:23], v[24:25], off scope:SCOPE_DEV
	s_wait_loadcnt 0x0
	v_and_b32_e32 v52, 0xff, v23
	s_delay_alu instid0(VALU_DEP_1)
	v_cmpx_eq_u16_e32 0, v52
	s_cbranch_execz .LBB6_62
; %bb.66:                               ;   in Loop: Header=BB6_64 Depth=1
	s_mov_b32 s19, 0
.LBB6_67:                               ;   Parent Loop BB6_64 Depth=1
                                        ; =>  This Inner Loop Header: Depth=2
	global_load_b64 v[22:23], v[24:25], off scope:SCOPE_DEV
	s_wait_loadcnt 0x0
	v_and_b32_e32 v52, 0xff, v23
	s_delay_alu instid0(VALU_DEP_1) | instskip(SKIP_1) | instid1(SALU_CYCLE_1)
	v_cmp_ne_u16_e32 vcc_lo, 0, v52
	s_or_b32 s19, vcc_lo, s19
	s_and_not1_b32 exec_lo, exec_lo, s19
	s_cbranch_execnz .LBB6_67
; %bb.68:                               ;   in Loop: Header=BB6_64 Depth=1
	s_or_b32 exec_lo, exec_lo, s19
	s_branch .LBB6_62
.LBB6_69:
	s_and_saveexec_b32 s18, s8
	s_cbranch_execz .LBB6_71
; %bb.70:
	s_add_co_i32 s20, ttmp9, 32
	s_mov_b32 s21, 0
	v_dual_mov_b32 v21, 2 :: v_dual_add_nc_u32 v20, v19, v18
	v_mov_b32_e32 v22, 0
	s_lshl_b64 s[20:21], s[20:21], 3
	s_delay_alu instid0(SALU_CYCLE_1)
	s_add_nc_u64 s[20:21], s[14:15], s[20:21]
	global_store_b64 v22, v[20:21], s[20:21] scope:SCOPE_DEV
	ds_store_b64 v22, v[18:19] offset:10752
.LBB6_71:
	s_or_b32 exec_lo, exec_lo, s18
	v_cmp_eq_u32_e32 vcc_lo, 0, v0
	s_and_b32 exec_lo, exec_lo, vcc_lo
; %bb.72:
	v_mov_b32_e32 v18, 0
	ds_store_b32 v18, v19 offset:44
.LBB6_73:
	s_wait_alu 0xfffe
	s_or_b32 exec_lo, exec_lo, s9
	s_wait_dscnt 0x0
	v_cndmask_b32_e64 v9, v26, v9, s8
	v_cmp_ne_u32_e32 vcc_lo, 0, v0
	v_mov_b32_e32 v18, 0
	s_wait_loadcnt 0x0
	s_wait_storecnt 0x0
	s_barrier_signal -1
	s_barrier_wait -1
	global_inv scope:SCOPE_SE
	s_wait_alu 0xfffd
	v_cndmask_b32_e32 v9, 0, v9, vcc_lo
	ds_load_b32 v19, v18 offset:44
	s_wait_loadcnt_dscnt 0x0
	s_barrier_signal -1
	s_barrier_wait -1
	global_inv scope:SCOPE_SE
	s_mov_b32 s8, 0
	v_add_nc_u32_e32 v32, v19, v9
	ds_load_b64 v[18:19], v18 offset:10752
	s_wait_dscnt 0x0
	v_dual_mov_b32 v9, v19 :: v_dual_add_nc_u32 v30, v32, v27
	s_delay_alu instid0(VALU_DEP_1) | instskip(NEXT) | instid1(VALU_DEP_1)
	v_add_nc_u32_e32 v28, v30, v29
	v_add_nc_u32_e32 v26, v28, v31
	s_delay_alu instid0(VALU_DEP_1) | instskip(NEXT) | instid1(VALU_DEP_1)
	v_add_nc_u32_e32 v24, v26, v33
	v_add_nc_u32_e32 v22, v24, v40
	s_delay_alu instid0(VALU_DEP_1)
	v_add_nc_u32_e32 v20, v22, v41
.LBB6_74:
	s_wait_alu 0xfffe
	s_and_b32 vcc_lo, exec_lo, s8
	s_wait_alu 0xfffe
	s_cbranch_vccz .LBB6_84
; %bb.75:
	v_mov_b32_dpp v9, v44 row_shr:1 row_mask:0xf bank_mask:0xf
	s_delay_alu instid0(VALU_DEP_1) | instskip(NEXT) | instid1(VALU_DEP_1)
	v_cndmask_b32_e64 v9, v9, 0, s5
	v_add_nc_u32_e32 v9, v9, v44
	s_delay_alu instid0(VALU_DEP_1) | instskip(NEXT) | instid1(VALU_DEP_1)
	v_mov_b32_dpp v18, v9 row_shr:2 row_mask:0xf bank_mask:0xf
	v_cndmask_b32_e64 v18, 0, v18, s4
	s_delay_alu instid0(VALU_DEP_1) | instskip(NEXT) | instid1(VALU_DEP_1)
	v_add_nc_u32_e32 v9, v9, v18
	v_mov_b32_dpp v18, v9 row_shr:4 row_mask:0xf bank_mask:0xf
	s_delay_alu instid0(VALU_DEP_1) | instskip(NEXT) | instid1(VALU_DEP_1)
	v_cndmask_b32_e64 v18, 0, v18, s3
	v_add_nc_u32_e32 v9, v9, v18
	s_delay_alu instid0(VALU_DEP_1) | instskip(NEXT) | instid1(VALU_DEP_1)
	v_mov_b32_dpp v18, v9 row_shr:8 row_mask:0xf bank_mask:0xf
	v_cndmask_b32_e64 v18, 0, v18, s2
	s_delay_alu instid0(VALU_DEP_1) | instskip(SKIP_3) | instid1(VALU_DEP_1)
	v_add_nc_u32_e32 v9, v9, v18
	ds_swizzle_b32 v18, v9 offset:swizzle(BROADCAST,32,15)
	s_wait_dscnt 0x0
	v_cndmask_b32_e64 v18, v18, 0, s7
	v_add_nc_u32_e32 v9, v9, v18
	s_and_saveexec_b32 s7, s6
; %bb.76:
	v_lshlrev_b32_e32 v18, 2, v43
	ds_store_b32 v18, v9
; %bb.77:
	s_wait_alu 0xfffe
	s_or_b32 exec_lo, exec_lo, s7
	s_delay_alu instid0(SALU_CYCLE_1)
	s_mov_b32 s6, exec_lo
	s_wait_loadcnt_dscnt 0x0
	s_barrier_signal -1
	s_barrier_wait -1
	global_inv scope:SCOPE_SE
	v_cmpx_gt_u32_e32 12, v0
	s_cbranch_execz .LBB6_79
; %bb.78:
	v_lshlrev_b32_e32 v18, 2, v0
	ds_load_b32 v19, v18
	s_wait_dscnt 0x0
	v_mov_b32_dpp v20, v19 row_shr:1 row_mask:0xf bank_mask:0xf
	s_delay_alu instid0(VALU_DEP_1) | instskip(NEXT) | instid1(VALU_DEP_1)
	v_cndmask_b32_e64 v20, v20, 0, s5
	v_add_nc_u32_e32 v19, v20, v19
	s_delay_alu instid0(VALU_DEP_1) | instskip(NEXT) | instid1(VALU_DEP_1)
	v_mov_b32_dpp v20, v19 row_shr:2 row_mask:0xf bank_mask:0xf
	v_cndmask_b32_e64 v20, 0, v20, s4
	s_delay_alu instid0(VALU_DEP_1) | instskip(NEXT) | instid1(VALU_DEP_1)
	v_add_nc_u32_e32 v19, v19, v20
	v_mov_b32_dpp v20, v19 row_shr:4 row_mask:0xf bank_mask:0xf
	s_delay_alu instid0(VALU_DEP_1) | instskip(NEXT) | instid1(VALU_DEP_1)
	v_cndmask_b32_e64 v20, 0, v20, s3
	v_add_nc_u32_e32 v19, v19, v20
	s_delay_alu instid0(VALU_DEP_1) | instskip(NEXT) | instid1(VALU_DEP_1)
	v_mov_b32_dpp v20, v19 row_shr:8 row_mask:0xf bank_mask:0xf
	v_cndmask_b32_e64 v20, 0, v20, s2
	s_delay_alu instid0(VALU_DEP_1)
	v_add_nc_u32_e32 v19, v19, v20
	ds_store_b32 v18, v19
.LBB6_79:
	s_wait_alu 0xfffe
	s_or_b32 exec_lo, exec_lo, s6
	v_mov_b32_e32 v18, 0
	v_mov_b32_e32 v20, 0
	s_mov_b32 s2, exec_lo
	s_wait_loadcnt_dscnt 0x0
	s_barrier_signal -1
	s_barrier_wait -1
	global_inv scope:SCOPE_SE
	v_cmpx_lt_u32_e32 31, v0
; %bb.80:
	v_lshl_add_u32 v19, v43, 2, -4
	ds_load_b32 v20, v19
; %bb.81:
	s_wait_alu 0xfffe
	s_or_b32 exec_lo, exec_lo, s2
	v_sub_co_u32 v19, vcc_lo, v42, 1
	s_wait_dscnt 0x0
	v_add_nc_u32_e32 v9, v20, v9
	ds_load_b32 v18, v18 offset:44
	v_cmp_gt_i32_e64 s2, 0, v19
	s_wait_alu 0xf1ff
	s_delay_alu instid0(VALU_DEP_1) | instskip(SKIP_1) | instid1(VALU_DEP_2)
	v_cndmask_b32_e64 v19, v19, v42, s2
	v_cmp_eq_u32_e64 s2, 0, v0
	v_lshlrev_b32_e32 v19, 2, v19
	ds_bpermute_b32 v9, v19, v9
	s_and_saveexec_b32 s3, s2
	s_cbranch_execz .LBB6_83
; %bb.82:
	v_mov_b32_e32 v21, 0
	v_mov_b32_e32 v19, 2
	s_wait_dscnt 0x1
	s_wait_kmcnt 0x0
	global_store_b64 v21, v[18:19], s[14:15] offset:256 scope:SCOPE_DEV
.LBB6_83:
	s_wait_alu 0xfffe
	s_or_b32 exec_lo, exec_lo, s3
	s_wait_dscnt 0x0
	s_wait_alu 0xfffd
	v_cndmask_b32_e32 v9, v9, v20, vcc_lo
	s_wait_loadcnt 0x0
	s_wait_storecnt 0x0
	s_barrier_signal -1
	s_barrier_wait -1
	global_inv scope:SCOPE_SE
	v_cndmask_b32_e64 v32, v9, 0, s2
	s_delay_alu instid0(VALU_DEP_1) | instskip(NEXT) | instid1(VALU_DEP_1)
	v_dual_mov_b32 v9, 0 :: v_dual_add_nc_u32 v30, v32, v27
	v_add_nc_u32_e32 v28, v30, v29
	s_delay_alu instid0(VALU_DEP_1) | instskip(NEXT) | instid1(VALU_DEP_1)
	v_add_nc_u32_e32 v26, v28, v31
	v_add_nc_u32_e32 v24, v26, v33
	s_delay_alu instid0(VALU_DEP_1) | instskip(NEXT) | instid1(VALU_DEP_1)
	v_add_nc_u32_e32 v22, v24, v40
	v_add_nc_u32_e32 v20, v22, v41
.LBB6_84:
	s_load_b128 s[4:7], s[0:1], 0x28
	v_add_nc_u32_e32 v19, v9, v18
	v_and_b32_e32 v15, 1, v15
	v_cmp_gt_u32_e64 s0, 0x181, v18
	s_mov_b32 s3, -1
	v_cmp_lt_u32_e64 s2, v32, v19
	v_cmp_eq_u32_e64 s1, 1, v15
	s_and_b32 vcc_lo, exec_lo, s0
	s_wait_alu 0xfffe
	s_cbranch_vccz .LBB6_100
; %bb.85:
	s_lshl_b64 s[8:9], s[10:11], 2
	s_wait_kmcnt 0x0
	s_or_b32 s14, s17, s2
	s_wait_alu 0xfffe
	s_add_nc_u64 s[2:3], s[4:5], s[8:9]
	s_and_b32 s8, s14, s1
	s_wait_alu 0xfffe
	s_and_saveexec_b32 s1, s8
	s_cbranch_execz .LBB6_87
; %bb.86:
	v_mov_b32_e32 v33, 0
	s_delay_alu instid0(VALU_DEP_1) | instskip(NEXT) | instid1(VALU_DEP_1)
	v_lshlrev_b64_e32 v[40:41], 2, v[32:33]
	v_add_co_u32 v40, vcc_lo, s2, v40
	s_wait_alu 0xfffd
	s_delay_alu instid0(VALU_DEP_2)
	v_add_co_ci_u32_e64 v41, null, s3, v41, vcc_lo
	global_store_b32 v[40:41], v13, off
.LBB6_87:
	s_wait_alu 0xfffe
	s_or_b32 exec_lo, exec_lo, s1
	v_and_b32_e32 v21, 1, v39
	v_cmp_lt_u32_e32 vcc_lo, v30, v19
	s_delay_alu instid0(VALU_DEP_2)
	v_cmp_eq_u32_e64 s1, 1, v21
	s_or_b32 s8, s17, vcc_lo
	s_wait_alu 0xfffe
	s_and_b32 s8, s8, s1
	s_wait_alu 0xfffe
	s_and_saveexec_b32 s1, s8
	s_cbranch_execz .LBB6_89
; %bb.88:
	v_mov_b32_e32 v31, 0
	s_delay_alu instid0(VALU_DEP_1) | instskip(NEXT) | instid1(VALU_DEP_1)
	v_lshlrev_b64_e32 v[40:41], 2, v[30:31]
	v_add_co_u32 v40, vcc_lo, s2, v40
	s_wait_alu 0xfffd
	s_delay_alu instid0(VALU_DEP_2)
	v_add_co_ci_u32_e64 v41, null, s3, v41, vcc_lo
	global_store_b32 v[40:41], v14, off
.LBB6_89:
	s_wait_alu 0xfffe
	s_or_b32 exec_lo, exec_lo, s1
	v_and_b32_e32 v21, 1, v38
	v_cmp_lt_u32_e32 vcc_lo, v28, v19
	s_delay_alu instid0(VALU_DEP_2)
	v_cmp_eq_u32_e64 s1, 1, v21
	s_or_b32 s8, s17, vcc_lo
	s_wait_alu 0xfffe
	;; [unrolled: 22-line block ×6, first 2 shown]
	s_and_b32 s8, s8, s1
	s_wait_alu 0xfffe
	s_and_saveexec_b32 s1, s8
	s_cbranch_execz .LBB6_99
; %bb.98:
	v_mov_b32_e32 v21, 0
	s_delay_alu instid0(VALU_DEP_1) | instskip(NEXT) | instid1(VALU_DEP_1)
	v_lshlrev_b64_e32 v[40:41], 2, v[20:21]
	v_add_co_u32 v40, vcc_lo, s2, v40
	s_wait_alu 0xfffd
	s_delay_alu instid0(VALU_DEP_2)
	v_add_co_ci_u32_e64 v41, null, s3, v41, vcc_lo
	global_store_b32 v[40:41], v8, off
.LBB6_99:
	s_wait_alu 0xfffe
	s_or_b32 exec_lo, exec_lo, s1
	s_mov_b32 s3, 0
.LBB6_100:
	s_wait_alu 0xfffe
	s_and_b32 vcc_lo, exec_lo, s3
	s_wait_alu 0xfffe
	s_cbranch_vccz .LBB6_118
; %bb.101:
	s_mov_b32 s1, exec_lo
	v_cmpx_eq_u32_e32 1, v15
; %bb.102:
	v_sub_nc_u32_e32 v21, v32, v9
	s_delay_alu instid0(VALU_DEP_1)
	v_lshlrev_b32_e32 v21, 2, v21
	ds_store_b32 v21, v13
; %bb.103:
	s_wait_alu 0xfffe
	s_or_b32 exec_lo, exec_lo, s1
	v_and_b32_e32 v13, 1, v39
	s_mov_b32 s1, exec_lo
	s_delay_alu instid0(VALU_DEP_1)
	v_cmpx_eq_u32_e32 1, v13
; %bb.104:
	v_sub_nc_u32_e32 v13, v30, v9
	s_delay_alu instid0(VALU_DEP_1)
	v_lshlrev_b32_e32 v13, 2, v13
	ds_store_b32 v13, v14
; %bb.105:
	s_wait_alu 0xfffe
	s_or_b32 exec_lo, exec_lo, s1
	v_and_b32_e32 v13, 1, v38
	s_mov_b32 s1, exec_lo
	s_delay_alu instid0(VALU_DEP_1)
	;; [unrolled: 12-line block ×6, first 2 shown]
	v_cmpx_eq_u32_e32 1, v7
; %bb.114:
	v_sub_nc_u32_e32 v7, v20, v9
	s_delay_alu instid0(VALU_DEP_1)
	v_lshlrev_b32_e32 v7, 2, v7
	ds_store_b32 v7, v8
; %bb.115:
	s_wait_alu 0xfffe
	s_or_b32 exec_lo, exec_lo, s1
	v_dual_mov_b32 v8, 0 :: v_dual_mov_b32 v7, v0
	s_lshl_b64 s[2:3], s[10:11], 2
	s_wait_storecnt 0x0
	s_wait_loadcnt_dscnt 0x0
	s_wait_kmcnt 0x0
	s_wait_alu 0xfffe
	s_add_nc_u64 s[2:3], s[4:5], s[2:3]
	v_mov_b32_e32 v10, v8
	s_barrier_signal -1
	s_barrier_wait -1
	global_inv scope:SCOPE_SE
	v_lshlrev_b64_e32 v[11:12], 2, v[9:10]
	v_lshlrev_b32_e32 v10, 2, v0
	s_wait_alu 0xfffe
	s_delay_alu instid0(VALU_DEP_2) | instskip(SKIP_1) | instid1(VALU_DEP_3)
	v_add_co_u32 v11, vcc_lo, s2, v11
	s_wait_alu 0xfffd
	v_add_co_ci_u32_e64 v12, null, s3, v12, vcc_lo
	s_mov_b32 s2, 0
.LBB6_116:                              ; =>This Inner Loop Header: Depth=1
	ds_load_b32 v21, v10
	v_lshlrev_b64_e32 v[13:14], 2, v[7:8]
	v_add_nc_u32_e32 v7, 0x180, v7
	v_add_nc_u32_e32 v10, 0x600, v10
	s_delay_alu instid0(VALU_DEP_2) | instskip(NEXT) | instid1(VALU_DEP_4)
	v_cmp_ge_u32_e32 vcc_lo, v7, v18
	v_add_co_u32 v13, s1, v11, v13
	s_wait_alu 0xf1ff
	v_add_co_ci_u32_e64 v14, null, v12, v14, s1
	s_wait_alu 0xfffe
	s_or_b32 s2, vcc_lo, s2
	s_wait_dscnt 0x0
	global_store_b32 v[13:14], v21, off
	s_wait_alu 0xfffe
	s_and_not1_b32 exec_lo, exec_lo, s2
	s_cbranch_execnz .LBB6_116
; %bb.117:
	s_or_b32 exec_lo, exec_lo, s2
.LBB6_118:
	s_delay_alu instid0(SALU_CYCLE_1)
	s_and_b32 vcc_lo, exec_lo, s0
	s_mov_b32 s0, -1
	s_wait_loadcnt 0x0
	s_wait_storecnt 0x0
	s_barrier_signal -1
	s_barrier_wait -1
	global_inv scope:SCOPE_SE
	s_wait_alu 0xfffe
	s_cbranch_vccnz .LBB6_122
; %bb.119:
	s_and_b32 vcc_lo, exec_lo, s0
	s_wait_alu 0xfffe
	s_cbranch_vccnz .LBB6_137
.LBB6_120:
	v_cmp_eq_u32_e32 vcc_lo, 0, v0
	s_and_b32 s0, vcc_lo, s16
	s_wait_alu 0xfffe
	s_and_saveexec_b32 s1, s0
	s_cbranch_execnz .LBB6_154
.LBB6_121:
	s_endpgm
.LBB6_122:
	v_cmp_lt_u32_e32 vcc_lo, v32, v19
	v_cmp_eq_u32_e64 s0, 1, v15
	s_lshl_b64 s[2:3], s[10:11], 2
	s_wait_kmcnt 0x0
	s_wait_alu 0xfffe
	s_add_nc_u64 s[2:3], s[6:7], s[2:3]
	s_or_b32 s1, s17, vcc_lo
	s_wait_alu 0xfffe
	s_and_b32 s1, s1, s0
	s_wait_alu 0xfffe
	s_and_saveexec_b32 s0, s1
	s_cbranch_execz .LBB6_124
; %bb.123:
	v_mov_b32_e32 v33, 0
	s_delay_alu instid0(VALU_DEP_1) | instskip(NEXT) | instid1(VALU_DEP_1)
	v_lshlrev_b64_e32 v[7:8], 2, v[32:33]
	v_add_co_u32 v7, vcc_lo, s2, v7
	s_wait_alu 0xfffd
	s_delay_alu instid0(VALU_DEP_2)
	v_add_co_ci_u32_e64 v8, null, s3, v8, vcc_lo
	global_store_b32 v[7:8], v5, off
.LBB6_124:
	s_wait_alu 0xfffe
	s_or_b32 exec_lo, exec_lo, s0
	v_and_b32_e32 v7, 1, v39
	v_cmp_lt_u32_e32 vcc_lo, v30, v19
	s_delay_alu instid0(VALU_DEP_2)
	v_cmp_eq_u32_e64 s0, 1, v7
	s_or_b32 s1, s17, vcc_lo
	s_wait_alu 0xfffe
	s_and_b32 s1, s1, s0
	s_wait_alu 0xfffe
	s_and_saveexec_b32 s0, s1
	s_cbranch_execz .LBB6_126
; %bb.125:
	v_mov_b32_e32 v31, 0
	s_delay_alu instid0(VALU_DEP_1) | instskip(NEXT) | instid1(VALU_DEP_1)
	v_lshlrev_b64_e32 v[7:8], 2, v[30:31]
	v_add_co_u32 v7, vcc_lo, s2, v7
	s_wait_alu 0xfffd
	s_delay_alu instid0(VALU_DEP_2)
	v_add_co_ci_u32_e64 v8, null, s3, v8, vcc_lo
	global_store_b32 v[7:8], v6, off
.LBB6_126:
	s_wait_alu 0xfffe
	s_or_b32 exec_lo, exec_lo, s0
	v_and_b32_e32 v7, 1, v38
	v_cmp_lt_u32_e32 vcc_lo, v28, v19
	s_delay_alu instid0(VALU_DEP_2)
	v_cmp_eq_u32_e64 s0, 1, v7
	;; [unrolled: 22-line block ×6, first 2 shown]
	s_or_b32 s1, s17, vcc_lo
	s_wait_alu 0xfffe
	s_and_b32 s1, s1, s0
	s_wait_alu 0xfffe
	s_and_saveexec_b32 s0, s1
	s_cbranch_execz .LBB6_136
; %bb.135:
	v_mov_b32_e32 v21, 0
	s_delay_alu instid0(VALU_DEP_1) | instskip(NEXT) | instid1(VALU_DEP_1)
	v_lshlrev_b64_e32 v[7:8], 2, v[20:21]
	v_add_co_u32 v7, vcc_lo, s2, v7
	s_wait_alu 0xfffd
	s_delay_alu instid0(VALU_DEP_2)
	v_add_co_ci_u32_e64 v8, null, s3, v8, vcc_lo
	global_store_b32 v[7:8], v35, off
.LBB6_136:
	s_wait_alu 0xfffe
	s_or_b32 exec_lo, exec_lo, s0
	s_branch .LBB6_120
.LBB6_137:
	s_mov_b32 s0, exec_lo
	v_cmpx_eq_u32_e32 1, v15
; %bb.138:
	v_sub_nc_u32_e32 v7, v32, v9
	s_delay_alu instid0(VALU_DEP_1)
	v_lshlrev_b32_e32 v7, 2, v7
	ds_store_b32 v7, v5
; %bb.139:
	s_wait_alu 0xfffe
	s_or_b32 exec_lo, exec_lo, s0
	v_and_b32_e32 v5, 1, v39
	s_mov_b32 s0, exec_lo
	s_delay_alu instid0(VALU_DEP_1)
	v_cmpx_eq_u32_e32 1, v5
; %bb.140:
	v_sub_nc_u32_e32 v5, v30, v9
	s_delay_alu instid0(VALU_DEP_1)
	v_lshlrev_b32_e32 v5, 2, v5
	ds_store_b32 v5, v6
; %bb.141:
	s_wait_alu 0xfffe
	s_or_b32 exec_lo, exec_lo, s0
	v_and_b32_e32 v5, 1, v38
	s_mov_b32 s0, exec_lo
	s_delay_alu instid0(VALU_DEP_1)
	;; [unrolled: 12-line block ×6, first 2 shown]
	v_cmpx_eq_u32_e32 1, v1
; %bb.150:
	v_sub_nc_u32_e32 v1, v20, v9
	s_delay_alu instid0(VALU_DEP_1)
	v_lshlrev_b32_e32 v1, 2, v1
	ds_store_b32 v1, v35
; %bb.151:
	s_wait_alu 0xfffe
	s_or_b32 exec_lo, exec_lo, s0
	v_dual_mov_b32 v2, 0 :: v_dual_mov_b32 v1, v0
	s_lshl_b64 s[0:1], s[10:11], 2
	s_wait_storecnt 0x0
	s_wait_loadcnt_dscnt 0x0
	s_wait_kmcnt 0x0
	s_wait_alu 0xfffe
	s_add_nc_u64 s[0:1], s[6:7], s[0:1]
	v_mov_b32_e32 v10, v2
	s_barrier_signal -1
	s_barrier_wait -1
	global_inv scope:SCOPE_SE
	v_lshlrev_b64_e32 v[3:4], 2, v[9:10]
	s_wait_alu 0xfffe
	s_delay_alu instid0(VALU_DEP_1) | instskip(SKIP_1) | instid1(VALU_DEP_2)
	v_add_co_u32 v3, vcc_lo, s0, v3
	s_wait_alu 0xfffd
	v_add_co_ci_u32_e64 v4, null, s1, v4, vcc_lo
	s_mov_b32 s1, 0
.LBB6_152:                              ; =>This Inner Loop Header: Depth=1
	ds_load_b32 v7, v34
	v_lshlrev_b64_e32 v[5:6], 2, v[1:2]
	v_add_nc_u32_e32 v1, 0x180, v1
	v_add_nc_u32_e32 v34, 0x600, v34
	s_delay_alu instid0(VALU_DEP_2) | instskip(NEXT) | instid1(VALU_DEP_4)
	v_cmp_ge_u32_e32 vcc_lo, v1, v18
	v_add_co_u32 v5, s0, v3, v5
	s_wait_alu 0xf1ff
	v_add_co_ci_u32_e64 v6, null, v4, v6, s0
	s_wait_alu 0xfffe
	s_or_b32 s1, vcc_lo, s1
	s_wait_dscnt 0x0
	global_store_b32 v[5:6], v7, off
	s_wait_alu 0xfffe
	s_and_not1_b32 exec_lo, exec_lo, s1
	s_cbranch_execnz .LBB6_152
; %bb.153:
	s_or_b32 exec_lo, exec_lo, s1
	v_cmp_eq_u32_e32 vcc_lo, 0, v0
	s_and_b32 s0, vcc_lo, s16
	s_wait_alu 0xfffe
	s_and_saveexec_b32 s1, s0
	s_cbranch_execz .LBB6_121
.LBB6_154:
	v_add_co_u32 v0, s0, s10, v18
	s_wait_alu 0xf1ff
	v_add_co_ci_u32_e64 v1, null, s11, 0, s0
	v_mov_b32_e32 v2, 0
	s_delay_alu instid0(VALU_DEP_3) | instskip(SKIP_1) | instid1(VALU_DEP_3)
	v_add_co_u32 v0, vcc_lo, v0, v9
	s_wait_alu 0xfffd
	v_add_co_ci_u32_e64 v1, null, 0, v1, vcc_lo
	global_store_b64 v2, v[0:1], s[12:13]
	s_endpgm
	.section	.rodata,"a",@progbits
	.p2align	6, 0x0
	.amdhsa_kernel _ZN7rocprim17ROCPRIM_400000_NS6detail17trampoline_kernelINS0_14default_configENS1_25partition_config_selectorILNS1_17partition_subalgoE9EiibEEZZNS1_14partition_implILS5_9ELb0ES3_jPKiN6thrust23THRUST_200600_302600_NS17counting_iteratorIiNSB_11use_defaultESD_SD_EEPNS0_10empty_typeENS0_5tupleIJPiSF_EEENSH_IJSI_SG_EEENS0_18inequality_wrapperIN6hipcub16HIPCUB_304000_NS8EqualityEEEPlJSF_EEE10hipError_tPvRmT3_T4_T5_T6_T7_T9_mT8_P12ihipStream_tbDpT10_ENKUlT_T0_E_clISt17integral_constantIbLb0EES1A_EEDaS15_S16_EUlS15_E_NS1_11comp_targetILNS1_3genE10ELNS1_11target_archE1200ELNS1_3gpuE4ELNS1_3repE0EEENS1_30default_config_static_selectorELNS0_4arch9wavefront6targetE0EEEvT1_
		.amdhsa_group_segment_fixed_size 10760
		.amdhsa_private_segment_fixed_size 0
		.amdhsa_kernarg_size 112
		.amdhsa_user_sgpr_count 2
		.amdhsa_user_sgpr_dispatch_ptr 0
		.amdhsa_user_sgpr_queue_ptr 0
		.amdhsa_user_sgpr_kernarg_segment_ptr 1
		.amdhsa_user_sgpr_dispatch_id 0
		.amdhsa_user_sgpr_private_segment_size 0
		.amdhsa_wavefront_size32 1
		.amdhsa_uses_dynamic_stack 0
		.amdhsa_enable_private_segment 0
		.amdhsa_system_sgpr_workgroup_id_x 1
		.amdhsa_system_sgpr_workgroup_id_y 0
		.amdhsa_system_sgpr_workgroup_id_z 0
		.amdhsa_system_sgpr_workgroup_info 0
		.amdhsa_system_vgpr_workitem_id 0
		.amdhsa_next_free_vgpr 53
		.amdhsa_next_free_sgpr 22
		.amdhsa_reserve_vcc 1
		.amdhsa_float_round_mode_32 0
		.amdhsa_float_round_mode_16_64 0
		.amdhsa_float_denorm_mode_32 3
		.amdhsa_float_denorm_mode_16_64 3
		.amdhsa_fp16_overflow 0
		.amdhsa_workgroup_processor_mode 1
		.amdhsa_memory_ordered 1
		.amdhsa_forward_progress 1
		.amdhsa_inst_pref_size 63
		.amdhsa_round_robin_scheduling 0
		.amdhsa_exception_fp_ieee_invalid_op 0
		.amdhsa_exception_fp_denorm_src 0
		.amdhsa_exception_fp_ieee_div_zero 0
		.amdhsa_exception_fp_ieee_overflow 0
		.amdhsa_exception_fp_ieee_underflow 0
		.amdhsa_exception_fp_ieee_inexact 0
		.amdhsa_exception_int_div_zero 0
	.end_amdhsa_kernel
	.section	.text._ZN7rocprim17ROCPRIM_400000_NS6detail17trampoline_kernelINS0_14default_configENS1_25partition_config_selectorILNS1_17partition_subalgoE9EiibEEZZNS1_14partition_implILS5_9ELb0ES3_jPKiN6thrust23THRUST_200600_302600_NS17counting_iteratorIiNSB_11use_defaultESD_SD_EEPNS0_10empty_typeENS0_5tupleIJPiSF_EEENSH_IJSI_SG_EEENS0_18inequality_wrapperIN6hipcub16HIPCUB_304000_NS8EqualityEEEPlJSF_EEE10hipError_tPvRmT3_T4_T5_T6_T7_T9_mT8_P12ihipStream_tbDpT10_ENKUlT_T0_E_clISt17integral_constantIbLb0EES1A_EEDaS15_S16_EUlS15_E_NS1_11comp_targetILNS1_3genE10ELNS1_11target_archE1200ELNS1_3gpuE4ELNS1_3repE0EEENS1_30default_config_static_selectorELNS0_4arch9wavefront6targetE0EEEvT1_,"axG",@progbits,_ZN7rocprim17ROCPRIM_400000_NS6detail17trampoline_kernelINS0_14default_configENS1_25partition_config_selectorILNS1_17partition_subalgoE9EiibEEZZNS1_14partition_implILS5_9ELb0ES3_jPKiN6thrust23THRUST_200600_302600_NS17counting_iteratorIiNSB_11use_defaultESD_SD_EEPNS0_10empty_typeENS0_5tupleIJPiSF_EEENSH_IJSI_SG_EEENS0_18inequality_wrapperIN6hipcub16HIPCUB_304000_NS8EqualityEEEPlJSF_EEE10hipError_tPvRmT3_T4_T5_T6_T7_T9_mT8_P12ihipStream_tbDpT10_ENKUlT_T0_E_clISt17integral_constantIbLb0EES1A_EEDaS15_S16_EUlS15_E_NS1_11comp_targetILNS1_3genE10ELNS1_11target_archE1200ELNS1_3gpuE4ELNS1_3repE0EEENS1_30default_config_static_selectorELNS0_4arch9wavefront6targetE0EEEvT1_,comdat
.Lfunc_end6:
	.size	_ZN7rocprim17ROCPRIM_400000_NS6detail17trampoline_kernelINS0_14default_configENS1_25partition_config_selectorILNS1_17partition_subalgoE9EiibEEZZNS1_14partition_implILS5_9ELb0ES3_jPKiN6thrust23THRUST_200600_302600_NS17counting_iteratorIiNSB_11use_defaultESD_SD_EEPNS0_10empty_typeENS0_5tupleIJPiSF_EEENSH_IJSI_SG_EEENS0_18inequality_wrapperIN6hipcub16HIPCUB_304000_NS8EqualityEEEPlJSF_EEE10hipError_tPvRmT3_T4_T5_T6_T7_T9_mT8_P12ihipStream_tbDpT10_ENKUlT_T0_E_clISt17integral_constantIbLb0EES1A_EEDaS15_S16_EUlS15_E_NS1_11comp_targetILNS1_3genE10ELNS1_11target_archE1200ELNS1_3gpuE4ELNS1_3repE0EEENS1_30default_config_static_selectorELNS0_4arch9wavefront6targetE0EEEvT1_, .Lfunc_end6-_ZN7rocprim17ROCPRIM_400000_NS6detail17trampoline_kernelINS0_14default_configENS1_25partition_config_selectorILNS1_17partition_subalgoE9EiibEEZZNS1_14partition_implILS5_9ELb0ES3_jPKiN6thrust23THRUST_200600_302600_NS17counting_iteratorIiNSB_11use_defaultESD_SD_EEPNS0_10empty_typeENS0_5tupleIJPiSF_EEENSH_IJSI_SG_EEENS0_18inequality_wrapperIN6hipcub16HIPCUB_304000_NS8EqualityEEEPlJSF_EEE10hipError_tPvRmT3_T4_T5_T6_T7_T9_mT8_P12ihipStream_tbDpT10_ENKUlT_T0_E_clISt17integral_constantIbLb0EES1A_EEDaS15_S16_EUlS15_E_NS1_11comp_targetILNS1_3genE10ELNS1_11target_archE1200ELNS1_3gpuE4ELNS1_3repE0EEENS1_30default_config_static_selectorELNS0_4arch9wavefront6targetE0EEEvT1_
                                        ; -- End function
	.set _ZN7rocprim17ROCPRIM_400000_NS6detail17trampoline_kernelINS0_14default_configENS1_25partition_config_selectorILNS1_17partition_subalgoE9EiibEEZZNS1_14partition_implILS5_9ELb0ES3_jPKiN6thrust23THRUST_200600_302600_NS17counting_iteratorIiNSB_11use_defaultESD_SD_EEPNS0_10empty_typeENS0_5tupleIJPiSF_EEENSH_IJSI_SG_EEENS0_18inequality_wrapperIN6hipcub16HIPCUB_304000_NS8EqualityEEEPlJSF_EEE10hipError_tPvRmT3_T4_T5_T6_T7_T9_mT8_P12ihipStream_tbDpT10_ENKUlT_T0_E_clISt17integral_constantIbLb0EES1A_EEDaS15_S16_EUlS15_E_NS1_11comp_targetILNS1_3genE10ELNS1_11target_archE1200ELNS1_3gpuE4ELNS1_3repE0EEENS1_30default_config_static_selectorELNS0_4arch9wavefront6targetE0EEEvT1_.num_vgpr, 53
	.set _ZN7rocprim17ROCPRIM_400000_NS6detail17trampoline_kernelINS0_14default_configENS1_25partition_config_selectorILNS1_17partition_subalgoE9EiibEEZZNS1_14partition_implILS5_9ELb0ES3_jPKiN6thrust23THRUST_200600_302600_NS17counting_iteratorIiNSB_11use_defaultESD_SD_EEPNS0_10empty_typeENS0_5tupleIJPiSF_EEENSH_IJSI_SG_EEENS0_18inequality_wrapperIN6hipcub16HIPCUB_304000_NS8EqualityEEEPlJSF_EEE10hipError_tPvRmT3_T4_T5_T6_T7_T9_mT8_P12ihipStream_tbDpT10_ENKUlT_T0_E_clISt17integral_constantIbLb0EES1A_EEDaS15_S16_EUlS15_E_NS1_11comp_targetILNS1_3genE10ELNS1_11target_archE1200ELNS1_3gpuE4ELNS1_3repE0EEENS1_30default_config_static_selectorELNS0_4arch9wavefront6targetE0EEEvT1_.num_agpr, 0
	.set _ZN7rocprim17ROCPRIM_400000_NS6detail17trampoline_kernelINS0_14default_configENS1_25partition_config_selectorILNS1_17partition_subalgoE9EiibEEZZNS1_14partition_implILS5_9ELb0ES3_jPKiN6thrust23THRUST_200600_302600_NS17counting_iteratorIiNSB_11use_defaultESD_SD_EEPNS0_10empty_typeENS0_5tupleIJPiSF_EEENSH_IJSI_SG_EEENS0_18inequality_wrapperIN6hipcub16HIPCUB_304000_NS8EqualityEEEPlJSF_EEE10hipError_tPvRmT3_T4_T5_T6_T7_T9_mT8_P12ihipStream_tbDpT10_ENKUlT_T0_E_clISt17integral_constantIbLb0EES1A_EEDaS15_S16_EUlS15_E_NS1_11comp_targetILNS1_3genE10ELNS1_11target_archE1200ELNS1_3gpuE4ELNS1_3repE0EEENS1_30default_config_static_selectorELNS0_4arch9wavefront6targetE0EEEvT1_.numbered_sgpr, 22
	.set _ZN7rocprim17ROCPRIM_400000_NS6detail17trampoline_kernelINS0_14default_configENS1_25partition_config_selectorILNS1_17partition_subalgoE9EiibEEZZNS1_14partition_implILS5_9ELb0ES3_jPKiN6thrust23THRUST_200600_302600_NS17counting_iteratorIiNSB_11use_defaultESD_SD_EEPNS0_10empty_typeENS0_5tupleIJPiSF_EEENSH_IJSI_SG_EEENS0_18inequality_wrapperIN6hipcub16HIPCUB_304000_NS8EqualityEEEPlJSF_EEE10hipError_tPvRmT3_T4_T5_T6_T7_T9_mT8_P12ihipStream_tbDpT10_ENKUlT_T0_E_clISt17integral_constantIbLb0EES1A_EEDaS15_S16_EUlS15_E_NS1_11comp_targetILNS1_3genE10ELNS1_11target_archE1200ELNS1_3gpuE4ELNS1_3repE0EEENS1_30default_config_static_selectorELNS0_4arch9wavefront6targetE0EEEvT1_.num_named_barrier, 0
	.set _ZN7rocprim17ROCPRIM_400000_NS6detail17trampoline_kernelINS0_14default_configENS1_25partition_config_selectorILNS1_17partition_subalgoE9EiibEEZZNS1_14partition_implILS5_9ELb0ES3_jPKiN6thrust23THRUST_200600_302600_NS17counting_iteratorIiNSB_11use_defaultESD_SD_EEPNS0_10empty_typeENS0_5tupleIJPiSF_EEENSH_IJSI_SG_EEENS0_18inequality_wrapperIN6hipcub16HIPCUB_304000_NS8EqualityEEEPlJSF_EEE10hipError_tPvRmT3_T4_T5_T6_T7_T9_mT8_P12ihipStream_tbDpT10_ENKUlT_T0_E_clISt17integral_constantIbLb0EES1A_EEDaS15_S16_EUlS15_E_NS1_11comp_targetILNS1_3genE10ELNS1_11target_archE1200ELNS1_3gpuE4ELNS1_3repE0EEENS1_30default_config_static_selectorELNS0_4arch9wavefront6targetE0EEEvT1_.private_seg_size, 0
	.set _ZN7rocprim17ROCPRIM_400000_NS6detail17trampoline_kernelINS0_14default_configENS1_25partition_config_selectorILNS1_17partition_subalgoE9EiibEEZZNS1_14partition_implILS5_9ELb0ES3_jPKiN6thrust23THRUST_200600_302600_NS17counting_iteratorIiNSB_11use_defaultESD_SD_EEPNS0_10empty_typeENS0_5tupleIJPiSF_EEENSH_IJSI_SG_EEENS0_18inequality_wrapperIN6hipcub16HIPCUB_304000_NS8EqualityEEEPlJSF_EEE10hipError_tPvRmT3_T4_T5_T6_T7_T9_mT8_P12ihipStream_tbDpT10_ENKUlT_T0_E_clISt17integral_constantIbLb0EES1A_EEDaS15_S16_EUlS15_E_NS1_11comp_targetILNS1_3genE10ELNS1_11target_archE1200ELNS1_3gpuE4ELNS1_3repE0EEENS1_30default_config_static_selectorELNS0_4arch9wavefront6targetE0EEEvT1_.uses_vcc, 1
	.set _ZN7rocprim17ROCPRIM_400000_NS6detail17trampoline_kernelINS0_14default_configENS1_25partition_config_selectorILNS1_17partition_subalgoE9EiibEEZZNS1_14partition_implILS5_9ELb0ES3_jPKiN6thrust23THRUST_200600_302600_NS17counting_iteratorIiNSB_11use_defaultESD_SD_EEPNS0_10empty_typeENS0_5tupleIJPiSF_EEENSH_IJSI_SG_EEENS0_18inequality_wrapperIN6hipcub16HIPCUB_304000_NS8EqualityEEEPlJSF_EEE10hipError_tPvRmT3_T4_T5_T6_T7_T9_mT8_P12ihipStream_tbDpT10_ENKUlT_T0_E_clISt17integral_constantIbLb0EES1A_EEDaS15_S16_EUlS15_E_NS1_11comp_targetILNS1_3genE10ELNS1_11target_archE1200ELNS1_3gpuE4ELNS1_3repE0EEENS1_30default_config_static_selectorELNS0_4arch9wavefront6targetE0EEEvT1_.uses_flat_scratch, 0
	.set _ZN7rocprim17ROCPRIM_400000_NS6detail17trampoline_kernelINS0_14default_configENS1_25partition_config_selectorILNS1_17partition_subalgoE9EiibEEZZNS1_14partition_implILS5_9ELb0ES3_jPKiN6thrust23THRUST_200600_302600_NS17counting_iteratorIiNSB_11use_defaultESD_SD_EEPNS0_10empty_typeENS0_5tupleIJPiSF_EEENSH_IJSI_SG_EEENS0_18inequality_wrapperIN6hipcub16HIPCUB_304000_NS8EqualityEEEPlJSF_EEE10hipError_tPvRmT3_T4_T5_T6_T7_T9_mT8_P12ihipStream_tbDpT10_ENKUlT_T0_E_clISt17integral_constantIbLb0EES1A_EEDaS15_S16_EUlS15_E_NS1_11comp_targetILNS1_3genE10ELNS1_11target_archE1200ELNS1_3gpuE4ELNS1_3repE0EEENS1_30default_config_static_selectorELNS0_4arch9wavefront6targetE0EEEvT1_.has_dyn_sized_stack, 0
	.set _ZN7rocprim17ROCPRIM_400000_NS6detail17trampoline_kernelINS0_14default_configENS1_25partition_config_selectorILNS1_17partition_subalgoE9EiibEEZZNS1_14partition_implILS5_9ELb0ES3_jPKiN6thrust23THRUST_200600_302600_NS17counting_iteratorIiNSB_11use_defaultESD_SD_EEPNS0_10empty_typeENS0_5tupleIJPiSF_EEENSH_IJSI_SG_EEENS0_18inequality_wrapperIN6hipcub16HIPCUB_304000_NS8EqualityEEEPlJSF_EEE10hipError_tPvRmT3_T4_T5_T6_T7_T9_mT8_P12ihipStream_tbDpT10_ENKUlT_T0_E_clISt17integral_constantIbLb0EES1A_EEDaS15_S16_EUlS15_E_NS1_11comp_targetILNS1_3genE10ELNS1_11target_archE1200ELNS1_3gpuE4ELNS1_3repE0EEENS1_30default_config_static_selectorELNS0_4arch9wavefront6targetE0EEEvT1_.has_recursion, 0
	.set _ZN7rocprim17ROCPRIM_400000_NS6detail17trampoline_kernelINS0_14default_configENS1_25partition_config_selectorILNS1_17partition_subalgoE9EiibEEZZNS1_14partition_implILS5_9ELb0ES3_jPKiN6thrust23THRUST_200600_302600_NS17counting_iteratorIiNSB_11use_defaultESD_SD_EEPNS0_10empty_typeENS0_5tupleIJPiSF_EEENSH_IJSI_SG_EEENS0_18inequality_wrapperIN6hipcub16HIPCUB_304000_NS8EqualityEEEPlJSF_EEE10hipError_tPvRmT3_T4_T5_T6_T7_T9_mT8_P12ihipStream_tbDpT10_ENKUlT_T0_E_clISt17integral_constantIbLb0EES1A_EEDaS15_S16_EUlS15_E_NS1_11comp_targetILNS1_3genE10ELNS1_11target_archE1200ELNS1_3gpuE4ELNS1_3repE0EEENS1_30default_config_static_selectorELNS0_4arch9wavefront6targetE0EEEvT1_.has_indirect_call, 0
	.section	.AMDGPU.csdata,"",@progbits
; Kernel info:
; codeLenInByte = 7992
; TotalNumSgprs: 24
; NumVgprs: 53
; ScratchSize: 0
; MemoryBound: 0
; FloatMode: 240
; IeeeMode: 1
; LDSByteSize: 10760 bytes/workgroup (compile time only)
; SGPRBlocks: 0
; VGPRBlocks: 6
; NumSGPRsForWavesPerEU: 24
; NumVGPRsForWavesPerEU: 53
; Occupancy: 15
; WaveLimiterHint : 1
; COMPUTE_PGM_RSRC2:SCRATCH_EN: 0
; COMPUTE_PGM_RSRC2:USER_SGPR: 2
; COMPUTE_PGM_RSRC2:TRAP_HANDLER: 0
; COMPUTE_PGM_RSRC2:TGID_X_EN: 1
; COMPUTE_PGM_RSRC2:TGID_Y_EN: 0
; COMPUTE_PGM_RSRC2:TGID_Z_EN: 0
; COMPUTE_PGM_RSRC2:TIDIG_COMP_CNT: 0
	.section	.text._ZN7rocprim17ROCPRIM_400000_NS6detail17trampoline_kernelINS0_14default_configENS1_25partition_config_selectorILNS1_17partition_subalgoE9EiibEEZZNS1_14partition_implILS5_9ELb0ES3_jPKiN6thrust23THRUST_200600_302600_NS17counting_iteratorIiNSB_11use_defaultESD_SD_EEPNS0_10empty_typeENS0_5tupleIJPiSF_EEENSH_IJSI_SG_EEENS0_18inequality_wrapperIN6hipcub16HIPCUB_304000_NS8EqualityEEEPlJSF_EEE10hipError_tPvRmT3_T4_T5_T6_T7_T9_mT8_P12ihipStream_tbDpT10_ENKUlT_T0_E_clISt17integral_constantIbLb0EES1A_EEDaS15_S16_EUlS15_E_NS1_11comp_targetILNS1_3genE9ELNS1_11target_archE1100ELNS1_3gpuE3ELNS1_3repE0EEENS1_30default_config_static_selectorELNS0_4arch9wavefront6targetE0EEEvT1_,"axG",@progbits,_ZN7rocprim17ROCPRIM_400000_NS6detail17trampoline_kernelINS0_14default_configENS1_25partition_config_selectorILNS1_17partition_subalgoE9EiibEEZZNS1_14partition_implILS5_9ELb0ES3_jPKiN6thrust23THRUST_200600_302600_NS17counting_iteratorIiNSB_11use_defaultESD_SD_EEPNS0_10empty_typeENS0_5tupleIJPiSF_EEENSH_IJSI_SG_EEENS0_18inequality_wrapperIN6hipcub16HIPCUB_304000_NS8EqualityEEEPlJSF_EEE10hipError_tPvRmT3_T4_T5_T6_T7_T9_mT8_P12ihipStream_tbDpT10_ENKUlT_T0_E_clISt17integral_constantIbLb0EES1A_EEDaS15_S16_EUlS15_E_NS1_11comp_targetILNS1_3genE9ELNS1_11target_archE1100ELNS1_3gpuE3ELNS1_3repE0EEENS1_30default_config_static_selectorELNS0_4arch9wavefront6targetE0EEEvT1_,comdat
	.protected	_ZN7rocprim17ROCPRIM_400000_NS6detail17trampoline_kernelINS0_14default_configENS1_25partition_config_selectorILNS1_17partition_subalgoE9EiibEEZZNS1_14partition_implILS5_9ELb0ES3_jPKiN6thrust23THRUST_200600_302600_NS17counting_iteratorIiNSB_11use_defaultESD_SD_EEPNS0_10empty_typeENS0_5tupleIJPiSF_EEENSH_IJSI_SG_EEENS0_18inequality_wrapperIN6hipcub16HIPCUB_304000_NS8EqualityEEEPlJSF_EEE10hipError_tPvRmT3_T4_T5_T6_T7_T9_mT8_P12ihipStream_tbDpT10_ENKUlT_T0_E_clISt17integral_constantIbLb0EES1A_EEDaS15_S16_EUlS15_E_NS1_11comp_targetILNS1_3genE9ELNS1_11target_archE1100ELNS1_3gpuE3ELNS1_3repE0EEENS1_30default_config_static_selectorELNS0_4arch9wavefront6targetE0EEEvT1_ ; -- Begin function _ZN7rocprim17ROCPRIM_400000_NS6detail17trampoline_kernelINS0_14default_configENS1_25partition_config_selectorILNS1_17partition_subalgoE9EiibEEZZNS1_14partition_implILS5_9ELb0ES3_jPKiN6thrust23THRUST_200600_302600_NS17counting_iteratorIiNSB_11use_defaultESD_SD_EEPNS0_10empty_typeENS0_5tupleIJPiSF_EEENSH_IJSI_SG_EEENS0_18inequality_wrapperIN6hipcub16HIPCUB_304000_NS8EqualityEEEPlJSF_EEE10hipError_tPvRmT3_T4_T5_T6_T7_T9_mT8_P12ihipStream_tbDpT10_ENKUlT_T0_E_clISt17integral_constantIbLb0EES1A_EEDaS15_S16_EUlS15_E_NS1_11comp_targetILNS1_3genE9ELNS1_11target_archE1100ELNS1_3gpuE3ELNS1_3repE0EEENS1_30default_config_static_selectorELNS0_4arch9wavefront6targetE0EEEvT1_
	.globl	_ZN7rocprim17ROCPRIM_400000_NS6detail17trampoline_kernelINS0_14default_configENS1_25partition_config_selectorILNS1_17partition_subalgoE9EiibEEZZNS1_14partition_implILS5_9ELb0ES3_jPKiN6thrust23THRUST_200600_302600_NS17counting_iteratorIiNSB_11use_defaultESD_SD_EEPNS0_10empty_typeENS0_5tupleIJPiSF_EEENSH_IJSI_SG_EEENS0_18inequality_wrapperIN6hipcub16HIPCUB_304000_NS8EqualityEEEPlJSF_EEE10hipError_tPvRmT3_T4_T5_T6_T7_T9_mT8_P12ihipStream_tbDpT10_ENKUlT_T0_E_clISt17integral_constantIbLb0EES1A_EEDaS15_S16_EUlS15_E_NS1_11comp_targetILNS1_3genE9ELNS1_11target_archE1100ELNS1_3gpuE3ELNS1_3repE0EEENS1_30default_config_static_selectorELNS0_4arch9wavefront6targetE0EEEvT1_
	.p2align	8
	.type	_ZN7rocprim17ROCPRIM_400000_NS6detail17trampoline_kernelINS0_14default_configENS1_25partition_config_selectorILNS1_17partition_subalgoE9EiibEEZZNS1_14partition_implILS5_9ELb0ES3_jPKiN6thrust23THRUST_200600_302600_NS17counting_iteratorIiNSB_11use_defaultESD_SD_EEPNS0_10empty_typeENS0_5tupleIJPiSF_EEENSH_IJSI_SG_EEENS0_18inequality_wrapperIN6hipcub16HIPCUB_304000_NS8EqualityEEEPlJSF_EEE10hipError_tPvRmT3_T4_T5_T6_T7_T9_mT8_P12ihipStream_tbDpT10_ENKUlT_T0_E_clISt17integral_constantIbLb0EES1A_EEDaS15_S16_EUlS15_E_NS1_11comp_targetILNS1_3genE9ELNS1_11target_archE1100ELNS1_3gpuE3ELNS1_3repE0EEENS1_30default_config_static_selectorELNS0_4arch9wavefront6targetE0EEEvT1_,@function
_ZN7rocprim17ROCPRIM_400000_NS6detail17trampoline_kernelINS0_14default_configENS1_25partition_config_selectorILNS1_17partition_subalgoE9EiibEEZZNS1_14partition_implILS5_9ELb0ES3_jPKiN6thrust23THRUST_200600_302600_NS17counting_iteratorIiNSB_11use_defaultESD_SD_EEPNS0_10empty_typeENS0_5tupleIJPiSF_EEENSH_IJSI_SG_EEENS0_18inequality_wrapperIN6hipcub16HIPCUB_304000_NS8EqualityEEEPlJSF_EEE10hipError_tPvRmT3_T4_T5_T6_T7_T9_mT8_P12ihipStream_tbDpT10_ENKUlT_T0_E_clISt17integral_constantIbLb0EES1A_EEDaS15_S16_EUlS15_E_NS1_11comp_targetILNS1_3genE9ELNS1_11target_archE1100ELNS1_3gpuE3ELNS1_3repE0EEENS1_30default_config_static_selectorELNS0_4arch9wavefront6targetE0EEEvT1_: ; @_ZN7rocprim17ROCPRIM_400000_NS6detail17trampoline_kernelINS0_14default_configENS1_25partition_config_selectorILNS1_17partition_subalgoE9EiibEEZZNS1_14partition_implILS5_9ELb0ES3_jPKiN6thrust23THRUST_200600_302600_NS17counting_iteratorIiNSB_11use_defaultESD_SD_EEPNS0_10empty_typeENS0_5tupleIJPiSF_EEENSH_IJSI_SG_EEENS0_18inequality_wrapperIN6hipcub16HIPCUB_304000_NS8EqualityEEEPlJSF_EEE10hipError_tPvRmT3_T4_T5_T6_T7_T9_mT8_P12ihipStream_tbDpT10_ENKUlT_T0_E_clISt17integral_constantIbLb0EES1A_EEDaS15_S16_EUlS15_E_NS1_11comp_targetILNS1_3genE9ELNS1_11target_archE1100ELNS1_3gpuE3ELNS1_3repE0EEENS1_30default_config_static_selectorELNS0_4arch9wavefront6targetE0EEEvT1_
; %bb.0:
	.section	.rodata,"a",@progbits
	.p2align	6, 0x0
	.amdhsa_kernel _ZN7rocprim17ROCPRIM_400000_NS6detail17trampoline_kernelINS0_14default_configENS1_25partition_config_selectorILNS1_17partition_subalgoE9EiibEEZZNS1_14partition_implILS5_9ELb0ES3_jPKiN6thrust23THRUST_200600_302600_NS17counting_iteratorIiNSB_11use_defaultESD_SD_EEPNS0_10empty_typeENS0_5tupleIJPiSF_EEENSH_IJSI_SG_EEENS0_18inequality_wrapperIN6hipcub16HIPCUB_304000_NS8EqualityEEEPlJSF_EEE10hipError_tPvRmT3_T4_T5_T6_T7_T9_mT8_P12ihipStream_tbDpT10_ENKUlT_T0_E_clISt17integral_constantIbLb0EES1A_EEDaS15_S16_EUlS15_E_NS1_11comp_targetILNS1_3genE9ELNS1_11target_archE1100ELNS1_3gpuE3ELNS1_3repE0EEENS1_30default_config_static_selectorELNS0_4arch9wavefront6targetE0EEEvT1_
		.amdhsa_group_segment_fixed_size 0
		.amdhsa_private_segment_fixed_size 0
		.amdhsa_kernarg_size 112
		.amdhsa_user_sgpr_count 2
		.amdhsa_user_sgpr_dispatch_ptr 0
		.amdhsa_user_sgpr_queue_ptr 0
		.amdhsa_user_sgpr_kernarg_segment_ptr 1
		.amdhsa_user_sgpr_dispatch_id 0
		.amdhsa_user_sgpr_private_segment_size 0
		.amdhsa_wavefront_size32 1
		.amdhsa_uses_dynamic_stack 0
		.amdhsa_enable_private_segment 0
		.amdhsa_system_sgpr_workgroup_id_x 1
		.amdhsa_system_sgpr_workgroup_id_y 0
		.amdhsa_system_sgpr_workgroup_id_z 0
		.amdhsa_system_sgpr_workgroup_info 0
		.amdhsa_system_vgpr_workitem_id 0
		.amdhsa_next_free_vgpr 1
		.amdhsa_next_free_sgpr 1
		.amdhsa_reserve_vcc 0
		.amdhsa_float_round_mode_32 0
		.amdhsa_float_round_mode_16_64 0
		.amdhsa_float_denorm_mode_32 3
		.amdhsa_float_denorm_mode_16_64 3
		.amdhsa_fp16_overflow 0
		.amdhsa_workgroup_processor_mode 1
		.amdhsa_memory_ordered 1
		.amdhsa_forward_progress 1
		.amdhsa_inst_pref_size 0
		.amdhsa_round_robin_scheduling 0
		.amdhsa_exception_fp_ieee_invalid_op 0
		.amdhsa_exception_fp_denorm_src 0
		.amdhsa_exception_fp_ieee_div_zero 0
		.amdhsa_exception_fp_ieee_overflow 0
		.amdhsa_exception_fp_ieee_underflow 0
		.amdhsa_exception_fp_ieee_inexact 0
		.amdhsa_exception_int_div_zero 0
	.end_amdhsa_kernel
	.section	.text._ZN7rocprim17ROCPRIM_400000_NS6detail17trampoline_kernelINS0_14default_configENS1_25partition_config_selectorILNS1_17partition_subalgoE9EiibEEZZNS1_14partition_implILS5_9ELb0ES3_jPKiN6thrust23THRUST_200600_302600_NS17counting_iteratorIiNSB_11use_defaultESD_SD_EEPNS0_10empty_typeENS0_5tupleIJPiSF_EEENSH_IJSI_SG_EEENS0_18inequality_wrapperIN6hipcub16HIPCUB_304000_NS8EqualityEEEPlJSF_EEE10hipError_tPvRmT3_T4_T5_T6_T7_T9_mT8_P12ihipStream_tbDpT10_ENKUlT_T0_E_clISt17integral_constantIbLb0EES1A_EEDaS15_S16_EUlS15_E_NS1_11comp_targetILNS1_3genE9ELNS1_11target_archE1100ELNS1_3gpuE3ELNS1_3repE0EEENS1_30default_config_static_selectorELNS0_4arch9wavefront6targetE0EEEvT1_,"axG",@progbits,_ZN7rocprim17ROCPRIM_400000_NS6detail17trampoline_kernelINS0_14default_configENS1_25partition_config_selectorILNS1_17partition_subalgoE9EiibEEZZNS1_14partition_implILS5_9ELb0ES3_jPKiN6thrust23THRUST_200600_302600_NS17counting_iteratorIiNSB_11use_defaultESD_SD_EEPNS0_10empty_typeENS0_5tupleIJPiSF_EEENSH_IJSI_SG_EEENS0_18inequality_wrapperIN6hipcub16HIPCUB_304000_NS8EqualityEEEPlJSF_EEE10hipError_tPvRmT3_T4_T5_T6_T7_T9_mT8_P12ihipStream_tbDpT10_ENKUlT_T0_E_clISt17integral_constantIbLb0EES1A_EEDaS15_S16_EUlS15_E_NS1_11comp_targetILNS1_3genE9ELNS1_11target_archE1100ELNS1_3gpuE3ELNS1_3repE0EEENS1_30default_config_static_selectorELNS0_4arch9wavefront6targetE0EEEvT1_,comdat
.Lfunc_end7:
	.size	_ZN7rocprim17ROCPRIM_400000_NS6detail17trampoline_kernelINS0_14default_configENS1_25partition_config_selectorILNS1_17partition_subalgoE9EiibEEZZNS1_14partition_implILS5_9ELb0ES3_jPKiN6thrust23THRUST_200600_302600_NS17counting_iteratorIiNSB_11use_defaultESD_SD_EEPNS0_10empty_typeENS0_5tupleIJPiSF_EEENSH_IJSI_SG_EEENS0_18inequality_wrapperIN6hipcub16HIPCUB_304000_NS8EqualityEEEPlJSF_EEE10hipError_tPvRmT3_T4_T5_T6_T7_T9_mT8_P12ihipStream_tbDpT10_ENKUlT_T0_E_clISt17integral_constantIbLb0EES1A_EEDaS15_S16_EUlS15_E_NS1_11comp_targetILNS1_3genE9ELNS1_11target_archE1100ELNS1_3gpuE3ELNS1_3repE0EEENS1_30default_config_static_selectorELNS0_4arch9wavefront6targetE0EEEvT1_, .Lfunc_end7-_ZN7rocprim17ROCPRIM_400000_NS6detail17trampoline_kernelINS0_14default_configENS1_25partition_config_selectorILNS1_17partition_subalgoE9EiibEEZZNS1_14partition_implILS5_9ELb0ES3_jPKiN6thrust23THRUST_200600_302600_NS17counting_iteratorIiNSB_11use_defaultESD_SD_EEPNS0_10empty_typeENS0_5tupleIJPiSF_EEENSH_IJSI_SG_EEENS0_18inequality_wrapperIN6hipcub16HIPCUB_304000_NS8EqualityEEEPlJSF_EEE10hipError_tPvRmT3_T4_T5_T6_T7_T9_mT8_P12ihipStream_tbDpT10_ENKUlT_T0_E_clISt17integral_constantIbLb0EES1A_EEDaS15_S16_EUlS15_E_NS1_11comp_targetILNS1_3genE9ELNS1_11target_archE1100ELNS1_3gpuE3ELNS1_3repE0EEENS1_30default_config_static_selectorELNS0_4arch9wavefront6targetE0EEEvT1_
                                        ; -- End function
	.set _ZN7rocprim17ROCPRIM_400000_NS6detail17trampoline_kernelINS0_14default_configENS1_25partition_config_selectorILNS1_17partition_subalgoE9EiibEEZZNS1_14partition_implILS5_9ELb0ES3_jPKiN6thrust23THRUST_200600_302600_NS17counting_iteratorIiNSB_11use_defaultESD_SD_EEPNS0_10empty_typeENS0_5tupleIJPiSF_EEENSH_IJSI_SG_EEENS0_18inequality_wrapperIN6hipcub16HIPCUB_304000_NS8EqualityEEEPlJSF_EEE10hipError_tPvRmT3_T4_T5_T6_T7_T9_mT8_P12ihipStream_tbDpT10_ENKUlT_T0_E_clISt17integral_constantIbLb0EES1A_EEDaS15_S16_EUlS15_E_NS1_11comp_targetILNS1_3genE9ELNS1_11target_archE1100ELNS1_3gpuE3ELNS1_3repE0EEENS1_30default_config_static_selectorELNS0_4arch9wavefront6targetE0EEEvT1_.num_vgpr, 0
	.set _ZN7rocprim17ROCPRIM_400000_NS6detail17trampoline_kernelINS0_14default_configENS1_25partition_config_selectorILNS1_17partition_subalgoE9EiibEEZZNS1_14partition_implILS5_9ELb0ES3_jPKiN6thrust23THRUST_200600_302600_NS17counting_iteratorIiNSB_11use_defaultESD_SD_EEPNS0_10empty_typeENS0_5tupleIJPiSF_EEENSH_IJSI_SG_EEENS0_18inequality_wrapperIN6hipcub16HIPCUB_304000_NS8EqualityEEEPlJSF_EEE10hipError_tPvRmT3_T4_T5_T6_T7_T9_mT8_P12ihipStream_tbDpT10_ENKUlT_T0_E_clISt17integral_constantIbLb0EES1A_EEDaS15_S16_EUlS15_E_NS1_11comp_targetILNS1_3genE9ELNS1_11target_archE1100ELNS1_3gpuE3ELNS1_3repE0EEENS1_30default_config_static_selectorELNS0_4arch9wavefront6targetE0EEEvT1_.num_agpr, 0
	.set _ZN7rocprim17ROCPRIM_400000_NS6detail17trampoline_kernelINS0_14default_configENS1_25partition_config_selectorILNS1_17partition_subalgoE9EiibEEZZNS1_14partition_implILS5_9ELb0ES3_jPKiN6thrust23THRUST_200600_302600_NS17counting_iteratorIiNSB_11use_defaultESD_SD_EEPNS0_10empty_typeENS0_5tupleIJPiSF_EEENSH_IJSI_SG_EEENS0_18inequality_wrapperIN6hipcub16HIPCUB_304000_NS8EqualityEEEPlJSF_EEE10hipError_tPvRmT3_T4_T5_T6_T7_T9_mT8_P12ihipStream_tbDpT10_ENKUlT_T0_E_clISt17integral_constantIbLb0EES1A_EEDaS15_S16_EUlS15_E_NS1_11comp_targetILNS1_3genE9ELNS1_11target_archE1100ELNS1_3gpuE3ELNS1_3repE0EEENS1_30default_config_static_selectorELNS0_4arch9wavefront6targetE0EEEvT1_.numbered_sgpr, 0
	.set _ZN7rocprim17ROCPRIM_400000_NS6detail17trampoline_kernelINS0_14default_configENS1_25partition_config_selectorILNS1_17partition_subalgoE9EiibEEZZNS1_14partition_implILS5_9ELb0ES3_jPKiN6thrust23THRUST_200600_302600_NS17counting_iteratorIiNSB_11use_defaultESD_SD_EEPNS0_10empty_typeENS0_5tupleIJPiSF_EEENSH_IJSI_SG_EEENS0_18inequality_wrapperIN6hipcub16HIPCUB_304000_NS8EqualityEEEPlJSF_EEE10hipError_tPvRmT3_T4_T5_T6_T7_T9_mT8_P12ihipStream_tbDpT10_ENKUlT_T0_E_clISt17integral_constantIbLb0EES1A_EEDaS15_S16_EUlS15_E_NS1_11comp_targetILNS1_3genE9ELNS1_11target_archE1100ELNS1_3gpuE3ELNS1_3repE0EEENS1_30default_config_static_selectorELNS0_4arch9wavefront6targetE0EEEvT1_.num_named_barrier, 0
	.set _ZN7rocprim17ROCPRIM_400000_NS6detail17trampoline_kernelINS0_14default_configENS1_25partition_config_selectorILNS1_17partition_subalgoE9EiibEEZZNS1_14partition_implILS5_9ELb0ES3_jPKiN6thrust23THRUST_200600_302600_NS17counting_iteratorIiNSB_11use_defaultESD_SD_EEPNS0_10empty_typeENS0_5tupleIJPiSF_EEENSH_IJSI_SG_EEENS0_18inequality_wrapperIN6hipcub16HIPCUB_304000_NS8EqualityEEEPlJSF_EEE10hipError_tPvRmT3_T4_T5_T6_T7_T9_mT8_P12ihipStream_tbDpT10_ENKUlT_T0_E_clISt17integral_constantIbLb0EES1A_EEDaS15_S16_EUlS15_E_NS1_11comp_targetILNS1_3genE9ELNS1_11target_archE1100ELNS1_3gpuE3ELNS1_3repE0EEENS1_30default_config_static_selectorELNS0_4arch9wavefront6targetE0EEEvT1_.private_seg_size, 0
	.set _ZN7rocprim17ROCPRIM_400000_NS6detail17trampoline_kernelINS0_14default_configENS1_25partition_config_selectorILNS1_17partition_subalgoE9EiibEEZZNS1_14partition_implILS5_9ELb0ES3_jPKiN6thrust23THRUST_200600_302600_NS17counting_iteratorIiNSB_11use_defaultESD_SD_EEPNS0_10empty_typeENS0_5tupleIJPiSF_EEENSH_IJSI_SG_EEENS0_18inequality_wrapperIN6hipcub16HIPCUB_304000_NS8EqualityEEEPlJSF_EEE10hipError_tPvRmT3_T4_T5_T6_T7_T9_mT8_P12ihipStream_tbDpT10_ENKUlT_T0_E_clISt17integral_constantIbLb0EES1A_EEDaS15_S16_EUlS15_E_NS1_11comp_targetILNS1_3genE9ELNS1_11target_archE1100ELNS1_3gpuE3ELNS1_3repE0EEENS1_30default_config_static_selectorELNS0_4arch9wavefront6targetE0EEEvT1_.uses_vcc, 0
	.set _ZN7rocprim17ROCPRIM_400000_NS6detail17trampoline_kernelINS0_14default_configENS1_25partition_config_selectorILNS1_17partition_subalgoE9EiibEEZZNS1_14partition_implILS5_9ELb0ES3_jPKiN6thrust23THRUST_200600_302600_NS17counting_iteratorIiNSB_11use_defaultESD_SD_EEPNS0_10empty_typeENS0_5tupleIJPiSF_EEENSH_IJSI_SG_EEENS0_18inequality_wrapperIN6hipcub16HIPCUB_304000_NS8EqualityEEEPlJSF_EEE10hipError_tPvRmT3_T4_T5_T6_T7_T9_mT8_P12ihipStream_tbDpT10_ENKUlT_T0_E_clISt17integral_constantIbLb0EES1A_EEDaS15_S16_EUlS15_E_NS1_11comp_targetILNS1_3genE9ELNS1_11target_archE1100ELNS1_3gpuE3ELNS1_3repE0EEENS1_30default_config_static_selectorELNS0_4arch9wavefront6targetE0EEEvT1_.uses_flat_scratch, 0
	.set _ZN7rocprim17ROCPRIM_400000_NS6detail17trampoline_kernelINS0_14default_configENS1_25partition_config_selectorILNS1_17partition_subalgoE9EiibEEZZNS1_14partition_implILS5_9ELb0ES3_jPKiN6thrust23THRUST_200600_302600_NS17counting_iteratorIiNSB_11use_defaultESD_SD_EEPNS0_10empty_typeENS0_5tupleIJPiSF_EEENSH_IJSI_SG_EEENS0_18inequality_wrapperIN6hipcub16HIPCUB_304000_NS8EqualityEEEPlJSF_EEE10hipError_tPvRmT3_T4_T5_T6_T7_T9_mT8_P12ihipStream_tbDpT10_ENKUlT_T0_E_clISt17integral_constantIbLb0EES1A_EEDaS15_S16_EUlS15_E_NS1_11comp_targetILNS1_3genE9ELNS1_11target_archE1100ELNS1_3gpuE3ELNS1_3repE0EEENS1_30default_config_static_selectorELNS0_4arch9wavefront6targetE0EEEvT1_.has_dyn_sized_stack, 0
	.set _ZN7rocprim17ROCPRIM_400000_NS6detail17trampoline_kernelINS0_14default_configENS1_25partition_config_selectorILNS1_17partition_subalgoE9EiibEEZZNS1_14partition_implILS5_9ELb0ES3_jPKiN6thrust23THRUST_200600_302600_NS17counting_iteratorIiNSB_11use_defaultESD_SD_EEPNS0_10empty_typeENS0_5tupleIJPiSF_EEENSH_IJSI_SG_EEENS0_18inequality_wrapperIN6hipcub16HIPCUB_304000_NS8EqualityEEEPlJSF_EEE10hipError_tPvRmT3_T4_T5_T6_T7_T9_mT8_P12ihipStream_tbDpT10_ENKUlT_T0_E_clISt17integral_constantIbLb0EES1A_EEDaS15_S16_EUlS15_E_NS1_11comp_targetILNS1_3genE9ELNS1_11target_archE1100ELNS1_3gpuE3ELNS1_3repE0EEENS1_30default_config_static_selectorELNS0_4arch9wavefront6targetE0EEEvT1_.has_recursion, 0
	.set _ZN7rocprim17ROCPRIM_400000_NS6detail17trampoline_kernelINS0_14default_configENS1_25partition_config_selectorILNS1_17partition_subalgoE9EiibEEZZNS1_14partition_implILS5_9ELb0ES3_jPKiN6thrust23THRUST_200600_302600_NS17counting_iteratorIiNSB_11use_defaultESD_SD_EEPNS0_10empty_typeENS0_5tupleIJPiSF_EEENSH_IJSI_SG_EEENS0_18inequality_wrapperIN6hipcub16HIPCUB_304000_NS8EqualityEEEPlJSF_EEE10hipError_tPvRmT3_T4_T5_T6_T7_T9_mT8_P12ihipStream_tbDpT10_ENKUlT_T0_E_clISt17integral_constantIbLb0EES1A_EEDaS15_S16_EUlS15_E_NS1_11comp_targetILNS1_3genE9ELNS1_11target_archE1100ELNS1_3gpuE3ELNS1_3repE0EEENS1_30default_config_static_selectorELNS0_4arch9wavefront6targetE0EEEvT1_.has_indirect_call, 0
	.section	.AMDGPU.csdata,"",@progbits
; Kernel info:
; codeLenInByte = 0
; TotalNumSgprs: 0
; NumVgprs: 0
; ScratchSize: 0
; MemoryBound: 0
; FloatMode: 240
; IeeeMode: 1
; LDSByteSize: 0 bytes/workgroup (compile time only)
; SGPRBlocks: 0
; VGPRBlocks: 0
; NumSGPRsForWavesPerEU: 1
; NumVGPRsForWavesPerEU: 1
; Occupancy: 16
; WaveLimiterHint : 0
; COMPUTE_PGM_RSRC2:SCRATCH_EN: 0
; COMPUTE_PGM_RSRC2:USER_SGPR: 2
; COMPUTE_PGM_RSRC2:TRAP_HANDLER: 0
; COMPUTE_PGM_RSRC2:TGID_X_EN: 1
; COMPUTE_PGM_RSRC2:TGID_Y_EN: 0
; COMPUTE_PGM_RSRC2:TGID_Z_EN: 0
; COMPUTE_PGM_RSRC2:TIDIG_COMP_CNT: 0
	.section	.text._ZN7rocprim17ROCPRIM_400000_NS6detail17trampoline_kernelINS0_14default_configENS1_25partition_config_selectorILNS1_17partition_subalgoE9EiibEEZZNS1_14partition_implILS5_9ELb0ES3_jPKiN6thrust23THRUST_200600_302600_NS17counting_iteratorIiNSB_11use_defaultESD_SD_EEPNS0_10empty_typeENS0_5tupleIJPiSF_EEENSH_IJSI_SG_EEENS0_18inequality_wrapperIN6hipcub16HIPCUB_304000_NS8EqualityEEEPlJSF_EEE10hipError_tPvRmT3_T4_T5_T6_T7_T9_mT8_P12ihipStream_tbDpT10_ENKUlT_T0_E_clISt17integral_constantIbLb0EES1A_EEDaS15_S16_EUlS15_E_NS1_11comp_targetILNS1_3genE8ELNS1_11target_archE1030ELNS1_3gpuE2ELNS1_3repE0EEENS1_30default_config_static_selectorELNS0_4arch9wavefront6targetE0EEEvT1_,"axG",@progbits,_ZN7rocprim17ROCPRIM_400000_NS6detail17trampoline_kernelINS0_14default_configENS1_25partition_config_selectorILNS1_17partition_subalgoE9EiibEEZZNS1_14partition_implILS5_9ELb0ES3_jPKiN6thrust23THRUST_200600_302600_NS17counting_iteratorIiNSB_11use_defaultESD_SD_EEPNS0_10empty_typeENS0_5tupleIJPiSF_EEENSH_IJSI_SG_EEENS0_18inequality_wrapperIN6hipcub16HIPCUB_304000_NS8EqualityEEEPlJSF_EEE10hipError_tPvRmT3_T4_T5_T6_T7_T9_mT8_P12ihipStream_tbDpT10_ENKUlT_T0_E_clISt17integral_constantIbLb0EES1A_EEDaS15_S16_EUlS15_E_NS1_11comp_targetILNS1_3genE8ELNS1_11target_archE1030ELNS1_3gpuE2ELNS1_3repE0EEENS1_30default_config_static_selectorELNS0_4arch9wavefront6targetE0EEEvT1_,comdat
	.protected	_ZN7rocprim17ROCPRIM_400000_NS6detail17trampoline_kernelINS0_14default_configENS1_25partition_config_selectorILNS1_17partition_subalgoE9EiibEEZZNS1_14partition_implILS5_9ELb0ES3_jPKiN6thrust23THRUST_200600_302600_NS17counting_iteratorIiNSB_11use_defaultESD_SD_EEPNS0_10empty_typeENS0_5tupleIJPiSF_EEENSH_IJSI_SG_EEENS0_18inequality_wrapperIN6hipcub16HIPCUB_304000_NS8EqualityEEEPlJSF_EEE10hipError_tPvRmT3_T4_T5_T6_T7_T9_mT8_P12ihipStream_tbDpT10_ENKUlT_T0_E_clISt17integral_constantIbLb0EES1A_EEDaS15_S16_EUlS15_E_NS1_11comp_targetILNS1_3genE8ELNS1_11target_archE1030ELNS1_3gpuE2ELNS1_3repE0EEENS1_30default_config_static_selectorELNS0_4arch9wavefront6targetE0EEEvT1_ ; -- Begin function _ZN7rocprim17ROCPRIM_400000_NS6detail17trampoline_kernelINS0_14default_configENS1_25partition_config_selectorILNS1_17partition_subalgoE9EiibEEZZNS1_14partition_implILS5_9ELb0ES3_jPKiN6thrust23THRUST_200600_302600_NS17counting_iteratorIiNSB_11use_defaultESD_SD_EEPNS0_10empty_typeENS0_5tupleIJPiSF_EEENSH_IJSI_SG_EEENS0_18inequality_wrapperIN6hipcub16HIPCUB_304000_NS8EqualityEEEPlJSF_EEE10hipError_tPvRmT3_T4_T5_T6_T7_T9_mT8_P12ihipStream_tbDpT10_ENKUlT_T0_E_clISt17integral_constantIbLb0EES1A_EEDaS15_S16_EUlS15_E_NS1_11comp_targetILNS1_3genE8ELNS1_11target_archE1030ELNS1_3gpuE2ELNS1_3repE0EEENS1_30default_config_static_selectorELNS0_4arch9wavefront6targetE0EEEvT1_
	.globl	_ZN7rocprim17ROCPRIM_400000_NS6detail17trampoline_kernelINS0_14default_configENS1_25partition_config_selectorILNS1_17partition_subalgoE9EiibEEZZNS1_14partition_implILS5_9ELb0ES3_jPKiN6thrust23THRUST_200600_302600_NS17counting_iteratorIiNSB_11use_defaultESD_SD_EEPNS0_10empty_typeENS0_5tupleIJPiSF_EEENSH_IJSI_SG_EEENS0_18inequality_wrapperIN6hipcub16HIPCUB_304000_NS8EqualityEEEPlJSF_EEE10hipError_tPvRmT3_T4_T5_T6_T7_T9_mT8_P12ihipStream_tbDpT10_ENKUlT_T0_E_clISt17integral_constantIbLb0EES1A_EEDaS15_S16_EUlS15_E_NS1_11comp_targetILNS1_3genE8ELNS1_11target_archE1030ELNS1_3gpuE2ELNS1_3repE0EEENS1_30default_config_static_selectorELNS0_4arch9wavefront6targetE0EEEvT1_
	.p2align	8
	.type	_ZN7rocprim17ROCPRIM_400000_NS6detail17trampoline_kernelINS0_14default_configENS1_25partition_config_selectorILNS1_17partition_subalgoE9EiibEEZZNS1_14partition_implILS5_9ELb0ES3_jPKiN6thrust23THRUST_200600_302600_NS17counting_iteratorIiNSB_11use_defaultESD_SD_EEPNS0_10empty_typeENS0_5tupleIJPiSF_EEENSH_IJSI_SG_EEENS0_18inequality_wrapperIN6hipcub16HIPCUB_304000_NS8EqualityEEEPlJSF_EEE10hipError_tPvRmT3_T4_T5_T6_T7_T9_mT8_P12ihipStream_tbDpT10_ENKUlT_T0_E_clISt17integral_constantIbLb0EES1A_EEDaS15_S16_EUlS15_E_NS1_11comp_targetILNS1_3genE8ELNS1_11target_archE1030ELNS1_3gpuE2ELNS1_3repE0EEENS1_30default_config_static_selectorELNS0_4arch9wavefront6targetE0EEEvT1_,@function
_ZN7rocprim17ROCPRIM_400000_NS6detail17trampoline_kernelINS0_14default_configENS1_25partition_config_selectorILNS1_17partition_subalgoE9EiibEEZZNS1_14partition_implILS5_9ELb0ES3_jPKiN6thrust23THRUST_200600_302600_NS17counting_iteratorIiNSB_11use_defaultESD_SD_EEPNS0_10empty_typeENS0_5tupleIJPiSF_EEENSH_IJSI_SG_EEENS0_18inequality_wrapperIN6hipcub16HIPCUB_304000_NS8EqualityEEEPlJSF_EEE10hipError_tPvRmT3_T4_T5_T6_T7_T9_mT8_P12ihipStream_tbDpT10_ENKUlT_T0_E_clISt17integral_constantIbLb0EES1A_EEDaS15_S16_EUlS15_E_NS1_11comp_targetILNS1_3genE8ELNS1_11target_archE1030ELNS1_3gpuE2ELNS1_3repE0EEENS1_30default_config_static_selectorELNS0_4arch9wavefront6targetE0EEEvT1_: ; @_ZN7rocprim17ROCPRIM_400000_NS6detail17trampoline_kernelINS0_14default_configENS1_25partition_config_selectorILNS1_17partition_subalgoE9EiibEEZZNS1_14partition_implILS5_9ELb0ES3_jPKiN6thrust23THRUST_200600_302600_NS17counting_iteratorIiNSB_11use_defaultESD_SD_EEPNS0_10empty_typeENS0_5tupleIJPiSF_EEENSH_IJSI_SG_EEENS0_18inequality_wrapperIN6hipcub16HIPCUB_304000_NS8EqualityEEEPlJSF_EEE10hipError_tPvRmT3_T4_T5_T6_T7_T9_mT8_P12ihipStream_tbDpT10_ENKUlT_T0_E_clISt17integral_constantIbLb0EES1A_EEDaS15_S16_EUlS15_E_NS1_11comp_targetILNS1_3genE8ELNS1_11target_archE1030ELNS1_3gpuE2ELNS1_3repE0EEENS1_30default_config_static_selectorELNS0_4arch9wavefront6targetE0EEEvT1_
; %bb.0:
	.section	.rodata,"a",@progbits
	.p2align	6, 0x0
	.amdhsa_kernel _ZN7rocprim17ROCPRIM_400000_NS6detail17trampoline_kernelINS0_14default_configENS1_25partition_config_selectorILNS1_17partition_subalgoE9EiibEEZZNS1_14partition_implILS5_9ELb0ES3_jPKiN6thrust23THRUST_200600_302600_NS17counting_iteratorIiNSB_11use_defaultESD_SD_EEPNS0_10empty_typeENS0_5tupleIJPiSF_EEENSH_IJSI_SG_EEENS0_18inequality_wrapperIN6hipcub16HIPCUB_304000_NS8EqualityEEEPlJSF_EEE10hipError_tPvRmT3_T4_T5_T6_T7_T9_mT8_P12ihipStream_tbDpT10_ENKUlT_T0_E_clISt17integral_constantIbLb0EES1A_EEDaS15_S16_EUlS15_E_NS1_11comp_targetILNS1_3genE8ELNS1_11target_archE1030ELNS1_3gpuE2ELNS1_3repE0EEENS1_30default_config_static_selectorELNS0_4arch9wavefront6targetE0EEEvT1_
		.amdhsa_group_segment_fixed_size 0
		.amdhsa_private_segment_fixed_size 0
		.amdhsa_kernarg_size 112
		.amdhsa_user_sgpr_count 2
		.amdhsa_user_sgpr_dispatch_ptr 0
		.amdhsa_user_sgpr_queue_ptr 0
		.amdhsa_user_sgpr_kernarg_segment_ptr 1
		.amdhsa_user_sgpr_dispatch_id 0
		.amdhsa_user_sgpr_private_segment_size 0
		.amdhsa_wavefront_size32 1
		.amdhsa_uses_dynamic_stack 0
		.amdhsa_enable_private_segment 0
		.amdhsa_system_sgpr_workgroup_id_x 1
		.amdhsa_system_sgpr_workgroup_id_y 0
		.amdhsa_system_sgpr_workgroup_id_z 0
		.amdhsa_system_sgpr_workgroup_info 0
		.amdhsa_system_vgpr_workitem_id 0
		.amdhsa_next_free_vgpr 1
		.amdhsa_next_free_sgpr 1
		.amdhsa_reserve_vcc 0
		.amdhsa_float_round_mode_32 0
		.amdhsa_float_round_mode_16_64 0
		.amdhsa_float_denorm_mode_32 3
		.amdhsa_float_denorm_mode_16_64 3
		.amdhsa_fp16_overflow 0
		.amdhsa_workgroup_processor_mode 1
		.amdhsa_memory_ordered 1
		.amdhsa_forward_progress 1
		.amdhsa_inst_pref_size 0
		.amdhsa_round_robin_scheduling 0
		.amdhsa_exception_fp_ieee_invalid_op 0
		.amdhsa_exception_fp_denorm_src 0
		.amdhsa_exception_fp_ieee_div_zero 0
		.amdhsa_exception_fp_ieee_overflow 0
		.amdhsa_exception_fp_ieee_underflow 0
		.amdhsa_exception_fp_ieee_inexact 0
		.amdhsa_exception_int_div_zero 0
	.end_amdhsa_kernel
	.section	.text._ZN7rocprim17ROCPRIM_400000_NS6detail17trampoline_kernelINS0_14default_configENS1_25partition_config_selectorILNS1_17partition_subalgoE9EiibEEZZNS1_14partition_implILS5_9ELb0ES3_jPKiN6thrust23THRUST_200600_302600_NS17counting_iteratorIiNSB_11use_defaultESD_SD_EEPNS0_10empty_typeENS0_5tupleIJPiSF_EEENSH_IJSI_SG_EEENS0_18inequality_wrapperIN6hipcub16HIPCUB_304000_NS8EqualityEEEPlJSF_EEE10hipError_tPvRmT3_T4_T5_T6_T7_T9_mT8_P12ihipStream_tbDpT10_ENKUlT_T0_E_clISt17integral_constantIbLb0EES1A_EEDaS15_S16_EUlS15_E_NS1_11comp_targetILNS1_3genE8ELNS1_11target_archE1030ELNS1_3gpuE2ELNS1_3repE0EEENS1_30default_config_static_selectorELNS0_4arch9wavefront6targetE0EEEvT1_,"axG",@progbits,_ZN7rocprim17ROCPRIM_400000_NS6detail17trampoline_kernelINS0_14default_configENS1_25partition_config_selectorILNS1_17partition_subalgoE9EiibEEZZNS1_14partition_implILS5_9ELb0ES3_jPKiN6thrust23THRUST_200600_302600_NS17counting_iteratorIiNSB_11use_defaultESD_SD_EEPNS0_10empty_typeENS0_5tupleIJPiSF_EEENSH_IJSI_SG_EEENS0_18inequality_wrapperIN6hipcub16HIPCUB_304000_NS8EqualityEEEPlJSF_EEE10hipError_tPvRmT3_T4_T5_T6_T7_T9_mT8_P12ihipStream_tbDpT10_ENKUlT_T0_E_clISt17integral_constantIbLb0EES1A_EEDaS15_S16_EUlS15_E_NS1_11comp_targetILNS1_3genE8ELNS1_11target_archE1030ELNS1_3gpuE2ELNS1_3repE0EEENS1_30default_config_static_selectorELNS0_4arch9wavefront6targetE0EEEvT1_,comdat
.Lfunc_end8:
	.size	_ZN7rocprim17ROCPRIM_400000_NS6detail17trampoline_kernelINS0_14default_configENS1_25partition_config_selectorILNS1_17partition_subalgoE9EiibEEZZNS1_14partition_implILS5_9ELb0ES3_jPKiN6thrust23THRUST_200600_302600_NS17counting_iteratorIiNSB_11use_defaultESD_SD_EEPNS0_10empty_typeENS0_5tupleIJPiSF_EEENSH_IJSI_SG_EEENS0_18inequality_wrapperIN6hipcub16HIPCUB_304000_NS8EqualityEEEPlJSF_EEE10hipError_tPvRmT3_T4_T5_T6_T7_T9_mT8_P12ihipStream_tbDpT10_ENKUlT_T0_E_clISt17integral_constantIbLb0EES1A_EEDaS15_S16_EUlS15_E_NS1_11comp_targetILNS1_3genE8ELNS1_11target_archE1030ELNS1_3gpuE2ELNS1_3repE0EEENS1_30default_config_static_selectorELNS0_4arch9wavefront6targetE0EEEvT1_, .Lfunc_end8-_ZN7rocprim17ROCPRIM_400000_NS6detail17trampoline_kernelINS0_14default_configENS1_25partition_config_selectorILNS1_17partition_subalgoE9EiibEEZZNS1_14partition_implILS5_9ELb0ES3_jPKiN6thrust23THRUST_200600_302600_NS17counting_iteratorIiNSB_11use_defaultESD_SD_EEPNS0_10empty_typeENS0_5tupleIJPiSF_EEENSH_IJSI_SG_EEENS0_18inequality_wrapperIN6hipcub16HIPCUB_304000_NS8EqualityEEEPlJSF_EEE10hipError_tPvRmT3_T4_T5_T6_T7_T9_mT8_P12ihipStream_tbDpT10_ENKUlT_T0_E_clISt17integral_constantIbLb0EES1A_EEDaS15_S16_EUlS15_E_NS1_11comp_targetILNS1_3genE8ELNS1_11target_archE1030ELNS1_3gpuE2ELNS1_3repE0EEENS1_30default_config_static_selectorELNS0_4arch9wavefront6targetE0EEEvT1_
                                        ; -- End function
	.set _ZN7rocprim17ROCPRIM_400000_NS6detail17trampoline_kernelINS0_14default_configENS1_25partition_config_selectorILNS1_17partition_subalgoE9EiibEEZZNS1_14partition_implILS5_9ELb0ES3_jPKiN6thrust23THRUST_200600_302600_NS17counting_iteratorIiNSB_11use_defaultESD_SD_EEPNS0_10empty_typeENS0_5tupleIJPiSF_EEENSH_IJSI_SG_EEENS0_18inequality_wrapperIN6hipcub16HIPCUB_304000_NS8EqualityEEEPlJSF_EEE10hipError_tPvRmT3_T4_T5_T6_T7_T9_mT8_P12ihipStream_tbDpT10_ENKUlT_T0_E_clISt17integral_constantIbLb0EES1A_EEDaS15_S16_EUlS15_E_NS1_11comp_targetILNS1_3genE8ELNS1_11target_archE1030ELNS1_3gpuE2ELNS1_3repE0EEENS1_30default_config_static_selectorELNS0_4arch9wavefront6targetE0EEEvT1_.num_vgpr, 0
	.set _ZN7rocprim17ROCPRIM_400000_NS6detail17trampoline_kernelINS0_14default_configENS1_25partition_config_selectorILNS1_17partition_subalgoE9EiibEEZZNS1_14partition_implILS5_9ELb0ES3_jPKiN6thrust23THRUST_200600_302600_NS17counting_iteratorIiNSB_11use_defaultESD_SD_EEPNS0_10empty_typeENS0_5tupleIJPiSF_EEENSH_IJSI_SG_EEENS0_18inequality_wrapperIN6hipcub16HIPCUB_304000_NS8EqualityEEEPlJSF_EEE10hipError_tPvRmT3_T4_T5_T6_T7_T9_mT8_P12ihipStream_tbDpT10_ENKUlT_T0_E_clISt17integral_constantIbLb0EES1A_EEDaS15_S16_EUlS15_E_NS1_11comp_targetILNS1_3genE8ELNS1_11target_archE1030ELNS1_3gpuE2ELNS1_3repE0EEENS1_30default_config_static_selectorELNS0_4arch9wavefront6targetE0EEEvT1_.num_agpr, 0
	.set _ZN7rocprim17ROCPRIM_400000_NS6detail17trampoline_kernelINS0_14default_configENS1_25partition_config_selectorILNS1_17partition_subalgoE9EiibEEZZNS1_14partition_implILS5_9ELb0ES3_jPKiN6thrust23THRUST_200600_302600_NS17counting_iteratorIiNSB_11use_defaultESD_SD_EEPNS0_10empty_typeENS0_5tupleIJPiSF_EEENSH_IJSI_SG_EEENS0_18inequality_wrapperIN6hipcub16HIPCUB_304000_NS8EqualityEEEPlJSF_EEE10hipError_tPvRmT3_T4_T5_T6_T7_T9_mT8_P12ihipStream_tbDpT10_ENKUlT_T0_E_clISt17integral_constantIbLb0EES1A_EEDaS15_S16_EUlS15_E_NS1_11comp_targetILNS1_3genE8ELNS1_11target_archE1030ELNS1_3gpuE2ELNS1_3repE0EEENS1_30default_config_static_selectorELNS0_4arch9wavefront6targetE0EEEvT1_.numbered_sgpr, 0
	.set _ZN7rocprim17ROCPRIM_400000_NS6detail17trampoline_kernelINS0_14default_configENS1_25partition_config_selectorILNS1_17partition_subalgoE9EiibEEZZNS1_14partition_implILS5_9ELb0ES3_jPKiN6thrust23THRUST_200600_302600_NS17counting_iteratorIiNSB_11use_defaultESD_SD_EEPNS0_10empty_typeENS0_5tupleIJPiSF_EEENSH_IJSI_SG_EEENS0_18inequality_wrapperIN6hipcub16HIPCUB_304000_NS8EqualityEEEPlJSF_EEE10hipError_tPvRmT3_T4_T5_T6_T7_T9_mT8_P12ihipStream_tbDpT10_ENKUlT_T0_E_clISt17integral_constantIbLb0EES1A_EEDaS15_S16_EUlS15_E_NS1_11comp_targetILNS1_3genE8ELNS1_11target_archE1030ELNS1_3gpuE2ELNS1_3repE0EEENS1_30default_config_static_selectorELNS0_4arch9wavefront6targetE0EEEvT1_.num_named_barrier, 0
	.set _ZN7rocprim17ROCPRIM_400000_NS6detail17trampoline_kernelINS0_14default_configENS1_25partition_config_selectorILNS1_17partition_subalgoE9EiibEEZZNS1_14partition_implILS5_9ELb0ES3_jPKiN6thrust23THRUST_200600_302600_NS17counting_iteratorIiNSB_11use_defaultESD_SD_EEPNS0_10empty_typeENS0_5tupleIJPiSF_EEENSH_IJSI_SG_EEENS0_18inequality_wrapperIN6hipcub16HIPCUB_304000_NS8EqualityEEEPlJSF_EEE10hipError_tPvRmT3_T4_T5_T6_T7_T9_mT8_P12ihipStream_tbDpT10_ENKUlT_T0_E_clISt17integral_constantIbLb0EES1A_EEDaS15_S16_EUlS15_E_NS1_11comp_targetILNS1_3genE8ELNS1_11target_archE1030ELNS1_3gpuE2ELNS1_3repE0EEENS1_30default_config_static_selectorELNS0_4arch9wavefront6targetE0EEEvT1_.private_seg_size, 0
	.set _ZN7rocprim17ROCPRIM_400000_NS6detail17trampoline_kernelINS0_14default_configENS1_25partition_config_selectorILNS1_17partition_subalgoE9EiibEEZZNS1_14partition_implILS5_9ELb0ES3_jPKiN6thrust23THRUST_200600_302600_NS17counting_iteratorIiNSB_11use_defaultESD_SD_EEPNS0_10empty_typeENS0_5tupleIJPiSF_EEENSH_IJSI_SG_EEENS0_18inequality_wrapperIN6hipcub16HIPCUB_304000_NS8EqualityEEEPlJSF_EEE10hipError_tPvRmT3_T4_T5_T6_T7_T9_mT8_P12ihipStream_tbDpT10_ENKUlT_T0_E_clISt17integral_constantIbLb0EES1A_EEDaS15_S16_EUlS15_E_NS1_11comp_targetILNS1_3genE8ELNS1_11target_archE1030ELNS1_3gpuE2ELNS1_3repE0EEENS1_30default_config_static_selectorELNS0_4arch9wavefront6targetE0EEEvT1_.uses_vcc, 0
	.set _ZN7rocprim17ROCPRIM_400000_NS6detail17trampoline_kernelINS0_14default_configENS1_25partition_config_selectorILNS1_17partition_subalgoE9EiibEEZZNS1_14partition_implILS5_9ELb0ES3_jPKiN6thrust23THRUST_200600_302600_NS17counting_iteratorIiNSB_11use_defaultESD_SD_EEPNS0_10empty_typeENS0_5tupleIJPiSF_EEENSH_IJSI_SG_EEENS0_18inequality_wrapperIN6hipcub16HIPCUB_304000_NS8EqualityEEEPlJSF_EEE10hipError_tPvRmT3_T4_T5_T6_T7_T9_mT8_P12ihipStream_tbDpT10_ENKUlT_T0_E_clISt17integral_constantIbLb0EES1A_EEDaS15_S16_EUlS15_E_NS1_11comp_targetILNS1_3genE8ELNS1_11target_archE1030ELNS1_3gpuE2ELNS1_3repE0EEENS1_30default_config_static_selectorELNS0_4arch9wavefront6targetE0EEEvT1_.uses_flat_scratch, 0
	.set _ZN7rocprim17ROCPRIM_400000_NS6detail17trampoline_kernelINS0_14default_configENS1_25partition_config_selectorILNS1_17partition_subalgoE9EiibEEZZNS1_14partition_implILS5_9ELb0ES3_jPKiN6thrust23THRUST_200600_302600_NS17counting_iteratorIiNSB_11use_defaultESD_SD_EEPNS0_10empty_typeENS0_5tupleIJPiSF_EEENSH_IJSI_SG_EEENS0_18inequality_wrapperIN6hipcub16HIPCUB_304000_NS8EqualityEEEPlJSF_EEE10hipError_tPvRmT3_T4_T5_T6_T7_T9_mT8_P12ihipStream_tbDpT10_ENKUlT_T0_E_clISt17integral_constantIbLb0EES1A_EEDaS15_S16_EUlS15_E_NS1_11comp_targetILNS1_3genE8ELNS1_11target_archE1030ELNS1_3gpuE2ELNS1_3repE0EEENS1_30default_config_static_selectorELNS0_4arch9wavefront6targetE0EEEvT1_.has_dyn_sized_stack, 0
	.set _ZN7rocprim17ROCPRIM_400000_NS6detail17trampoline_kernelINS0_14default_configENS1_25partition_config_selectorILNS1_17partition_subalgoE9EiibEEZZNS1_14partition_implILS5_9ELb0ES3_jPKiN6thrust23THRUST_200600_302600_NS17counting_iteratorIiNSB_11use_defaultESD_SD_EEPNS0_10empty_typeENS0_5tupleIJPiSF_EEENSH_IJSI_SG_EEENS0_18inequality_wrapperIN6hipcub16HIPCUB_304000_NS8EqualityEEEPlJSF_EEE10hipError_tPvRmT3_T4_T5_T6_T7_T9_mT8_P12ihipStream_tbDpT10_ENKUlT_T0_E_clISt17integral_constantIbLb0EES1A_EEDaS15_S16_EUlS15_E_NS1_11comp_targetILNS1_3genE8ELNS1_11target_archE1030ELNS1_3gpuE2ELNS1_3repE0EEENS1_30default_config_static_selectorELNS0_4arch9wavefront6targetE0EEEvT1_.has_recursion, 0
	.set _ZN7rocprim17ROCPRIM_400000_NS6detail17trampoline_kernelINS0_14default_configENS1_25partition_config_selectorILNS1_17partition_subalgoE9EiibEEZZNS1_14partition_implILS5_9ELb0ES3_jPKiN6thrust23THRUST_200600_302600_NS17counting_iteratorIiNSB_11use_defaultESD_SD_EEPNS0_10empty_typeENS0_5tupleIJPiSF_EEENSH_IJSI_SG_EEENS0_18inequality_wrapperIN6hipcub16HIPCUB_304000_NS8EqualityEEEPlJSF_EEE10hipError_tPvRmT3_T4_T5_T6_T7_T9_mT8_P12ihipStream_tbDpT10_ENKUlT_T0_E_clISt17integral_constantIbLb0EES1A_EEDaS15_S16_EUlS15_E_NS1_11comp_targetILNS1_3genE8ELNS1_11target_archE1030ELNS1_3gpuE2ELNS1_3repE0EEENS1_30default_config_static_selectorELNS0_4arch9wavefront6targetE0EEEvT1_.has_indirect_call, 0
	.section	.AMDGPU.csdata,"",@progbits
; Kernel info:
; codeLenInByte = 0
; TotalNumSgprs: 0
; NumVgprs: 0
; ScratchSize: 0
; MemoryBound: 0
; FloatMode: 240
; IeeeMode: 1
; LDSByteSize: 0 bytes/workgroup (compile time only)
; SGPRBlocks: 0
; VGPRBlocks: 0
; NumSGPRsForWavesPerEU: 1
; NumVGPRsForWavesPerEU: 1
; Occupancy: 16
; WaveLimiterHint : 0
; COMPUTE_PGM_RSRC2:SCRATCH_EN: 0
; COMPUTE_PGM_RSRC2:USER_SGPR: 2
; COMPUTE_PGM_RSRC2:TRAP_HANDLER: 0
; COMPUTE_PGM_RSRC2:TGID_X_EN: 1
; COMPUTE_PGM_RSRC2:TGID_Y_EN: 0
; COMPUTE_PGM_RSRC2:TGID_Z_EN: 0
; COMPUTE_PGM_RSRC2:TIDIG_COMP_CNT: 0
	.section	.text._ZN7rocprim17ROCPRIM_400000_NS6detail17trampoline_kernelINS0_14default_configENS1_25transform_config_selectorImLb1EEEZNS1_14transform_implILb1ES3_S5_PmPlNS0_8identityIvEEEE10hipError_tT2_T3_mT4_P12ihipStream_tbEUlT_E_NS1_11comp_targetILNS1_3genE0ELNS1_11target_archE4294967295ELNS1_3gpuE0ELNS1_3repE0EEENS1_30default_config_static_selectorELNS0_4arch9wavefront6targetE0EEEvT1_,"axG",@progbits,_ZN7rocprim17ROCPRIM_400000_NS6detail17trampoline_kernelINS0_14default_configENS1_25transform_config_selectorImLb1EEEZNS1_14transform_implILb1ES3_S5_PmPlNS0_8identityIvEEEE10hipError_tT2_T3_mT4_P12ihipStream_tbEUlT_E_NS1_11comp_targetILNS1_3genE0ELNS1_11target_archE4294967295ELNS1_3gpuE0ELNS1_3repE0EEENS1_30default_config_static_selectorELNS0_4arch9wavefront6targetE0EEEvT1_,comdat
	.protected	_ZN7rocprim17ROCPRIM_400000_NS6detail17trampoline_kernelINS0_14default_configENS1_25transform_config_selectorImLb1EEEZNS1_14transform_implILb1ES3_S5_PmPlNS0_8identityIvEEEE10hipError_tT2_T3_mT4_P12ihipStream_tbEUlT_E_NS1_11comp_targetILNS1_3genE0ELNS1_11target_archE4294967295ELNS1_3gpuE0ELNS1_3repE0EEENS1_30default_config_static_selectorELNS0_4arch9wavefront6targetE0EEEvT1_ ; -- Begin function _ZN7rocprim17ROCPRIM_400000_NS6detail17trampoline_kernelINS0_14default_configENS1_25transform_config_selectorImLb1EEEZNS1_14transform_implILb1ES3_S5_PmPlNS0_8identityIvEEEE10hipError_tT2_T3_mT4_P12ihipStream_tbEUlT_E_NS1_11comp_targetILNS1_3genE0ELNS1_11target_archE4294967295ELNS1_3gpuE0ELNS1_3repE0EEENS1_30default_config_static_selectorELNS0_4arch9wavefront6targetE0EEEvT1_
	.globl	_ZN7rocprim17ROCPRIM_400000_NS6detail17trampoline_kernelINS0_14default_configENS1_25transform_config_selectorImLb1EEEZNS1_14transform_implILb1ES3_S5_PmPlNS0_8identityIvEEEE10hipError_tT2_T3_mT4_P12ihipStream_tbEUlT_E_NS1_11comp_targetILNS1_3genE0ELNS1_11target_archE4294967295ELNS1_3gpuE0ELNS1_3repE0EEENS1_30default_config_static_selectorELNS0_4arch9wavefront6targetE0EEEvT1_
	.p2align	8
	.type	_ZN7rocprim17ROCPRIM_400000_NS6detail17trampoline_kernelINS0_14default_configENS1_25transform_config_selectorImLb1EEEZNS1_14transform_implILb1ES3_S5_PmPlNS0_8identityIvEEEE10hipError_tT2_T3_mT4_P12ihipStream_tbEUlT_E_NS1_11comp_targetILNS1_3genE0ELNS1_11target_archE4294967295ELNS1_3gpuE0ELNS1_3repE0EEENS1_30default_config_static_selectorELNS0_4arch9wavefront6targetE0EEEvT1_,@function
_ZN7rocprim17ROCPRIM_400000_NS6detail17trampoline_kernelINS0_14default_configENS1_25transform_config_selectorImLb1EEEZNS1_14transform_implILb1ES3_S5_PmPlNS0_8identityIvEEEE10hipError_tT2_T3_mT4_P12ihipStream_tbEUlT_E_NS1_11comp_targetILNS1_3genE0ELNS1_11target_archE4294967295ELNS1_3gpuE0ELNS1_3repE0EEENS1_30default_config_static_selectorELNS0_4arch9wavefront6targetE0EEEvT1_: ; @_ZN7rocprim17ROCPRIM_400000_NS6detail17trampoline_kernelINS0_14default_configENS1_25transform_config_selectorImLb1EEEZNS1_14transform_implILb1ES3_S5_PmPlNS0_8identityIvEEEE10hipError_tT2_T3_mT4_P12ihipStream_tbEUlT_E_NS1_11comp_targetILNS1_3genE0ELNS1_11target_archE4294967295ELNS1_3gpuE0ELNS1_3repE0EEENS1_30default_config_static_selectorELNS0_4arch9wavefront6targetE0EEEvT1_
; %bb.0:
	.section	.rodata,"a",@progbits
	.p2align	6, 0x0
	.amdhsa_kernel _ZN7rocprim17ROCPRIM_400000_NS6detail17trampoline_kernelINS0_14default_configENS1_25transform_config_selectorImLb1EEEZNS1_14transform_implILb1ES3_S5_PmPlNS0_8identityIvEEEE10hipError_tT2_T3_mT4_P12ihipStream_tbEUlT_E_NS1_11comp_targetILNS1_3genE0ELNS1_11target_archE4294967295ELNS1_3gpuE0ELNS1_3repE0EEENS1_30default_config_static_selectorELNS0_4arch9wavefront6targetE0EEEvT1_
		.amdhsa_group_segment_fixed_size 0
		.amdhsa_private_segment_fixed_size 0
		.amdhsa_kernarg_size 40
		.amdhsa_user_sgpr_count 2
		.amdhsa_user_sgpr_dispatch_ptr 0
		.amdhsa_user_sgpr_queue_ptr 0
		.amdhsa_user_sgpr_kernarg_segment_ptr 1
		.amdhsa_user_sgpr_dispatch_id 0
		.amdhsa_user_sgpr_private_segment_size 0
		.amdhsa_wavefront_size32 1
		.amdhsa_uses_dynamic_stack 0
		.amdhsa_enable_private_segment 0
		.amdhsa_system_sgpr_workgroup_id_x 1
		.amdhsa_system_sgpr_workgroup_id_y 0
		.amdhsa_system_sgpr_workgroup_id_z 0
		.amdhsa_system_sgpr_workgroup_info 0
		.amdhsa_system_vgpr_workitem_id 0
		.amdhsa_next_free_vgpr 1
		.amdhsa_next_free_sgpr 1
		.amdhsa_reserve_vcc 0
		.amdhsa_float_round_mode_32 0
		.amdhsa_float_round_mode_16_64 0
		.amdhsa_float_denorm_mode_32 3
		.amdhsa_float_denorm_mode_16_64 3
		.amdhsa_fp16_overflow 0
		.amdhsa_workgroup_processor_mode 1
		.amdhsa_memory_ordered 1
		.amdhsa_forward_progress 1
		.amdhsa_inst_pref_size 0
		.amdhsa_round_robin_scheduling 0
		.amdhsa_exception_fp_ieee_invalid_op 0
		.amdhsa_exception_fp_denorm_src 0
		.amdhsa_exception_fp_ieee_div_zero 0
		.amdhsa_exception_fp_ieee_overflow 0
		.amdhsa_exception_fp_ieee_underflow 0
		.amdhsa_exception_fp_ieee_inexact 0
		.amdhsa_exception_int_div_zero 0
	.end_amdhsa_kernel
	.section	.text._ZN7rocprim17ROCPRIM_400000_NS6detail17trampoline_kernelINS0_14default_configENS1_25transform_config_selectorImLb1EEEZNS1_14transform_implILb1ES3_S5_PmPlNS0_8identityIvEEEE10hipError_tT2_T3_mT4_P12ihipStream_tbEUlT_E_NS1_11comp_targetILNS1_3genE0ELNS1_11target_archE4294967295ELNS1_3gpuE0ELNS1_3repE0EEENS1_30default_config_static_selectorELNS0_4arch9wavefront6targetE0EEEvT1_,"axG",@progbits,_ZN7rocprim17ROCPRIM_400000_NS6detail17trampoline_kernelINS0_14default_configENS1_25transform_config_selectorImLb1EEEZNS1_14transform_implILb1ES3_S5_PmPlNS0_8identityIvEEEE10hipError_tT2_T3_mT4_P12ihipStream_tbEUlT_E_NS1_11comp_targetILNS1_3genE0ELNS1_11target_archE4294967295ELNS1_3gpuE0ELNS1_3repE0EEENS1_30default_config_static_selectorELNS0_4arch9wavefront6targetE0EEEvT1_,comdat
.Lfunc_end9:
	.size	_ZN7rocprim17ROCPRIM_400000_NS6detail17trampoline_kernelINS0_14default_configENS1_25transform_config_selectorImLb1EEEZNS1_14transform_implILb1ES3_S5_PmPlNS0_8identityIvEEEE10hipError_tT2_T3_mT4_P12ihipStream_tbEUlT_E_NS1_11comp_targetILNS1_3genE0ELNS1_11target_archE4294967295ELNS1_3gpuE0ELNS1_3repE0EEENS1_30default_config_static_selectorELNS0_4arch9wavefront6targetE0EEEvT1_, .Lfunc_end9-_ZN7rocprim17ROCPRIM_400000_NS6detail17trampoline_kernelINS0_14default_configENS1_25transform_config_selectorImLb1EEEZNS1_14transform_implILb1ES3_S5_PmPlNS0_8identityIvEEEE10hipError_tT2_T3_mT4_P12ihipStream_tbEUlT_E_NS1_11comp_targetILNS1_3genE0ELNS1_11target_archE4294967295ELNS1_3gpuE0ELNS1_3repE0EEENS1_30default_config_static_selectorELNS0_4arch9wavefront6targetE0EEEvT1_
                                        ; -- End function
	.set _ZN7rocprim17ROCPRIM_400000_NS6detail17trampoline_kernelINS0_14default_configENS1_25transform_config_selectorImLb1EEEZNS1_14transform_implILb1ES3_S5_PmPlNS0_8identityIvEEEE10hipError_tT2_T3_mT4_P12ihipStream_tbEUlT_E_NS1_11comp_targetILNS1_3genE0ELNS1_11target_archE4294967295ELNS1_3gpuE0ELNS1_3repE0EEENS1_30default_config_static_selectorELNS0_4arch9wavefront6targetE0EEEvT1_.num_vgpr, 0
	.set _ZN7rocprim17ROCPRIM_400000_NS6detail17trampoline_kernelINS0_14default_configENS1_25transform_config_selectorImLb1EEEZNS1_14transform_implILb1ES3_S5_PmPlNS0_8identityIvEEEE10hipError_tT2_T3_mT4_P12ihipStream_tbEUlT_E_NS1_11comp_targetILNS1_3genE0ELNS1_11target_archE4294967295ELNS1_3gpuE0ELNS1_3repE0EEENS1_30default_config_static_selectorELNS0_4arch9wavefront6targetE0EEEvT1_.num_agpr, 0
	.set _ZN7rocprim17ROCPRIM_400000_NS6detail17trampoline_kernelINS0_14default_configENS1_25transform_config_selectorImLb1EEEZNS1_14transform_implILb1ES3_S5_PmPlNS0_8identityIvEEEE10hipError_tT2_T3_mT4_P12ihipStream_tbEUlT_E_NS1_11comp_targetILNS1_3genE0ELNS1_11target_archE4294967295ELNS1_3gpuE0ELNS1_3repE0EEENS1_30default_config_static_selectorELNS0_4arch9wavefront6targetE0EEEvT1_.numbered_sgpr, 0
	.set _ZN7rocprim17ROCPRIM_400000_NS6detail17trampoline_kernelINS0_14default_configENS1_25transform_config_selectorImLb1EEEZNS1_14transform_implILb1ES3_S5_PmPlNS0_8identityIvEEEE10hipError_tT2_T3_mT4_P12ihipStream_tbEUlT_E_NS1_11comp_targetILNS1_3genE0ELNS1_11target_archE4294967295ELNS1_3gpuE0ELNS1_3repE0EEENS1_30default_config_static_selectorELNS0_4arch9wavefront6targetE0EEEvT1_.num_named_barrier, 0
	.set _ZN7rocprim17ROCPRIM_400000_NS6detail17trampoline_kernelINS0_14default_configENS1_25transform_config_selectorImLb1EEEZNS1_14transform_implILb1ES3_S5_PmPlNS0_8identityIvEEEE10hipError_tT2_T3_mT4_P12ihipStream_tbEUlT_E_NS1_11comp_targetILNS1_3genE0ELNS1_11target_archE4294967295ELNS1_3gpuE0ELNS1_3repE0EEENS1_30default_config_static_selectorELNS0_4arch9wavefront6targetE0EEEvT1_.private_seg_size, 0
	.set _ZN7rocprim17ROCPRIM_400000_NS6detail17trampoline_kernelINS0_14default_configENS1_25transform_config_selectorImLb1EEEZNS1_14transform_implILb1ES3_S5_PmPlNS0_8identityIvEEEE10hipError_tT2_T3_mT4_P12ihipStream_tbEUlT_E_NS1_11comp_targetILNS1_3genE0ELNS1_11target_archE4294967295ELNS1_3gpuE0ELNS1_3repE0EEENS1_30default_config_static_selectorELNS0_4arch9wavefront6targetE0EEEvT1_.uses_vcc, 0
	.set _ZN7rocprim17ROCPRIM_400000_NS6detail17trampoline_kernelINS0_14default_configENS1_25transform_config_selectorImLb1EEEZNS1_14transform_implILb1ES3_S5_PmPlNS0_8identityIvEEEE10hipError_tT2_T3_mT4_P12ihipStream_tbEUlT_E_NS1_11comp_targetILNS1_3genE0ELNS1_11target_archE4294967295ELNS1_3gpuE0ELNS1_3repE0EEENS1_30default_config_static_selectorELNS0_4arch9wavefront6targetE0EEEvT1_.uses_flat_scratch, 0
	.set _ZN7rocprim17ROCPRIM_400000_NS6detail17trampoline_kernelINS0_14default_configENS1_25transform_config_selectorImLb1EEEZNS1_14transform_implILb1ES3_S5_PmPlNS0_8identityIvEEEE10hipError_tT2_T3_mT4_P12ihipStream_tbEUlT_E_NS1_11comp_targetILNS1_3genE0ELNS1_11target_archE4294967295ELNS1_3gpuE0ELNS1_3repE0EEENS1_30default_config_static_selectorELNS0_4arch9wavefront6targetE0EEEvT1_.has_dyn_sized_stack, 0
	.set _ZN7rocprim17ROCPRIM_400000_NS6detail17trampoline_kernelINS0_14default_configENS1_25transform_config_selectorImLb1EEEZNS1_14transform_implILb1ES3_S5_PmPlNS0_8identityIvEEEE10hipError_tT2_T3_mT4_P12ihipStream_tbEUlT_E_NS1_11comp_targetILNS1_3genE0ELNS1_11target_archE4294967295ELNS1_3gpuE0ELNS1_3repE0EEENS1_30default_config_static_selectorELNS0_4arch9wavefront6targetE0EEEvT1_.has_recursion, 0
	.set _ZN7rocprim17ROCPRIM_400000_NS6detail17trampoline_kernelINS0_14default_configENS1_25transform_config_selectorImLb1EEEZNS1_14transform_implILb1ES3_S5_PmPlNS0_8identityIvEEEE10hipError_tT2_T3_mT4_P12ihipStream_tbEUlT_E_NS1_11comp_targetILNS1_3genE0ELNS1_11target_archE4294967295ELNS1_3gpuE0ELNS1_3repE0EEENS1_30default_config_static_selectorELNS0_4arch9wavefront6targetE0EEEvT1_.has_indirect_call, 0
	.section	.AMDGPU.csdata,"",@progbits
; Kernel info:
; codeLenInByte = 0
; TotalNumSgprs: 0
; NumVgprs: 0
; ScratchSize: 0
; MemoryBound: 0
; FloatMode: 240
; IeeeMode: 1
; LDSByteSize: 0 bytes/workgroup (compile time only)
; SGPRBlocks: 0
; VGPRBlocks: 0
; NumSGPRsForWavesPerEU: 1
; NumVGPRsForWavesPerEU: 1
; Occupancy: 16
; WaveLimiterHint : 0
; COMPUTE_PGM_RSRC2:SCRATCH_EN: 0
; COMPUTE_PGM_RSRC2:USER_SGPR: 2
; COMPUTE_PGM_RSRC2:TRAP_HANDLER: 0
; COMPUTE_PGM_RSRC2:TGID_X_EN: 1
; COMPUTE_PGM_RSRC2:TGID_Y_EN: 0
; COMPUTE_PGM_RSRC2:TGID_Z_EN: 0
; COMPUTE_PGM_RSRC2:TIDIG_COMP_CNT: 0
	.section	.text._ZN7rocprim17ROCPRIM_400000_NS6detail17trampoline_kernelINS0_14default_configENS1_25transform_config_selectorImLb1EEEZNS1_14transform_implILb1ES3_S5_PmPlNS0_8identityIvEEEE10hipError_tT2_T3_mT4_P12ihipStream_tbEUlT_E_NS1_11comp_targetILNS1_3genE10ELNS1_11target_archE1201ELNS1_3gpuE5ELNS1_3repE0EEENS1_30default_config_static_selectorELNS0_4arch9wavefront6targetE0EEEvT1_,"axG",@progbits,_ZN7rocprim17ROCPRIM_400000_NS6detail17trampoline_kernelINS0_14default_configENS1_25transform_config_selectorImLb1EEEZNS1_14transform_implILb1ES3_S5_PmPlNS0_8identityIvEEEE10hipError_tT2_T3_mT4_P12ihipStream_tbEUlT_E_NS1_11comp_targetILNS1_3genE10ELNS1_11target_archE1201ELNS1_3gpuE5ELNS1_3repE0EEENS1_30default_config_static_selectorELNS0_4arch9wavefront6targetE0EEEvT1_,comdat
	.protected	_ZN7rocprim17ROCPRIM_400000_NS6detail17trampoline_kernelINS0_14default_configENS1_25transform_config_selectorImLb1EEEZNS1_14transform_implILb1ES3_S5_PmPlNS0_8identityIvEEEE10hipError_tT2_T3_mT4_P12ihipStream_tbEUlT_E_NS1_11comp_targetILNS1_3genE10ELNS1_11target_archE1201ELNS1_3gpuE5ELNS1_3repE0EEENS1_30default_config_static_selectorELNS0_4arch9wavefront6targetE0EEEvT1_ ; -- Begin function _ZN7rocprim17ROCPRIM_400000_NS6detail17trampoline_kernelINS0_14default_configENS1_25transform_config_selectorImLb1EEEZNS1_14transform_implILb1ES3_S5_PmPlNS0_8identityIvEEEE10hipError_tT2_T3_mT4_P12ihipStream_tbEUlT_E_NS1_11comp_targetILNS1_3genE10ELNS1_11target_archE1201ELNS1_3gpuE5ELNS1_3repE0EEENS1_30default_config_static_selectorELNS0_4arch9wavefront6targetE0EEEvT1_
	.globl	_ZN7rocprim17ROCPRIM_400000_NS6detail17trampoline_kernelINS0_14default_configENS1_25transform_config_selectorImLb1EEEZNS1_14transform_implILb1ES3_S5_PmPlNS0_8identityIvEEEE10hipError_tT2_T3_mT4_P12ihipStream_tbEUlT_E_NS1_11comp_targetILNS1_3genE10ELNS1_11target_archE1201ELNS1_3gpuE5ELNS1_3repE0EEENS1_30default_config_static_selectorELNS0_4arch9wavefront6targetE0EEEvT1_
	.p2align	8
	.type	_ZN7rocprim17ROCPRIM_400000_NS6detail17trampoline_kernelINS0_14default_configENS1_25transform_config_selectorImLb1EEEZNS1_14transform_implILb1ES3_S5_PmPlNS0_8identityIvEEEE10hipError_tT2_T3_mT4_P12ihipStream_tbEUlT_E_NS1_11comp_targetILNS1_3genE10ELNS1_11target_archE1201ELNS1_3gpuE5ELNS1_3repE0EEENS1_30default_config_static_selectorELNS0_4arch9wavefront6targetE0EEEvT1_,@function
_ZN7rocprim17ROCPRIM_400000_NS6detail17trampoline_kernelINS0_14default_configENS1_25transform_config_selectorImLb1EEEZNS1_14transform_implILb1ES3_S5_PmPlNS0_8identityIvEEEE10hipError_tT2_T3_mT4_P12ihipStream_tbEUlT_E_NS1_11comp_targetILNS1_3genE10ELNS1_11target_archE1201ELNS1_3gpuE5ELNS1_3repE0EEENS1_30default_config_static_selectorELNS0_4arch9wavefront6targetE0EEEvT1_: ; @_ZN7rocprim17ROCPRIM_400000_NS6detail17trampoline_kernelINS0_14default_configENS1_25transform_config_selectorImLb1EEEZNS1_14transform_implILb1ES3_S5_PmPlNS0_8identityIvEEEE10hipError_tT2_T3_mT4_P12ihipStream_tbEUlT_E_NS1_11comp_targetILNS1_3genE10ELNS1_11target_archE1201ELNS1_3gpuE5ELNS1_3repE0EEENS1_30default_config_static_selectorELNS0_4arch9wavefront6targetE0EEEvT1_
; %bb.0:
	s_clause 0x1
	s_load_b256 s[4:11], s[0:1], 0x0
	s_load_b32 s12, s[0:1], 0x28
	s_lshl_b32 s0, ttmp9, 11
	s_mov_b32 s1, 0
	s_wait_kmcnt 0x0
	s_mov_b32 s9, -1
	s_lshl_b64 s[2:3], s[6:7], 3
	s_add_co_i32 s12, s12, -1
	s_add_nc_u64 s[6:7], s[4:5], s[2:3]
	s_lshl_b64 s[4:5], s[0:1], 3
	s_add_nc_u64 s[2:3], s[10:11], s[2:3]
	s_cmp_lg_u32 ttmp9, s12
	s_add_nc_u64 s[6:7], s[6:7], s[4:5]
	s_cbranch_scc0 .LBB10_2
; %bb.1:
	v_lshlrev_b32_e32 v5, 4, v0
	s_add_nc_u64 s[10:11], s[2:3], s[4:5]
	s_mov_b32 s9, 0
	global_load_b128 v[1:4], v5, s[6:7] th:TH_LOAD_NT
	s_wait_loadcnt 0x0
	global_store_b128 v5, v[1:4], s[10:11]
.LBB10_2:
	s_and_not1_b32 vcc_lo, exec_lo, s9
	s_cbranch_vccnz .LBB10_11
; %bb.3:
	v_mov_b32_e32 v1, 0
	s_sub_co_i32 s1, s8, s0
	s_delay_alu instid0(SALU_CYCLE_1) | instskip(NEXT) | instid1(VALU_DEP_2)
	v_cmp_gt_u32_e32 vcc_lo, s1, v0
	v_dual_mov_b32 v2, v1 :: v_dual_mov_b32 v3, v1
	v_mov_b32_e32 v4, v1
	s_and_saveexec_b32 s0, vcc_lo
	s_cbranch_execz .LBB10_5
; %bb.4:
	v_dual_mov_b32 v5, v1 :: v_dual_lshlrev_b32 v2, 3, v0
	v_mov_b32_e32 v4, v1
	global_load_b64 v[2:3], v2, s[6:7]
	s_wait_loadcnt 0x0
	v_mov_b32_e32 v1, v2
	v_mov_b32_e32 v2, v3
	v_mov_b32_e32 v3, v4
	v_mov_b32_e32 v4, v5
.LBB10_5:
	s_wait_alu 0xfffe
	s_or_b32 exec_lo, exec_lo, s0
	v_or_b32_e32 v5, 0x400, v0
	s_delay_alu instid0(VALU_DEP_1) | instskip(SKIP_2) | instid1(SALU_CYCLE_1)
	v_cmp_gt_u32_e64 s0, s1, v5
	v_cmp_le_u32_e64 s1, s1, v5
	s_and_saveexec_b32 s8, s1
	s_xor_b32 s1, exec_lo, s8
	s_wait_alu 0xfffe
	s_and_not1_saveexec_b32 s1, s1
	s_cbranch_execz .LBB10_7
; %bb.6:
	v_lshlrev_b32_e32 v3, 3, v0
	global_load_b64 v[3:4], v3, s[6:7] offset:8192
.LBB10_7:
	s_wait_alu 0xfffe
	s_or_b32 exec_lo, exec_lo, s1
	v_dual_cndmask_b32 v5, 0, v1 :: v_dual_lshlrev_b32 v0, 3, v0
	s_add_nc_u64 s[2:3], s[2:3], s[4:5]
	v_cndmask_b32_e32 v6, 0, v2, vcc_lo
	s_delay_alu instid0(VALU_DEP_2)
	v_add_co_u32 v0, s1, s2, v0
	s_wait_alu 0xf1ff
	v_add_co_ci_u32_e64 v1, null, s3, 0, s1
	s_and_saveexec_b32 s1, vcc_lo
	s_cbranch_execz .LBB10_9
; %bb.8:
	global_store_b64 v[0:1], v[5:6], off
.LBB10_9:
	s_wait_alu 0xfffe
	s_or_b32 exec_lo, exec_lo, s1
	s_and_saveexec_b32 s1, s0
	s_cbranch_execz .LBB10_11
; %bb.10:
	s_wait_loadcnt 0x0
	v_cndmask_b32_e64 v4, 0, v4, s0
	v_cndmask_b32_e64 v3, 0, v3, s0
	global_store_b64 v[0:1], v[3:4], off offset:8192
.LBB10_11:
	s_endpgm
	.section	.rodata,"a",@progbits
	.p2align	6, 0x0
	.amdhsa_kernel _ZN7rocprim17ROCPRIM_400000_NS6detail17trampoline_kernelINS0_14default_configENS1_25transform_config_selectorImLb1EEEZNS1_14transform_implILb1ES3_S5_PmPlNS0_8identityIvEEEE10hipError_tT2_T3_mT4_P12ihipStream_tbEUlT_E_NS1_11comp_targetILNS1_3genE10ELNS1_11target_archE1201ELNS1_3gpuE5ELNS1_3repE0EEENS1_30default_config_static_selectorELNS0_4arch9wavefront6targetE0EEEvT1_
		.amdhsa_group_segment_fixed_size 0
		.amdhsa_private_segment_fixed_size 0
		.amdhsa_kernarg_size 296
		.amdhsa_user_sgpr_count 2
		.amdhsa_user_sgpr_dispatch_ptr 0
		.amdhsa_user_sgpr_queue_ptr 0
		.amdhsa_user_sgpr_kernarg_segment_ptr 1
		.amdhsa_user_sgpr_dispatch_id 0
		.amdhsa_user_sgpr_private_segment_size 0
		.amdhsa_wavefront_size32 1
		.amdhsa_uses_dynamic_stack 0
		.amdhsa_enable_private_segment 0
		.amdhsa_system_sgpr_workgroup_id_x 1
		.amdhsa_system_sgpr_workgroup_id_y 0
		.amdhsa_system_sgpr_workgroup_id_z 0
		.amdhsa_system_sgpr_workgroup_info 0
		.amdhsa_system_vgpr_workitem_id 0
		.amdhsa_next_free_vgpr 7
		.amdhsa_next_free_sgpr 13
		.amdhsa_reserve_vcc 1
		.amdhsa_float_round_mode_32 0
		.amdhsa_float_round_mode_16_64 0
		.amdhsa_float_denorm_mode_32 3
		.amdhsa_float_denorm_mode_16_64 3
		.amdhsa_fp16_overflow 0
		.amdhsa_workgroup_processor_mode 1
		.amdhsa_memory_ordered 1
		.amdhsa_forward_progress 1
		.amdhsa_inst_pref_size 4
		.amdhsa_round_robin_scheduling 0
		.amdhsa_exception_fp_ieee_invalid_op 0
		.amdhsa_exception_fp_denorm_src 0
		.amdhsa_exception_fp_ieee_div_zero 0
		.amdhsa_exception_fp_ieee_overflow 0
		.amdhsa_exception_fp_ieee_underflow 0
		.amdhsa_exception_fp_ieee_inexact 0
		.amdhsa_exception_int_div_zero 0
	.end_amdhsa_kernel
	.section	.text._ZN7rocprim17ROCPRIM_400000_NS6detail17trampoline_kernelINS0_14default_configENS1_25transform_config_selectorImLb1EEEZNS1_14transform_implILb1ES3_S5_PmPlNS0_8identityIvEEEE10hipError_tT2_T3_mT4_P12ihipStream_tbEUlT_E_NS1_11comp_targetILNS1_3genE10ELNS1_11target_archE1201ELNS1_3gpuE5ELNS1_3repE0EEENS1_30default_config_static_selectorELNS0_4arch9wavefront6targetE0EEEvT1_,"axG",@progbits,_ZN7rocprim17ROCPRIM_400000_NS6detail17trampoline_kernelINS0_14default_configENS1_25transform_config_selectorImLb1EEEZNS1_14transform_implILb1ES3_S5_PmPlNS0_8identityIvEEEE10hipError_tT2_T3_mT4_P12ihipStream_tbEUlT_E_NS1_11comp_targetILNS1_3genE10ELNS1_11target_archE1201ELNS1_3gpuE5ELNS1_3repE0EEENS1_30default_config_static_selectorELNS0_4arch9wavefront6targetE0EEEvT1_,comdat
.Lfunc_end10:
	.size	_ZN7rocprim17ROCPRIM_400000_NS6detail17trampoline_kernelINS0_14default_configENS1_25transform_config_selectorImLb1EEEZNS1_14transform_implILb1ES3_S5_PmPlNS0_8identityIvEEEE10hipError_tT2_T3_mT4_P12ihipStream_tbEUlT_E_NS1_11comp_targetILNS1_3genE10ELNS1_11target_archE1201ELNS1_3gpuE5ELNS1_3repE0EEENS1_30default_config_static_selectorELNS0_4arch9wavefront6targetE0EEEvT1_, .Lfunc_end10-_ZN7rocprim17ROCPRIM_400000_NS6detail17trampoline_kernelINS0_14default_configENS1_25transform_config_selectorImLb1EEEZNS1_14transform_implILb1ES3_S5_PmPlNS0_8identityIvEEEE10hipError_tT2_T3_mT4_P12ihipStream_tbEUlT_E_NS1_11comp_targetILNS1_3genE10ELNS1_11target_archE1201ELNS1_3gpuE5ELNS1_3repE0EEENS1_30default_config_static_selectorELNS0_4arch9wavefront6targetE0EEEvT1_
                                        ; -- End function
	.set _ZN7rocprim17ROCPRIM_400000_NS6detail17trampoline_kernelINS0_14default_configENS1_25transform_config_selectorImLb1EEEZNS1_14transform_implILb1ES3_S5_PmPlNS0_8identityIvEEEE10hipError_tT2_T3_mT4_P12ihipStream_tbEUlT_E_NS1_11comp_targetILNS1_3genE10ELNS1_11target_archE1201ELNS1_3gpuE5ELNS1_3repE0EEENS1_30default_config_static_selectorELNS0_4arch9wavefront6targetE0EEEvT1_.num_vgpr, 7
	.set _ZN7rocprim17ROCPRIM_400000_NS6detail17trampoline_kernelINS0_14default_configENS1_25transform_config_selectorImLb1EEEZNS1_14transform_implILb1ES3_S5_PmPlNS0_8identityIvEEEE10hipError_tT2_T3_mT4_P12ihipStream_tbEUlT_E_NS1_11comp_targetILNS1_3genE10ELNS1_11target_archE1201ELNS1_3gpuE5ELNS1_3repE0EEENS1_30default_config_static_selectorELNS0_4arch9wavefront6targetE0EEEvT1_.num_agpr, 0
	.set _ZN7rocprim17ROCPRIM_400000_NS6detail17trampoline_kernelINS0_14default_configENS1_25transform_config_selectorImLb1EEEZNS1_14transform_implILb1ES3_S5_PmPlNS0_8identityIvEEEE10hipError_tT2_T3_mT4_P12ihipStream_tbEUlT_E_NS1_11comp_targetILNS1_3genE10ELNS1_11target_archE1201ELNS1_3gpuE5ELNS1_3repE0EEENS1_30default_config_static_selectorELNS0_4arch9wavefront6targetE0EEEvT1_.numbered_sgpr, 13
	.set _ZN7rocprim17ROCPRIM_400000_NS6detail17trampoline_kernelINS0_14default_configENS1_25transform_config_selectorImLb1EEEZNS1_14transform_implILb1ES3_S5_PmPlNS0_8identityIvEEEE10hipError_tT2_T3_mT4_P12ihipStream_tbEUlT_E_NS1_11comp_targetILNS1_3genE10ELNS1_11target_archE1201ELNS1_3gpuE5ELNS1_3repE0EEENS1_30default_config_static_selectorELNS0_4arch9wavefront6targetE0EEEvT1_.num_named_barrier, 0
	.set _ZN7rocprim17ROCPRIM_400000_NS6detail17trampoline_kernelINS0_14default_configENS1_25transform_config_selectorImLb1EEEZNS1_14transform_implILb1ES3_S5_PmPlNS0_8identityIvEEEE10hipError_tT2_T3_mT4_P12ihipStream_tbEUlT_E_NS1_11comp_targetILNS1_3genE10ELNS1_11target_archE1201ELNS1_3gpuE5ELNS1_3repE0EEENS1_30default_config_static_selectorELNS0_4arch9wavefront6targetE0EEEvT1_.private_seg_size, 0
	.set _ZN7rocprim17ROCPRIM_400000_NS6detail17trampoline_kernelINS0_14default_configENS1_25transform_config_selectorImLb1EEEZNS1_14transform_implILb1ES3_S5_PmPlNS0_8identityIvEEEE10hipError_tT2_T3_mT4_P12ihipStream_tbEUlT_E_NS1_11comp_targetILNS1_3genE10ELNS1_11target_archE1201ELNS1_3gpuE5ELNS1_3repE0EEENS1_30default_config_static_selectorELNS0_4arch9wavefront6targetE0EEEvT1_.uses_vcc, 1
	.set _ZN7rocprim17ROCPRIM_400000_NS6detail17trampoline_kernelINS0_14default_configENS1_25transform_config_selectorImLb1EEEZNS1_14transform_implILb1ES3_S5_PmPlNS0_8identityIvEEEE10hipError_tT2_T3_mT4_P12ihipStream_tbEUlT_E_NS1_11comp_targetILNS1_3genE10ELNS1_11target_archE1201ELNS1_3gpuE5ELNS1_3repE0EEENS1_30default_config_static_selectorELNS0_4arch9wavefront6targetE0EEEvT1_.uses_flat_scratch, 0
	.set _ZN7rocprim17ROCPRIM_400000_NS6detail17trampoline_kernelINS0_14default_configENS1_25transform_config_selectorImLb1EEEZNS1_14transform_implILb1ES3_S5_PmPlNS0_8identityIvEEEE10hipError_tT2_T3_mT4_P12ihipStream_tbEUlT_E_NS1_11comp_targetILNS1_3genE10ELNS1_11target_archE1201ELNS1_3gpuE5ELNS1_3repE0EEENS1_30default_config_static_selectorELNS0_4arch9wavefront6targetE0EEEvT1_.has_dyn_sized_stack, 0
	.set _ZN7rocprim17ROCPRIM_400000_NS6detail17trampoline_kernelINS0_14default_configENS1_25transform_config_selectorImLb1EEEZNS1_14transform_implILb1ES3_S5_PmPlNS0_8identityIvEEEE10hipError_tT2_T3_mT4_P12ihipStream_tbEUlT_E_NS1_11comp_targetILNS1_3genE10ELNS1_11target_archE1201ELNS1_3gpuE5ELNS1_3repE0EEENS1_30default_config_static_selectorELNS0_4arch9wavefront6targetE0EEEvT1_.has_recursion, 0
	.set _ZN7rocprim17ROCPRIM_400000_NS6detail17trampoline_kernelINS0_14default_configENS1_25transform_config_selectorImLb1EEEZNS1_14transform_implILb1ES3_S5_PmPlNS0_8identityIvEEEE10hipError_tT2_T3_mT4_P12ihipStream_tbEUlT_E_NS1_11comp_targetILNS1_3genE10ELNS1_11target_archE1201ELNS1_3gpuE5ELNS1_3repE0EEENS1_30default_config_static_selectorELNS0_4arch9wavefront6targetE0EEEvT1_.has_indirect_call, 0
	.section	.AMDGPU.csdata,"",@progbits
; Kernel info:
; codeLenInByte = 388
; TotalNumSgprs: 15
; NumVgprs: 7
; ScratchSize: 0
; MemoryBound: 1
; FloatMode: 240
; IeeeMode: 1
; LDSByteSize: 0 bytes/workgroup (compile time only)
; SGPRBlocks: 0
; VGPRBlocks: 0
; NumSGPRsForWavesPerEU: 15
; NumVGPRsForWavesPerEU: 7
; Occupancy: 16
; WaveLimiterHint : 0
; COMPUTE_PGM_RSRC2:SCRATCH_EN: 0
; COMPUTE_PGM_RSRC2:USER_SGPR: 2
; COMPUTE_PGM_RSRC2:TRAP_HANDLER: 0
; COMPUTE_PGM_RSRC2:TGID_X_EN: 1
; COMPUTE_PGM_RSRC2:TGID_Y_EN: 0
; COMPUTE_PGM_RSRC2:TGID_Z_EN: 0
; COMPUTE_PGM_RSRC2:TIDIG_COMP_CNT: 0
	.section	.text._ZN7rocprim17ROCPRIM_400000_NS6detail17trampoline_kernelINS0_14default_configENS1_25transform_config_selectorImLb1EEEZNS1_14transform_implILb1ES3_S5_PmPlNS0_8identityIvEEEE10hipError_tT2_T3_mT4_P12ihipStream_tbEUlT_E_NS1_11comp_targetILNS1_3genE5ELNS1_11target_archE942ELNS1_3gpuE9ELNS1_3repE0EEENS1_30default_config_static_selectorELNS0_4arch9wavefront6targetE0EEEvT1_,"axG",@progbits,_ZN7rocprim17ROCPRIM_400000_NS6detail17trampoline_kernelINS0_14default_configENS1_25transform_config_selectorImLb1EEEZNS1_14transform_implILb1ES3_S5_PmPlNS0_8identityIvEEEE10hipError_tT2_T3_mT4_P12ihipStream_tbEUlT_E_NS1_11comp_targetILNS1_3genE5ELNS1_11target_archE942ELNS1_3gpuE9ELNS1_3repE0EEENS1_30default_config_static_selectorELNS0_4arch9wavefront6targetE0EEEvT1_,comdat
	.protected	_ZN7rocprim17ROCPRIM_400000_NS6detail17trampoline_kernelINS0_14default_configENS1_25transform_config_selectorImLb1EEEZNS1_14transform_implILb1ES3_S5_PmPlNS0_8identityIvEEEE10hipError_tT2_T3_mT4_P12ihipStream_tbEUlT_E_NS1_11comp_targetILNS1_3genE5ELNS1_11target_archE942ELNS1_3gpuE9ELNS1_3repE0EEENS1_30default_config_static_selectorELNS0_4arch9wavefront6targetE0EEEvT1_ ; -- Begin function _ZN7rocprim17ROCPRIM_400000_NS6detail17trampoline_kernelINS0_14default_configENS1_25transform_config_selectorImLb1EEEZNS1_14transform_implILb1ES3_S5_PmPlNS0_8identityIvEEEE10hipError_tT2_T3_mT4_P12ihipStream_tbEUlT_E_NS1_11comp_targetILNS1_3genE5ELNS1_11target_archE942ELNS1_3gpuE9ELNS1_3repE0EEENS1_30default_config_static_selectorELNS0_4arch9wavefront6targetE0EEEvT1_
	.globl	_ZN7rocprim17ROCPRIM_400000_NS6detail17trampoline_kernelINS0_14default_configENS1_25transform_config_selectorImLb1EEEZNS1_14transform_implILb1ES3_S5_PmPlNS0_8identityIvEEEE10hipError_tT2_T3_mT4_P12ihipStream_tbEUlT_E_NS1_11comp_targetILNS1_3genE5ELNS1_11target_archE942ELNS1_3gpuE9ELNS1_3repE0EEENS1_30default_config_static_selectorELNS0_4arch9wavefront6targetE0EEEvT1_
	.p2align	8
	.type	_ZN7rocprim17ROCPRIM_400000_NS6detail17trampoline_kernelINS0_14default_configENS1_25transform_config_selectorImLb1EEEZNS1_14transform_implILb1ES3_S5_PmPlNS0_8identityIvEEEE10hipError_tT2_T3_mT4_P12ihipStream_tbEUlT_E_NS1_11comp_targetILNS1_3genE5ELNS1_11target_archE942ELNS1_3gpuE9ELNS1_3repE0EEENS1_30default_config_static_selectorELNS0_4arch9wavefront6targetE0EEEvT1_,@function
_ZN7rocprim17ROCPRIM_400000_NS6detail17trampoline_kernelINS0_14default_configENS1_25transform_config_selectorImLb1EEEZNS1_14transform_implILb1ES3_S5_PmPlNS0_8identityIvEEEE10hipError_tT2_T3_mT4_P12ihipStream_tbEUlT_E_NS1_11comp_targetILNS1_3genE5ELNS1_11target_archE942ELNS1_3gpuE9ELNS1_3repE0EEENS1_30default_config_static_selectorELNS0_4arch9wavefront6targetE0EEEvT1_: ; @_ZN7rocprim17ROCPRIM_400000_NS6detail17trampoline_kernelINS0_14default_configENS1_25transform_config_selectorImLb1EEEZNS1_14transform_implILb1ES3_S5_PmPlNS0_8identityIvEEEE10hipError_tT2_T3_mT4_P12ihipStream_tbEUlT_E_NS1_11comp_targetILNS1_3genE5ELNS1_11target_archE942ELNS1_3gpuE9ELNS1_3repE0EEENS1_30default_config_static_selectorELNS0_4arch9wavefront6targetE0EEEvT1_
; %bb.0:
	.section	.rodata,"a",@progbits
	.p2align	6, 0x0
	.amdhsa_kernel _ZN7rocprim17ROCPRIM_400000_NS6detail17trampoline_kernelINS0_14default_configENS1_25transform_config_selectorImLb1EEEZNS1_14transform_implILb1ES3_S5_PmPlNS0_8identityIvEEEE10hipError_tT2_T3_mT4_P12ihipStream_tbEUlT_E_NS1_11comp_targetILNS1_3genE5ELNS1_11target_archE942ELNS1_3gpuE9ELNS1_3repE0EEENS1_30default_config_static_selectorELNS0_4arch9wavefront6targetE0EEEvT1_
		.amdhsa_group_segment_fixed_size 0
		.amdhsa_private_segment_fixed_size 0
		.amdhsa_kernarg_size 40
		.amdhsa_user_sgpr_count 2
		.amdhsa_user_sgpr_dispatch_ptr 0
		.amdhsa_user_sgpr_queue_ptr 0
		.amdhsa_user_sgpr_kernarg_segment_ptr 1
		.amdhsa_user_sgpr_dispatch_id 0
		.amdhsa_user_sgpr_private_segment_size 0
		.amdhsa_wavefront_size32 1
		.amdhsa_uses_dynamic_stack 0
		.amdhsa_enable_private_segment 0
		.amdhsa_system_sgpr_workgroup_id_x 1
		.amdhsa_system_sgpr_workgroup_id_y 0
		.amdhsa_system_sgpr_workgroup_id_z 0
		.amdhsa_system_sgpr_workgroup_info 0
		.amdhsa_system_vgpr_workitem_id 0
		.amdhsa_next_free_vgpr 1
		.amdhsa_next_free_sgpr 1
		.amdhsa_reserve_vcc 0
		.amdhsa_float_round_mode_32 0
		.amdhsa_float_round_mode_16_64 0
		.amdhsa_float_denorm_mode_32 3
		.amdhsa_float_denorm_mode_16_64 3
		.amdhsa_fp16_overflow 0
		.amdhsa_workgroup_processor_mode 1
		.amdhsa_memory_ordered 1
		.amdhsa_forward_progress 1
		.amdhsa_inst_pref_size 0
		.amdhsa_round_robin_scheduling 0
		.amdhsa_exception_fp_ieee_invalid_op 0
		.amdhsa_exception_fp_denorm_src 0
		.amdhsa_exception_fp_ieee_div_zero 0
		.amdhsa_exception_fp_ieee_overflow 0
		.amdhsa_exception_fp_ieee_underflow 0
		.amdhsa_exception_fp_ieee_inexact 0
		.amdhsa_exception_int_div_zero 0
	.end_amdhsa_kernel
	.section	.text._ZN7rocprim17ROCPRIM_400000_NS6detail17trampoline_kernelINS0_14default_configENS1_25transform_config_selectorImLb1EEEZNS1_14transform_implILb1ES3_S5_PmPlNS0_8identityIvEEEE10hipError_tT2_T3_mT4_P12ihipStream_tbEUlT_E_NS1_11comp_targetILNS1_3genE5ELNS1_11target_archE942ELNS1_3gpuE9ELNS1_3repE0EEENS1_30default_config_static_selectorELNS0_4arch9wavefront6targetE0EEEvT1_,"axG",@progbits,_ZN7rocprim17ROCPRIM_400000_NS6detail17trampoline_kernelINS0_14default_configENS1_25transform_config_selectorImLb1EEEZNS1_14transform_implILb1ES3_S5_PmPlNS0_8identityIvEEEE10hipError_tT2_T3_mT4_P12ihipStream_tbEUlT_E_NS1_11comp_targetILNS1_3genE5ELNS1_11target_archE942ELNS1_3gpuE9ELNS1_3repE0EEENS1_30default_config_static_selectorELNS0_4arch9wavefront6targetE0EEEvT1_,comdat
.Lfunc_end11:
	.size	_ZN7rocprim17ROCPRIM_400000_NS6detail17trampoline_kernelINS0_14default_configENS1_25transform_config_selectorImLb1EEEZNS1_14transform_implILb1ES3_S5_PmPlNS0_8identityIvEEEE10hipError_tT2_T3_mT4_P12ihipStream_tbEUlT_E_NS1_11comp_targetILNS1_3genE5ELNS1_11target_archE942ELNS1_3gpuE9ELNS1_3repE0EEENS1_30default_config_static_selectorELNS0_4arch9wavefront6targetE0EEEvT1_, .Lfunc_end11-_ZN7rocprim17ROCPRIM_400000_NS6detail17trampoline_kernelINS0_14default_configENS1_25transform_config_selectorImLb1EEEZNS1_14transform_implILb1ES3_S5_PmPlNS0_8identityIvEEEE10hipError_tT2_T3_mT4_P12ihipStream_tbEUlT_E_NS1_11comp_targetILNS1_3genE5ELNS1_11target_archE942ELNS1_3gpuE9ELNS1_3repE0EEENS1_30default_config_static_selectorELNS0_4arch9wavefront6targetE0EEEvT1_
                                        ; -- End function
	.set _ZN7rocprim17ROCPRIM_400000_NS6detail17trampoline_kernelINS0_14default_configENS1_25transform_config_selectorImLb1EEEZNS1_14transform_implILb1ES3_S5_PmPlNS0_8identityIvEEEE10hipError_tT2_T3_mT4_P12ihipStream_tbEUlT_E_NS1_11comp_targetILNS1_3genE5ELNS1_11target_archE942ELNS1_3gpuE9ELNS1_3repE0EEENS1_30default_config_static_selectorELNS0_4arch9wavefront6targetE0EEEvT1_.num_vgpr, 0
	.set _ZN7rocprim17ROCPRIM_400000_NS6detail17trampoline_kernelINS0_14default_configENS1_25transform_config_selectorImLb1EEEZNS1_14transform_implILb1ES3_S5_PmPlNS0_8identityIvEEEE10hipError_tT2_T3_mT4_P12ihipStream_tbEUlT_E_NS1_11comp_targetILNS1_3genE5ELNS1_11target_archE942ELNS1_3gpuE9ELNS1_3repE0EEENS1_30default_config_static_selectorELNS0_4arch9wavefront6targetE0EEEvT1_.num_agpr, 0
	.set _ZN7rocprim17ROCPRIM_400000_NS6detail17trampoline_kernelINS0_14default_configENS1_25transform_config_selectorImLb1EEEZNS1_14transform_implILb1ES3_S5_PmPlNS0_8identityIvEEEE10hipError_tT2_T3_mT4_P12ihipStream_tbEUlT_E_NS1_11comp_targetILNS1_3genE5ELNS1_11target_archE942ELNS1_3gpuE9ELNS1_3repE0EEENS1_30default_config_static_selectorELNS0_4arch9wavefront6targetE0EEEvT1_.numbered_sgpr, 0
	.set _ZN7rocprim17ROCPRIM_400000_NS6detail17trampoline_kernelINS0_14default_configENS1_25transform_config_selectorImLb1EEEZNS1_14transform_implILb1ES3_S5_PmPlNS0_8identityIvEEEE10hipError_tT2_T3_mT4_P12ihipStream_tbEUlT_E_NS1_11comp_targetILNS1_3genE5ELNS1_11target_archE942ELNS1_3gpuE9ELNS1_3repE0EEENS1_30default_config_static_selectorELNS0_4arch9wavefront6targetE0EEEvT1_.num_named_barrier, 0
	.set _ZN7rocprim17ROCPRIM_400000_NS6detail17trampoline_kernelINS0_14default_configENS1_25transform_config_selectorImLb1EEEZNS1_14transform_implILb1ES3_S5_PmPlNS0_8identityIvEEEE10hipError_tT2_T3_mT4_P12ihipStream_tbEUlT_E_NS1_11comp_targetILNS1_3genE5ELNS1_11target_archE942ELNS1_3gpuE9ELNS1_3repE0EEENS1_30default_config_static_selectorELNS0_4arch9wavefront6targetE0EEEvT1_.private_seg_size, 0
	.set _ZN7rocprim17ROCPRIM_400000_NS6detail17trampoline_kernelINS0_14default_configENS1_25transform_config_selectorImLb1EEEZNS1_14transform_implILb1ES3_S5_PmPlNS0_8identityIvEEEE10hipError_tT2_T3_mT4_P12ihipStream_tbEUlT_E_NS1_11comp_targetILNS1_3genE5ELNS1_11target_archE942ELNS1_3gpuE9ELNS1_3repE0EEENS1_30default_config_static_selectorELNS0_4arch9wavefront6targetE0EEEvT1_.uses_vcc, 0
	.set _ZN7rocprim17ROCPRIM_400000_NS6detail17trampoline_kernelINS0_14default_configENS1_25transform_config_selectorImLb1EEEZNS1_14transform_implILb1ES3_S5_PmPlNS0_8identityIvEEEE10hipError_tT2_T3_mT4_P12ihipStream_tbEUlT_E_NS1_11comp_targetILNS1_3genE5ELNS1_11target_archE942ELNS1_3gpuE9ELNS1_3repE0EEENS1_30default_config_static_selectorELNS0_4arch9wavefront6targetE0EEEvT1_.uses_flat_scratch, 0
	.set _ZN7rocprim17ROCPRIM_400000_NS6detail17trampoline_kernelINS0_14default_configENS1_25transform_config_selectorImLb1EEEZNS1_14transform_implILb1ES3_S5_PmPlNS0_8identityIvEEEE10hipError_tT2_T3_mT4_P12ihipStream_tbEUlT_E_NS1_11comp_targetILNS1_3genE5ELNS1_11target_archE942ELNS1_3gpuE9ELNS1_3repE0EEENS1_30default_config_static_selectorELNS0_4arch9wavefront6targetE0EEEvT1_.has_dyn_sized_stack, 0
	.set _ZN7rocprim17ROCPRIM_400000_NS6detail17trampoline_kernelINS0_14default_configENS1_25transform_config_selectorImLb1EEEZNS1_14transform_implILb1ES3_S5_PmPlNS0_8identityIvEEEE10hipError_tT2_T3_mT4_P12ihipStream_tbEUlT_E_NS1_11comp_targetILNS1_3genE5ELNS1_11target_archE942ELNS1_3gpuE9ELNS1_3repE0EEENS1_30default_config_static_selectorELNS0_4arch9wavefront6targetE0EEEvT1_.has_recursion, 0
	.set _ZN7rocprim17ROCPRIM_400000_NS6detail17trampoline_kernelINS0_14default_configENS1_25transform_config_selectorImLb1EEEZNS1_14transform_implILb1ES3_S5_PmPlNS0_8identityIvEEEE10hipError_tT2_T3_mT4_P12ihipStream_tbEUlT_E_NS1_11comp_targetILNS1_3genE5ELNS1_11target_archE942ELNS1_3gpuE9ELNS1_3repE0EEENS1_30default_config_static_selectorELNS0_4arch9wavefront6targetE0EEEvT1_.has_indirect_call, 0
	.section	.AMDGPU.csdata,"",@progbits
; Kernel info:
; codeLenInByte = 0
; TotalNumSgprs: 0
; NumVgprs: 0
; ScratchSize: 0
; MemoryBound: 0
; FloatMode: 240
; IeeeMode: 1
; LDSByteSize: 0 bytes/workgroup (compile time only)
; SGPRBlocks: 0
; VGPRBlocks: 0
; NumSGPRsForWavesPerEU: 1
; NumVGPRsForWavesPerEU: 1
; Occupancy: 16
; WaveLimiterHint : 0
; COMPUTE_PGM_RSRC2:SCRATCH_EN: 0
; COMPUTE_PGM_RSRC2:USER_SGPR: 2
; COMPUTE_PGM_RSRC2:TRAP_HANDLER: 0
; COMPUTE_PGM_RSRC2:TGID_X_EN: 1
; COMPUTE_PGM_RSRC2:TGID_Y_EN: 0
; COMPUTE_PGM_RSRC2:TGID_Z_EN: 0
; COMPUTE_PGM_RSRC2:TIDIG_COMP_CNT: 0
	.section	.text._ZN7rocprim17ROCPRIM_400000_NS6detail17trampoline_kernelINS0_14default_configENS1_25transform_config_selectorImLb1EEEZNS1_14transform_implILb1ES3_S5_PmPlNS0_8identityIvEEEE10hipError_tT2_T3_mT4_P12ihipStream_tbEUlT_E_NS1_11comp_targetILNS1_3genE4ELNS1_11target_archE910ELNS1_3gpuE8ELNS1_3repE0EEENS1_30default_config_static_selectorELNS0_4arch9wavefront6targetE0EEEvT1_,"axG",@progbits,_ZN7rocprim17ROCPRIM_400000_NS6detail17trampoline_kernelINS0_14default_configENS1_25transform_config_selectorImLb1EEEZNS1_14transform_implILb1ES3_S5_PmPlNS0_8identityIvEEEE10hipError_tT2_T3_mT4_P12ihipStream_tbEUlT_E_NS1_11comp_targetILNS1_3genE4ELNS1_11target_archE910ELNS1_3gpuE8ELNS1_3repE0EEENS1_30default_config_static_selectorELNS0_4arch9wavefront6targetE0EEEvT1_,comdat
	.protected	_ZN7rocprim17ROCPRIM_400000_NS6detail17trampoline_kernelINS0_14default_configENS1_25transform_config_selectorImLb1EEEZNS1_14transform_implILb1ES3_S5_PmPlNS0_8identityIvEEEE10hipError_tT2_T3_mT4_P12ihipStream_tbEUlT_E_NS1_11comp_targetILNS1_3genE4ELNS1_11target_archE910ELNS1_3gpuE8ELNS1_3repE0EEENS1_30default_config_static_selectorELNS0_4arch9wavefront6targetE0EEEvT1_ ; -- Begin function _ZN7rocprim17ROCPRIM_400000_NS6detail17trampoline_kernelINS0_14default_configENS1_25transform_config_selectorImLb1EEEZNS1_14transform_implILb1ES3_S5_PmPlNS0_8identityIvEEEE10hipError_tT2_T3_mT4_P12ihipStream_tbEUlT_E_NS1_11comp_targetILNS1_3genE4ELNS1_11target_archE910ELNS1_3gpuE8ELNS1_3repE0EEENS1_30default_config_static_selectorELNS0_4arch9wavefront6targetE0EEEvT1_
	.globl	_ZN7rocprim17ROCPRIM_400000_NS6detail17trampoline_kernelINS0_14default_configENS1_25transform_config_selectorImLb1EEEZNS1_14transform_implILb1ES3_S5_PmPlNS0_8identityIvEEEE10hipError_tT2_T3_mT4_P12ihipStream_tbEUlT_E_NS1_11comp_targetILNS1_3genE4ELNS1_11target_archE910ELNS1_3gpuE8ELNS1_3repE0EEENS1_30default_config_static_selectorELNS0_4arch9wavefront6targetE0EEEvT1_
	.p2align	8
	.type	_ZN7rocprim17ROCPRIM_400000_NS6detail17trampoline_kernelINS0_14default_configENS1_25transform_config_selectorImLb1EEEZNS1_14transform_implILb1ES3_S5_PmPlNS0_8identityIvEEEE10hipError_tT2_T3_mT4_P12ihipStream_tbEUlT_E_NS1_11comp_targetILNS1_3genE4ELNS1_11target_archE910ELNS1_3gpuE8ELNS1_3repE0EEENS1_30default_config_static_selectorELNS0_4arch9wavefront6targetE0EEEvT1_,@function
_ZN7rocprim17ROCPRIM_400000_NS6detail17trampoline_kernelINS0_14default_configENS1_25transform_config_selectorImLb1EEEZNS1_14transform_implILb1ES3_S5_PmPlNS0_8identityIvEEEE10hipError_tT2_T3_mT4_P12ihipStream_tbEUlT_E_NS1_11comp_targetILNS1_3genE4ELNS1_11target_archE910ELNS1_3gpuE8ELNS1_3repE0EEENS1_30default_config_static_selectorELNS0_4arch9wavefront6targetE0EEEvT1_: ; @_ZN7rocprim17ROCPRIM_400000_NS6detail17trampoline_kernelINS0_14default_configENS1_25transform_config_selectorImLb1EEEZNS1_14transform_implILb1ES3_S5_PmPlNS0_8identityIvEEEE10hipError_tT2_T3_mT4_P12ihipStream_tbEUlT_E_NS1_11comp_targetILNS1_3genE4ELNS1_11target_archE910ELNS1_3gpuE8ELNS1_3repE0EEENS1_30default_config_static_selectorELNS0_4arch9wavefront6targetE0EEEvT1_
; %bb.0:
	.section	.rodata,"a",@progbits
	.p2align	6, 0x0
	.amdhsa_kernel _ZN7rocprim17ROCPRIM_400000_NS6detail17trampoline_kernelINS0_14default_configENS1_25transform_config_selectorImLb1EEEZNS1_14transform_implILb1ES3_S5_PmPlNS0_8identityIvEEEE10hipError_tT2_T3_mT4_P12ihipStream_tbEUlT_E_NS1_11comp_targetILNS1_3genE4ELNS1_11target_archE910ELNS1_3gpuE8ELNS1_3repE0EEENS1_30default_config_static_selectorELNS0_4arch9wavefront6targetE0EEEvT1_
		.amdhsa_group_segment_fixed_size 0
		.amdhsa_private_segment_fixed_size 0
		.amdhsa_kernarg_size 40
		.amdhsa_user_sgpr_count 2
		.amdhsa_user_sgpr_dispatch_ptr 0
		.amdhsa_user_sgpr_queue_ptr 0
		.amdhsa_user_sgpr_kernarg_segment_ptr 1
		.amdhsa_user_sgpr_dispatch_id 0
		.amdhsa_user_sgpr_private_segment_size 0
		.amdhsa_wavefront_size32 1
		.amdhsa_uses_dynamic_stack 0
		.amdhsa_enable_private_segment 0
		.amdhsa_system_sgpr_workgroup_id_x 1
		.amdhsa_system_sgpr_workgroup_id_y 0
		.amdhsa_system_sgpr_workgroup_id_z 0
		.amdhsa_system_sgpr_workgroup_info 0
		.amdhsa_system_vgpr_workitem_id 0
		.amdhsa_next_free_vgpr 1
		.amdhsa_next_free_sgpr 1
		.amdhsa_reserve_vcc 0
		.amdhsa_float_round_mode_32 0
		.amdhsa_float_round_mode_16_64 0
		.amdhsa_float_denorm_mode_32 3
		.amdhsa_float_denorm_mode_16_64 3
		.amdhsa_fp16_overflow 0
		.amdhsa_workgroup_processor_mode 1
		.amdhsa_memory_ordered 1
		.amdhsa_forward_progress 1
		.amdhsa_inst_pref_size 0
		.amdhsa_round_robin_scheduling 0
		.amdhsa_exception_fp_ieee_invalid_op 0
		.amdhsa_exception_fp_denorm_src 0
		.amdhsa_exception_fp_ieee_div_zero 0
		.amdhsa_exception_fp_ieee_overflow 0
		.amdhsa_exception_fp_ieee_underflow 0
		.amdhsa_exception_fp_ieee_inexact 0
		.amdhsa_exception_int_div_zero 0
	.end_amdhsa_kernel
	.section	.text._ZN7rocprim17ROCPRIM_400000_NS6detail17trampoline_kernelINS0_14default_configENS1_25transform_config_selectorImLb1EEEZNS1_14transform_implILb1ES3_S5_PmPlNS0_8identityIvEEEE10hipError_tT2_T3_mT4_P12ihipStream_tbEUlT_E_NS1_11comp_targetILNS1_3genE4ELNS1_11target_archE910ELNS1_3gpuE8ELNS1_3repE0EEENS1_30default_config_static_selectorELNS0_4arch9wavefront6targetE0EEEvT1_,"axG",@progbits,_ZN7rocprim17ROCPRIM_400000_NS6detail17trampoline_kernelINS0_14default_configENS1_25transform_config_selectorImLb1EEEZNS1_14transform_implILb1ES3_S5_PmPlNS0_8identityIvEEEE10hipError_tT2_T3_mT4_P12ihipStream_tbEUlT_E_NS1_11comp_targetILNS1_3genE4ELNS1_11target_archE910ELNS1_3gpuE8ELNS1_3repE0EEENS1_30default_config_static_selectorELNS0_4arch9wavefront6targetE0EEEvT1_,comdat
.Lfunc_end12:
	.size	_ZN7rocprim17ROCPRIM_400000_NS6detail17trampoline_kernelINS0_14default_configENS1_25transform_config_selectorImLb1EEEZNS1_14transform_implILb1ES3_S5_PmPlNS0_8identityIvEEEE10hipError_tT2_T3_mT4_P12ihipStream_tbEUlT_E_NS1_11comp_targetILNS1_3genE4ELNS1_11target_archE910ELNS1_3gpuE8ELNS1_3repE0EEENS1_30default_config_static_selectorELNS0_4arch9wavefront6targetE0EEEvT1_, .Lfunc_end12-_ZN7rocprim17ROCPRIM_400000_NS6detail17trampoline_kernelINS0_14default_configENS1_25transform_config_selectorImLb1EEEZNS1_14transform_implILb1ES3_S5_PmPlNS0_8identityIvEEEE10hipError_tT2_T3_mT4_P12ihipStream_tbEUlT_E_NS1_11comp_targetILNS1_3genE4ELNS1_11target_archE910ELNS1_3gpuE8ELNS1_3repE0EEENS1_30default_config_static_selectorELNS0_4arch9wavefront6targetE0EEEvT1_
                                        ; -- End function
	.set _ZN7rocprim17ROCPRIM_400000_NS6detail17trampoline_kernelINS0_14default_configENS1_25transform_config_selectorImLb1EEEZNS1_14transform_implILb1ES3_S5_PmPlNS0_8identityIvEEEE10hipError_tT2_T3_mT4_P12ihipStream_tbEUlT_E_NS1_11comp_targetILNS1_3genE4ELNS1_11target_archE910ELNS1_3gpuE8ELNS1_3repE0EEENS1_30default_config_static_selectorELNS0_4arch9wavefront6targetE0EEEvT1_.num_vgpr, 0
	.set _ZN7rocprim17ROCPRIM_400000_NS6detail17trampoline_kernelINS0_14default_configENS1_25transform_config_selectorImLb1EEEZNS1_14transform_implILb1ES3_S5_PmPlNS0_8identityIvEEEE10hipError_tT2_T3_mT4_P12ihipStream_tbEUlT_E_NS1_11comp_targetILNS1_3genE4ELNS1_11target_archE910ELNS1_3gpuE8ELNS1_3repE0EEENS1_30default_config_static_selectorELNS0_4arch9wavefront6targetE0EEEvT1_.num_agpr, 0
	.set _ZN7rocprim17ROCPRIM_400000_NS6detail17trampoline_kernelINS0_14default_configENS1_25transform_config_selectorImLb1EEEZNS1_14transform_implILb1ES3_S5_PmPlNS0_8identityIvEEEE10hipError_tT2_T3_mT4_P12ihipStream_tbEUlT_E_NS1_11comp_targetILNS1_3genE4ELNS1_11target_archE910ELNS1_3gpuE8ELNS1_3repE0EEENS1_30default_config_static_selectorELNS0_4arch9wavefront6targetE0EEEvT1_.numbered_sgpr, 0
	.set _ZN7rocprim17ROCPRIM_400000_NS6detail17trampoline_kernelINS0_14default_configENS1_25transform_config_selectorImLb1EEEZNS1_14transform_implILb1ES3_S5_PmPlNS0_8identityIvEEEE10hipError_tT2_T3_mT4_P12ihipStream_tbEUlT_E_NS1_11comp_targetILNS1_3genE4ELNS1_11target_archE910ELNS1_3gpuE8ELNS1_3repE0EEENS1_30default_config_static_selectorELNS0_4arch9wavefront6targetE0EEEvT1_.num_named_barrier, 0
	.set _ZN7rocprim17ROCPRIM_400000_NS6detail17trampoline_kernelINS0_14default_configENS1_25transform_config_selectorImLb1EEEZNS1_14transform_implILb1ES3_S5_PmPlNS0_8identityIvEEEE10hipError_tT2_T3_mT4_P12ihipStream_tbEUlT_E_NS1_11comp_targetILNS1_3genE4ELNS1_11target_archE910ELNS1_3gpuE8ELNS1_3repE0EEENS1_30default_config_static_selectorELNS0_4arch9wavefront6targetE0EEEvT1_.private_seg_size, 0
	.set _ZN7rocprim17ROCPRIM_400000_NS6detail17trampoline_kernelINS0_14default_configENS1_25transform_config_selectorImLb1EEEZNS1_14transform_implILb1ES3_S5_PmPlNS0_8identityIvEEEE10hipError_tT2_T3_mT4_P12ihipStream_tbEUlT_E_NS1_11comp_targetILNS1_3genE4ELNS1_11target_archE910ELNS1_3gpuE8ELNS1_3repE0EEENS1_30default_config_static_selectorELNS0_4arch9wavefront6targetE0EEEvT1_.uses_vcc, 0
	.set _ZN7rocprim17ROCPRIM_400000_NS6detail17trampoline_kernelINS0_14default_configENS1_25transform_config_selectorImLb1EEEZNS1_14transform_implILb1ES3_S5_PmPlNS0_8identityIvEEEE10hipError_tT2_T3_mT4_P12ihipStream_tbEUlT_E_NS1_11comp_targetILNS1_3genE4ELNS1_11target_archE910ELNS1_3gpuE8ELNS1_3repE0EEENS1_30default_config_static_selectorELNS0_4arch9wavefront6targetE0EEEvT1_.uses_flat_scratch, 0
	.set _ZN7rocprim17ROCPRIM_400000_NS6detail17trampoline_kernelINS0_14default_configENS1_25transform_config_selectorImLb1EEEZNS1_14transform_implILb1ES3_S5_PmPlNS0_8identityIvEEEE10hipError_tT2_T3_mT4_P12ihipStream_tbEUlT_E_NS1_11comp_targetILNS1_3genE4ELNS1_11target_archE910ELNS1_3gpuE8ELNS1_3repE0EEENS1_30default_config_static_selectorELNS0_4arch9wavefront6targetE0EEEvT1_.has_dyn_sized_stack, 0
	.set _ZN7rocprim17ROCPRIM_400000_NS6detail17trampoline_kernelINS0_14default_configENS1_25transform_config_selectorImLb1EEEZNS1_14transform_implILb1ES3_S5_PmPlNS0_8identityIvEEEE10hipError_tT2_T3_mT4_P12ihipStream_tbEUlT_E_NS1_11comp_targetILNS1_3genE4ELNS1_11target_archE910ELNS1_3gpuE8ELNS1_3repE0EEENS1_30default_config_static_selectorELNS0_4arch9wavefront6targetE0EEEvT1_.has_recursion, 0
	.set _ZN7rocprim17ROCPRIM_400000_NS6detail17trampoline_kernelINS0_14default_configENS1_25transform_config_selectorImLb1EEEZNS1_14transform_implILb1ES3_S5_PmPlNS0_8identityIvEEEE10hipError_tT2_T3_mT4_P12ihipStream_tbEUlT_E_NS1_11comp_targetILNS1_3genE4ELNS1_11target_archE910ELNS1_3gpuE8ELNS1_3repE0EEENS1_30default_config_static_selectorELNS0_4arch9wavefront6targetE0EEEvT1_.has_indirect_call, 0
	.section	.AMDGPU.csdata,"",@progbits
; Kernel info:
; codeLenInByte = 0
; TotalNumSgprs: 0
; NumVgprs: 0
; ScratchSize: 0
; MemoryBound: 0
; FloatMode: 240
; IeeeMode: 1
; LDSByteSize: 0 bytes/workgroup (compile time only)
; SGPRBlocks: 0
; VGPRBlocks: 0
; NumSGPRsForWavesPerEU: 1
; NumVGPRsForWavesPerEU: 1
; Occupancy: 16
; WaveLimiterHint : 0
; COMPUTE_PGM_RSRC2:SCRATCH_EN: 0
; COMPUTE_PGM_RSRC2:USER_SGPR: 2
; COMPUTE_PGM_RSRC2:TRAP_HANDLER: 0
; COMPUTE_PGM_RSRC2:TGID_X_EN: 1
; COMPUTE_PGM_RSRC2:TGID_Y_EN: 0
; COMPUTE_PGM_RSRC2:TGID_Z_EN: 0
; COMPUTE_PGM_RSRC2:TIDIG_COMP_CNT: 0
	.section	.text._ZN7rocprim17ROCPRIM_400000_NS6detail17trampoline_kernelINS0_14default_configENS1_25transform_config_selectorImLb1EEEZNS1_14transform_implILb1ES3_S5_PmPlNS0_8identityIvEEEE10hipError_tT2_T3_mT4_P12ihipStream_tbEUlT_E_NS1_11comp_targetILNS1_3genE3ELNS1_11target_archE908ELNS1_3gpuE7ELNS1_3repE0EEENS1_30default_config_static_selectorELNS0_4arch9wavefront6targetE0EEEvT1_,"axG",@progbits,_ZN7rocprim17ROCPRIM_400000_NS6detail17trampoline_kernelINS0_14default_configENS1_25transform_config_selectorImLb1EEEZNS1_14transform_implILb1ES3_S5_PmPlNS0_8identityIvEEEE10hipError_tT2_T3_mT4_P12ihipStream_tbEUlT_E_NS1_11comp_targetILNS1_3genE3ELNS1_11target_archE908ELNS1_3gpuE7ELNS1_3repE0EEENS1_30default_config_static_selectorELNS0_4arch9wavefront6targetE0EEEvT1_,comdat
	.protected	_ZN7rocprim17ROCPRIM_400000_NS6detail17trampoline_kernelINS0_14default_configENS1_25transform_config_selectorImLb1EEEZNS1_14transform_implILb1ES3_S5_PmPlNS0_8identityIvEEEE10hipError_tT2_T3_mT4_P12ihipStream_tbEUlT_E_NS1_11comp_targetILNS1_3genE3ELNS1_11target_archE908ELNS1_3gpuE7ELNS1_3repE0EEENS1_30default_config_static_selectorELNS0_4arch9wavefront6targetE0EEEvT1_ ; -- Begin function _ZN7rocprim17ROCPRIM_400000_NS6detail17trampoline_kernelINS0_14default_configENS1_25transform_config_selectorImLb1EEEZNS1_14transform_implILb1ES3_S5_PmPlNS0_8identityIvEEEE10hipError_tT2_T3_mT4_P12ihipStream_tbEUlT_E_NS1_11comp_targetILNS1_3genE3ELNS1_11target_archE908ELNS1_3gpuE7ELNS1_3repE0EEENS1_30default_config_static_selectorELNS0_4arch9wavefront6targetE0EEEvT1_
	.globl	_ZN7rocprim17ROCPRIM_400000_NS6detail17trampoline_kernelINS0_14default_configENS1_25transform_config_selectorImLb1EEEZNS1_14transform_implILb1ES3_S5_PmPlNS0_8identityIvEEEE10hipError_tT2_T3_mT4_P12ihipStream_tbEUlT_E_NS1_11comp_targetILNS1_3genE3ELNS1_11target_archE908ELNS1_3gpuE7ELNS1_3repE0EEENS1_30default_config_static_selectorELNS0_4arch9wavefront6targetE0EEEvT1_
	.p2align	8
	.type	_ZN7rocprim17ROCPRIM_400000_NS6detail17trampoline_kernelINS0_14default_configENS1_25transform_config_selectorImLb1EEEZNS1_14transform_implILb1ES3_S5_PmPlNS0_8identityIvEEEE10hipError_tT2_T3_mT4_P12ihipStream_tbEUlT_E_NS1_11comp_targetILNS1_3genE3ELNS1_11target_archE908ELNS1_3gpuE7ELNS1_3repE0EEENS1_30default_config_static_selectorELNS0_4arch9wavefront6targetE0EEEvT1_,@function
_ZN7rocprim17ROCPRIM_400000_NS6detail17trampoline_kernelINS0_14default_configENS1_25transform_config_selectorImLb1EEEZNS1_14transform_implILb1ES3_S5_PmPlNS0_8identityIvEEEE10hipError_tT2_T3_mT4_P12ihipStream_tbEUlT_E_NS1_11comp_targetILNS1_3genE3ELNS1_11target_archE908ELNS1_3gpuE7ELNS1_3repE0EEENS1_30default_config_static_selectorELNS0_4arch9wavefront6targetE0EEEvT1_: ; @_ZN7rocprim17ROCPRIM_400000_NS6detail17trampoline_kernelINS0_14default_configENS1_25transform_config_selectorImLb1EEEZNS1_14transform_implILb1ES3_S5_PmPlNS0_8identityIvEEEE10hipError_tT2_T3_mT4_P12ihipStream_tbEUlT_E_NS1_11comp_targetILNS1_3genE3ELNS1_11target_archE908ELNS1_3gpuE7ELNS1_3repE0EEENS1_30default_config_static_selectorELNS0_4arch9wavefront6targetE0EEEvT1_
; %bb.0:
	.section	.rodata,"a",@progbits
	.p2align	6, 0x0
	.amdhsa_kernel _ZN7rocprim17ROCPRIM_400000_NS6detail17trampoline_kernelINS0_14default_configENS1_25transform_config_selectorImLb1EEEZNS1_14transform_implILb1ES3_S5_PmPlNS0_8identityIvEEEE10hipError_tT2_T3_mT4_P12ihipStream_tbEUlT_E_NS1_11comp_targetILNS1_3genE3ELNS1_11target_archE908ELNS1_3gpuE7ELNS1_3repE0EEENS1_30default_config_static_selectorELNS0_4arch9wavefront6targetE0EEEvT1_
		.amdhsa_group_segment_fixed_size 0
		.amdhsa_private_segment_fixed_size 0
		.amdhsa_kernarg_size 40
		.amdhsa_user_sgpr_count 2
		.amdhsa_user_sgpr_dispatch_ptr 0
		.amdhsa_user_sgpr_queue_ptr 0
		.amdhsa_user_sgpr_kernarg_segment_ptr 1
		.amdhsa_user_sgpr_dispatch_id 0
		.amdhsa_user_sgpr_private_segment_size 0
		.amdhsa_wavefront_size32 1
		.amdhsa_uses_dynamic_stack 0
		.amdhsa_enable_private_segment 0
		.amdhsa_system_sgpr_workgroup_id_x 1
		.amdhsa_system_sgpr_workgroup_id_y 0
		.amdhsa_system_sgpr_workgroup_id_z 0
		.amdhsa_system_sgpr_workgroup_info 0
		.amdhsa_system_vgpr_workitem_id 0
		.amdhsa_next_free_vgpr 1
		.amdhsa_next_free_sgpr 1
		.amdhsa_reserve_vcc 0
		.amdhsa_float_round_mode_32 0
		.amdhsa_float_round_mode_16_64 0
		.amdhsa_float_denorm_mode_32 3
		.amdhsa_float_denorm_mode_16_64 3
		.amdhsa_fp16_overflow 0
		.amdhsa_workgroup_processor_mode 1
		.amdhsa_memory_ordered 1
		.amdhsa_forward_progress 1
		.amdhsa_inst_pref_size 0
		.amdhsa_round_robin_scheduling 0
		.amdhsa_exception_fp_ieee_invalid_op 0
		.amdhsa_exception_fp_denorm_src 0
		.amdhsa_exception_fp_ieee_div_zero 0
		.amdhsa_exception_fp_ieee_overflow 0
		.amdhsa_exception_fp_ieee_underflow 0
		.amdhsa_exception_fp_ieee_inexact 0
		.amdhsa_exception_int_div_zero 0
	.end_amdhsa_kernel
	.section	.text._ZN7rocprim17ROCPRIM_400000_NS6detail17trampoline_kernelINS0_14default_configENS1_25transform_config_selectorImLb1EEEZNS1_14transform_implILb1ES3_S5_PmPlNS0_8identityIvEEEE10hipError_tT2_T3_mT4_P12ihipStream_tbEUlT_E_NS1_11comp_targetILNS1_3genE3ELNS1_11target_archE908ELNS1_3gpuE7ELNS1_3repE0EEENS1_30default_config_static_selectorELNS0_4arch9wavefront6targetE0EEEvT1_,"axG",@progbits,_ZN7rocprim17ROCPRIM_400000_NS6detail17trampoline_kernelINS0_14default_configENS1_25transform_config_selectorImLb1EEEZNS1_14transform_implILb1ES3_S5_PmPlNS0_8identityIvEEEE10hipError_tT2_T3_mT4_P12ihipStream_tbEUlT_E_NS1_11comp_targetILNS1_3genE3ELNS1_11target_archE908ELNS1_3gpuE7ELNS1_3repE0EEENS1_30default_config_static_selectorELNS0_4arch9wavefront6targetE0EEEvT1_,comdat
.Lfunc_end13:
	.size	_ZN7rocprim17ROCPRIM_400000_NS6detail17trampoline_kernelINS0_14default_configENS1_25transform_config_selectorImLb1EEEZNS1_14transform_implILb1ES3_S5_PmPlNS0_8identityIvEEEE10hipError_tT2_T3_mT4_P12ihipStream_tbEUlT_E_NS1_11comp_targetILNS1_3genE3ELNS1_11target_archE908ELNS1_3gpuE7ELNS1_3repE0EEENS1_30default_config_static_selectorELNS0_4arch9wavefront6targetE0EEEvT1_, .Lfunc_end13-_ZN7rocprim17ROCPRIM_400000_NS6detail17trampoline_kernelINS0_14default_configENS1_25transform_config_selectorImLb1EEEZNS1_14transform_implILb1ES3_S5_PmPlNS0_8identityIvEEEE10hipError_tT2_T3_mT4_P12ihipStream_tbEUlT_E_NS1_11comp_targetILNS1_3genE3ELNS1_11target_archE908ELNS1_3gpuE7ELNS1_3repE0EEENS1_30default_config_static_selectorELNS0_4arch9wavefront6targetE0EEEvT1_
                                        ; -- End function
	.set _ZN7rocprim17ROCPRIM_400000_NS6detail17trampoline_kernelINS0_14default_configENS1_25transform_config_selectorImLb1EEEZNS1_14transform_implILb1ES3_S5_PmPlNS0_8identityIvEEEE10hipError_tT2_T3_mT4_P12ihipStream_tbEUlT_E_NS1_11comp_targetILNS1_3genE3ELNS1_11target_archE908ELNS1_3gpuE7ELNS1_3repE0EEENS1_30default_config_static_selectorELNS0_4arch9wavefront6targetE0EEEvT1_.num_vgpr, 0
	.set _ZN7rocprim17ROCPRIM_400000_NS6detail17trampoline_kernelINS0_14default_configENS1_25transform_config_selectorImLb1EEEZNS1_14transform_implILb1ES3_S5_PmPlNS0_8identityIvEEEE10hipError_tT2_T3_mT4_P12ihipStream_tbEUlT_E_NS1_11comp_targetILNS1_3genE3ELNS1_11target_archE908ELNS1_3gpuE7ELNS1_3repE0EEENS1_30default_config_static_selectorELNS0_4arch9wavefront6targetE0EEEvT1_.num_agpr, 0
	.set _ZN7rocprim17ROCPRIM_400000_NS6detail17trampoline_kernelINS0_14default_configENS1_25transform_config_selectorImLb1EEEZNS1_14transform_implILb1ES3_S5_PmPlNS0_8identityIvEEEE10hipError_tT2_T3_mT4_P12ihipStream_tbEUlT_E_NS1_11comp_targetILNS1_3genE3ELNS1_11target_archE908ELNS1_3gpuE7ELNS1_3repE0EEENS1_30default_config_static_selectorELNS0_4arch9wavefront6targetE0EEEvT1_.numbered_sgpr, 0
	.set _ZN7rocprim17ROCPRIM_400000_NS6detail17trampoline_kernelINS0_14default_configENS1_25transform_config_selectorImLb1EEEZNS1_14transform_implILb1ES3_S5_PmPlNS0_8identityIvEEEE10hipError_tT2_T3_mT4_P12ihipStream_tbEUlT_E_NS1_11comp_targetILNS1_3genE3ELNS1_11target_archE908ELNS1_3gpuE7ELNS1_3repE0EEENS1_30default_config_static_selectorELNS0_4arch9wavefront6targetE0EEEvT1_.num_named_barrier, 0
	.set _ZN7rocprim17ROCPRIM_400000_NS6detail17trampoline_kernelINS0_14default_configENS1_25transform_config_selectorImLb1EEEZNS1_14transform_implILb1ES3_S5_PmPlNS0_8identityIvEEEE10hipError_tT2_T3_mT4_P12ihipStream_tbEUlT_E_NS1_11comp_targetILNS1_3genE3ELNS1_11target_archE908ELNS1_3gpuE7ELNS1_3repE0EEENS1_30default_config_static_selectorELNS0_4arch9wavefront6targetE0EEEvT1_.private_seg_size, 0
	.set _ZN7rocprim17ROCPRIM_400000_NS6detail17trampoline_kernelINS0_14default_configENS1_25transform_config_selectorImLb1EEEZNS1_14transform_implILb1ES3_S5_PmPlNS0_8identityIvEEEE10hipError_tT2_T3_mT4_P12ihipStream_tbEUlT_E_NS1_11comp_targetILNS1_3genE3ELNS1_11target_archE908ELNS1_3gpuE7ELNS1_3repE0EEENS1_30default_config_static_selectorELNS0_4arch9wavefront6targetE0EEEvT1_.uses_vcc, 0
	.set _ZN7rocprim17ROCPRIM_400000_NS6detail17trampoline_kernelINS0_14default_configENS1_25transform_config_selectorImLb1EEEZNS1_14transform_implILb1ES3_S5_PmPlNS0_8identityIvEEEE10hipError_tT2_T3_mT4_P12ihipStream_tbEUlT_E_NS1_11comp_targetILNS1_3genE3ELNS1_11target_archE908ELNS1_3gpuE7ELNS1_3repE0EEENS1_30default_config_static_selectorELNS0_4arch9wavefront6targetE0EEEvT1_.uses_flat_scratch, 0
	.set _ZN7rocprim17ROCPRIM_400000_NS6detail17trampoline_kernelINS0_14default_configENS1_25transform_config_selectorImLb1EEEZNS1_14transform_implILb1ES3_S5_PmPlNS0_8identityIvEEEE10hipError_tT2_T3_mT4_P12ihipStream_tbEUlT_E_NS1_11comp_targetILNS1_3genE3ELNS1_11target_archE908ELNS1_3gpuE7ELNS1_3repE0EEENS1_30default_config_static_selectorELNS0_4arch9wavefront6targetE0EEEvT1_.has_dyn_sized_stack, 0
	.set _ZN7rocprim17ROCPRIM_400000_NS6detail17trampoline_kernelINS0_14default_configENS1_25transform_config_selectorImLb1EEEZNS1_14transform_implILb1ES3_S5_PmPlNS0_8identityIvEEEE10hipError_tT2_T3_mT4_P12ihipStream_tbEUlT_E_NS1_11comp_targetILNS1_3genE3ELNS1_11target_archE908ELNS1_3gpuE7ELNS1_3repE0EEENS1_30default_config_static_selectorELNS0_4arch9wavefront6targetE0EEEvT1_.has_recursion, 0
	.set _ZN7rocprim17ROCPRIM_400000_NS6detail17trampoline_kernelINS0_14default_configENS1_25transform_config_selectorImLb1EEEZNS1_14transform_implILb1ES3_S5_PmPlNS0_8identityIvEEEE10hipError_tT2_T3_mT4_P12ihipStream_tbEUlT_E_NS1_11comp_targetILNS1_3genE3ELNS1_11target_archE908ELNS1_3gpuE7ELNS1_3repE0EEENS1_30default_config_static_selectorELNS0_4arch9wavefront6targetE0EEEvT1_.has_indirect_call, 0
	.section	.AMDGPU.csdata,"",@progbits
; Kernel info:
; codeLenInByte = 0
; TotalNumSgprs: 0
; NumVgprs: 0
; ScratchSize: 0
; MemoryBound: 0
; FloatMode: 240
; IeeeMode: 1
; LDSByteSize: 0 bytes/workgroup (compile time only)
; SGPRBlocks: 0
; VGPRBlocks: 0
; NumSGPRsForWavesPerEU: 1
; NumVGPRsForWavesPerEU: 1
; Occupancy: 16
; WaveLimiterHint : 0
; COMPUTE_PGM_RSRC2:SCRATCH_EN: 0
; COMPUTE_PGM_RSRC2:USER_SGPR: 2
; COMPUTE_PGM_RSRC2:TRAP_HANDLER: 0
; COMPUTE_PGM_RSRC2:TGID_X_EN: 1
; COMPUTE_PGM_RSRC2:TGID_Y_EN: 0
; COMPUTE_PGM_RSRC2:TGID_Z_EN: 0
; COMPUTE_PGM_RSRC2:TIDIG_COMP_CNT: 0
	.section	.text._ZN7rocprim17ROCPRIM_400000_NS6detail17trampoline_kernelINS0_14default_configENS1_25transform_config_selectorImLb1EEEZNS1_14transform_implILb1ES3_S5_PmPlNS0_8identityIvEEEE10hipError_tT2_T3_mT4_P12ihipStream_tbEUlT_E_NS1_11comp_targetILNS1_3genE2ELNS1_11target_archE906ELNS1_3gpuE6ELNS1_3repE0EEENS1_30default_config_static_selectorELNS0_4arch9wavefront6targetE0EEEvT1_,"axG",@progbits,_ZN7rocprim17ROCPRIM_400000_NS6detail17trampoline_kernelINS0_14default_configENS1_25transform_config_selectorImLb1EEEZNS1_14transform_implILb1ES3_S5_PmPlNS0_8identityIvEEEE10hipError_tT2_T3_mT4_P12ihipStream_tbEUlT_E_NS1_11comp_targetILNS1_3genE2ELNS1_11target_archE906ELNS1_3gpuE6ELNS1_3repE0EEENS1_30default_config_static_selectorELNS0_4arch9wavefront6targetE0EEEvT1_,comdat
	.protected	_ZN7rocprim17ROCPRIM_400000_NS6detail17trampoline_kernelINS0_14default_configENS1_25transform_config_selectorImLb1EEEZNS1_14transform_implILb1ES3_S5_PmPlNS0_8identityIvEEEE10hipError_tT2_T3_mT4_P12ihipStream_tbEUlT_E_NS1_11comp_targetILNS1_3genE2ELNS1_11target_archE906ELNS1_3gpuE6ELNS1_3repE0EEENS1_30default_config_static_selectorELNS0_4arch9wavefront6targetE0EEEvT1_ ; -- Begin function _ZN7rocprim17ROCPRIM_400000_NS6detail17trampoline_kernelINS0_14default_configENS1_25transform_config_selectorImLb1EEEZNS1_14transform_implILb1ES3_S5_PmPlNS0_8identityIvEEEE10hipError_tT2_T3_mT4_P12ihipStream_tbEUlT_E_NS1_11comp_targetILNS1_3genE2ELNS1_11target_archE906ELNS1_3gpuE6ELNS1_3repE0EEENS1_30default_config_static_selectorELNS0_4arch9wavefront6targetE0EEEvT1_
	.globl	_ZN7rocprim17ROCPRIM_400000_NS6detail17trampoline_kernelINS0_14default_configENS1_25transform_config_selectorImLb1EEEZNS1_14transform_implILb1ES3_S5_PmPlNS0_8identityIvEEEE10hipError_tT2_T3_mT4_P12ihipStream_tbEUlT_E_NS1_11comp_targetILNS1_3genE2ELNS1_11target_archE906ELNS1_3gpuE6ELNS1_3repE0EEENS1_30default_config_static_selectorELNS0_4arch9wavefront6targetE0EEEvT1_
	.p2align	8
	.type	_ZN7rocprim17ROCPRIM_400000_NS6detail17trampoline_kernelINS0_14default_configENS1_25transform_config_selectorImLb1EEEZNS1_14transform_implILb1ES3_S5_PmPlNS0_8identityIvEEEE10hipError_tT2_T3_mT4_P12ihipStream_tbEUlT_E_NS1_11comp_targetILNS1_3genE2ELNS1_11target_archE906ELNS1_3gpuE6ELNS1_3repE0EEENS1_30default_config_static_selectorELNS0_4arch9wavefront6targetE0EEEvT1_,@function
_ZN7rocprim17ROCPRIM_400000_NS6detail17trampoline_kernelINS0_14default_configENS1_25transform_config_selectorImLb1EEEZNS1_14transform_implILb1ES3_S5_PmPlNS0_8identityIvEEEE10hipError_tT2_T3_mT4_P12ihipStream_tbEUlT_E_NS1_11comp_targetILNS1_3genE2ELNS1_11target_archE906ELNS1_3gpuE6ELNS1_3repE0EEENS1_30default_config_static_selectorELNS0_4arch9wavefront6targetE0EEEvT1_: ; @_ZN7rocprim17ROCPRIM_400000_NS6detail17trampoline_kernelINS0_14default_configENS1_25transform_config_selectorImLb1EEEZNS1_14transform_implILb1ES3_S5_PmPlNS0_8identityIvEEEE10hipError_tT2_T3_mT4_P12ihipStream_tbEUlT_E_NS1_11comp_targetILNS1_3genE2ELNS1_11target_archE906ELNS1_3gpuE6ELNS1_3repE0EEENS1_30default_config_static_selectorELNS0_4arch9wavefront6targetE0EEEvT1_
; %bb.0:
	.section	.rodata,"a",@progbits
	.p2align	6, 0x0
	.amdhsa_kernel _ZN7rocprim17ROCPRIM_400000_NS6detail17trampoline_kernelINS0_14default_configENS1_25transform_config_selectorImLb1EEEZNS1_14transform_implILb1ES3_S5_PmPlNS0_8identityIvEEEE10hipError_tT2_T3_mT4_P12ihipStream_tbEUlT_E_NS1_11comp_targetILNS1_3genE2ELNS1_11target_archE906ELNS1_3gpuE6ELNS1_3repE0EEENS1_30default_config_static_selectorELNS0_4arch9wavefront6targetE0EEEvT1_
		.amdhsa_group_segment_fixed_size 0
		.amdhsa_private_segment_fixed_size 0
		.amdhsa_kernarg_size 40
		.amdhsa_user_sgpr_count 2
		.amdhsa_user_sgpr_dispatch_ptr 0
		.amdhsa_user_sgpr_queue_ptr 0
		.amdhsa_user_sgpr_kernarg_segment_ptr 1
		.amdhsa_user_sgpr_dispatch_id 0
		.amdhsa_user_sgpr_private_segment_size 0
		.amdhsa_wavefront_size32 1
		.amdhsa_uses_dynamic_stack 0
		.amdhsa_enable_private_segment 0
		.amdhsa_system_sgpr_workgroup_id_x 1
		.amdhsa_system_sgpr_workgroup_id_y 0
		.amdhsa_system_sgpr_workgroup_id_z 0
		.amdhsa_system_sgpr_workgroup_info 0
		.amdhsa_system_vgpr_workitem_id 0
		.amdhsa_next_free_vgpr 1
		.amdhsa_next_free_sgpr 1
		.amdhsa_reserve_vcc 0
		.amdhsa_float_round_mode_32 0
		.amdhsa_float_round_mode_16_64 0
		.amdhsa_float_denorm_mode_32 3
		.amdhsa_float_denorm_mode_16_64 3
		.amdhsa_fp16_overflow 0
		.amdhsa_workgroup_processor_mode 1
		.amdhsa_memory_ordered 1
		.amdhsa_forward_progress 1
		.amdhsa_inst_pref_size 0
		.amdhsa_round_robin_scheduling 0
		.amdhsa_exception_fp_ieee_invalid_op 0
		.amdhsa_exception_fp_denorm_src 0
		.amdhsa_exception_fp_ieee_div_zero 0
		.amdhsa_exception_fp_ieee_overflow 0
		.amdhsa_exception_fp_ieee_underflow 0
		.amdhsa_exception_fp_ieee_inexact 0
		.amdhsa_exception_int_div_zero 0
	.end_amdhsa_kernel
	.section	.text._ZN7rocprim17ROCPRIM_400000_NS6detail17trampoline_kernelINS0_14default_configENS1_25transform_config_selectorImLb1EEEZNS1_14transform_implILb1ES3_S5_PmPlNS0_8identityIvEEEE10hipError_tT2_T3_mT4_P12ihipStream_tbEUlT_E_NS1_11comp_targetILNS1_3genE2ELNS1_11target_archE906ELNS1_3gpuE6ELNS1_3repE0EEENS1_30default_config_static_selectorELNS0_4arch9wavefront6targetE0EEEvT1_,"axG",@progbits,_ZN7rocprim17ROCPRIM_400000_NS6detail17trampoline_kernelINS0_14default_configENS1_25transform_config_selectorImLb1EEEZNS1_14transform_implILb1ES3_S5_PmPlNS0_8identityIvEEEE10hipError_tT2_T3_mT4_P12ihipStream_tbEUlT_E_NS1_11comp_targetILNS1_3genE2ELNS1_11target_archE906ELNS1_3gpuE6ELNS1_3repE0EEENS1_30default_config_static_selectorELNS0_4arch9wavefront6targetE0EEEvT1_,comdat
.Lfunc_end14:
	.size	_ZN7rocprim17ROCPRIM_400000_NS6detail17trampoline_kernelINS0_14default_configENS1_25transform_config_selectorImLb1EEEZNS1_14transform_implILb1ES3_S5_PmPlNS0_8identityIvEEEE10hipError_tT2_T3_mT4_P12ihipStream_tbEUlT_E_NS1_11comp_targetILNS1_3genE2ELNS1_11target_archE906ELNS1_3gpuE6ELNS1_3repE0EEENS1_30default_config_static_selectorELNS0_4arch9wavefront6targetE0EEEvT1_, .Lfunc_end14-_ZN7rocprim17ROCPRIM_400000_NS6detail17trampoline_kernelINS0_14default_configENS1_25transform_config_selectorImLb1EEEZNS1_14transform_implILb1ES3_S5_PmPlNS0_8identityIvEEEE10hipError_tT2_T3_mT4_P12ihipStream_tbEUlT_E_NS1_11comp_targetILNS1_3genE2ELNS1_11target_archE906ELNS1_3gpuE6ELNS1_3repE0EEENS1_30default_config_static_selectorELNS0_4arch9wavefront6targetE0EEEvT1_
                                        ; -- End function
	.set _ZN7rocprim17ROCPRIM_400000_NS6detail17trampoline_kernelINS0_14default_configENS1_25transform_config_selectorImLb1EEEZNS1_14transform_implILb1ES3_S5_PmPlNS0_8identityIvEEEE10hipError_tT2_T3_mT4_P12ihipStream_tbEUlT_E_NS1_11comp_targetILNS1_3genE2ELNS1_11target_archE906ELNS1_3gpuE6ELNS1_3repE0EEENS1_30default_config_static_selectorELNS0_4arch9wavefront6targetE0EEEvT1_.num_vgpr, 0
	.set _ZN7rocprim17ROCPRIM_400000_NS6detail17trampoline_kernelINS0_14default_configENS1_25transform_config_selectorImLb1EEEZNS1_14transform_implILb1ES3_S5_PmPlNS0_8identityIvEEEE10hipError_tT2_T3_mT4_P12ihipStream_tbEUlT_E_NS1_11comp_targetILNS1_3genE2ELNS1_11target_archE906ELNS1_3gpuE6ELNS1_3repE0EEENS1_30default_config_static_selectorELNS0_4arch9wavefront6targetE0EEEvT1_.num_agpr, 0
	.set _ZN7rocprim17ROCPRIM_400000_NS6detail17trampoline_kernelINS0_14default_configENS1_25transform_config_selectorImLb1EEEZNS1_14transform_implILb1ES3_S5_PmPlNS0_8identityIvEEEE10hipError_tT2_T3_mT4_P12ihipStream_tbEUlT_E_NS1_11comp_targetILNS1_3genE2ELNS1_11target_archE906ELNS1_3gpuE6ELNS1_3repE0EEENS1_30default_config_static_selectorELNS0_4arch9wavefront6targetE0EEEvT1_.numbered_sgpr, 0
	.set _ZN7rocprim17ROCPRIM_400000_NS6detail17trampoline_kernelINS0_14default_configENS1_25transform_config_selectorImLb1EEEZNS1_14transform_implILb1ES3_S5_PmPlNS0_8identityIvEEEE10hipError_tT2_T3_mT4_P12ihipStream_tbEUlT_E_NS1_11comp_targetILNS1_3genE2ELNS1_11target_archE906ELNS1_3gpuE6ELNS1_3repE0EEENS1_30default_config_static_selectorELNS0_4arch9wavefront6targetE0EEEvT1_.num_named_barrier, 0
	.set _ZN7rocprim17ROCPRIM_400000_NS6detail17trampoline_kernelINS0_14default_configENS1_25transform_config_selectorImLb1EEEZNS1_14transform_implILb1ES3_S5_PmPlNS0_8identityIvEEEE10hipError_tT2_T3_mT4_P12ihipStream_tbEUlT_E_NS1_11comp_targetILNS1_3genE2ELNS1_11target_archE906ELNS1_3gpuE6ELNS1_3repE0EEENS1_30default_config_static_selectorELNS0_4arch9wavefront6targetE0EEEvT1_.private_seg_size, 0
	.set _ZN7rocprim17ROCPRIM_400000_NS6detail17trampoline_kernelINS0_14default_configENS1_25transform_config_selectorImLb1EEEZNS1_14transform_implILb1ES3_S5_PmPlNS0_8identityIvEEEE10hipError_tT2_T3_mT4_P12ihipStream_tbEUlT_E_NS1_11comp_targetILNS1_3genE2ELNS1_11target_archE906ELNS1_3gpuE6ELNS1_3repE0EEENS1_30default_config_static_selectorELNS0_4arch9wavefront6targetE0EEEvT1_.uses_vcc, 0
	.set _ZN7rocprim17ROCPRIM_400000_NS6detail17trampoline_kernelINS0_14default_configENS1_25transform_config_selectorImLb1EEEZNS1_14transform_implILb1ES3_S5_PmPlNS0_8identityIvEEEE10hipError_tT2_T3_mT4_P12ihipStream_tbEUlT_E_NS1_11comp_targetILNS1_3genE2ELNS1_11target_archE906ELNS1_3gpuE6ELNS1_3repE0EEENS1_30default_config_static_selectorELNS0_4arch9wavefront6targetE0EEEvT1_.uses_flat_scratch, 0
	.set _ZN7rocprim17ROCPRIM_400000_NS6detail17trampoline_kernelINS0_14default_configENS1_25transform_config_selectorImLb1EEEZNS1_14transform_implILb1ES3_S5_PmPlNS0_8identityIvEEEE10hipError_tT2_T3_mT4_P12ihipStream_tbEUlT_E_NS1_11comp_targetILNS1_3genE2ELNS1_11target_archE906ELNS1_3gpuE6ELNS1_3repE0EEENS1_30default_config_static_selectorELNS0_4arch9wavefront6targetE0EEEvT1_.has_dyn_sized_stack, 0
	.set _ZN7rocprim17ROCPRIM_400000_NS6detail17trampoline_kernelINS0_14default_configENS1_25transform_config_selectorImLb1EEEZNS1_14transform_implILb1ES3_S5_PmPlNS0_8identityIvEEEE10hipError_tT2_T3_mT4_P12ihipStream_tbEUlT_E_NS1_11comp_targetILNS1_3genE2ELNS1_11target_archE906ELNS1_3gpuE6ELNS1_3repE0EEENS1_30default_config_static_selectorELNS0_4arch9wavefront6targetE0EEEvT1_.has_recursion, 0
	.set _ZN7rocprim17ROCPRIM_400000_NS6detail17trampoline_kernelINS0_14default_configENS1_25transform_config_selectorImLb1EEEZNS1_14transform_implILb1ES3_S5_PmPlNS0_8identityIvEEEE10hipError_tT2_T3_mT4_P12ihipStream_tbEUlT_E_NS1_11comp_targetILNS1_3genE2ELNS1_11target_archE906ELNS1_3gpuE6ELNS1_3repE0EEENS1_30default_config_static_selectorELNS0_4arch9wavefront6targetE0EEEvT1_.has_indirect_call, 0
	.section	.AMDGPU.csdata,"",@progbits
; Kernel info:
; codeLenInByte = 0
; TotalNumSgprs: 0
; NumVgprs: 0
; ScratchSize: 0
; MemoryBound: 0
; FloatMode: 240
; IeeeMode: 1
; LDSByteSize: 0 bytes/workgroup (compile time only)
; SGPRBlocks: 0
; VGPRBlocks: 0
; NumSGPRsForWavesPerEU: 1
; NumVGPRsForWavesPerEU: 1
; Occupancy: 16
; WaveLimiterHint : 0
; COMPUTE_PGM_RSRC2:SCRATCH_EN: 0
; COMPUTE_PGM_RSRC2:USER_SGPR: 2
; COMPUTE_PGM_RSRC2:TRAP_HANDLER: 0
; COMPUTE_PGM_RSRC2:TGID_X_EN: 1
; COMPUTE_PGM_RSRC2:TGID_Y_EN: 0
; COMPUTE_PGM_RSRC2:TGID_Z_EN: 0
; COMPUTE_PGM_RSRC2:TIDIG_COMP_CNT: 0
	.section	.text._ZN7rocprim17ROCPRIM_400000_NS6detail17trampoline_kernelINS0_14default_configENS1_25transform_config_selectorImLb1EEEZNS1_14transform_implILb1ES3_S5_PmPlNS0_8identityIvEEEE10hipError_tT2_T3_mT4_P12ihipStream_tbEUlT_E_NS1_11comp_targetILNS1_3genE9ELNS1_11target_archE1100ELNS1_3gpuE3ELNS1_3repE0EEENS1_30default_config_static_selectorELNS0_4arch9wavefront6targetE0EEEvT1_,"axG",@progbits,_ZN7rocprim17ROCPRIM_400000_NS6detail17trampoline_kernelINS0_14default_configENS1_25transform_config_selectorImLb1EEEZNS1_14transform_implILb1ES3_S5_PmPlNS0_8identityIvEEEE10hipError_tT2_T3_mT4_P12ihipStream_tbEUlT_E_NS1_11comp_targetILNS1_3genE9ELNS1_11target_archE1100ELNS1_3gpuE3ELNS1_3repE0EEENS1_30default_config_static_selectorELNS0_4arch9wavefront6targetE0EEEvT1_,comdat
	.protected	_ZN7rocprim17ROCPRIM_400000_NS6detail17trampoline_kernelINS0_14default_configENS1_25transform_config_selectorImLb1EEEZNS1_14transform_implILb1ES3_S5_PmPlNS0_8identityIvEEEE10hipError_tT2_T3_mT4_P12ihipStream_tbEUlT_E_NS1_11comp_targetILNS1_3genE9ELNS1_11target_archE1100ELNS1_3gpuE3ELNS1_3repE0EEENS1_30default_config_static_selectorELNS0_4arch9wavefront6targetE0EEEvT1_ ; -- Begin function _ZN7rocprim17ROCPRIM_400000_NS6detail17trampoline_kernelINS0_14default_configENS1_25transform_config_selectorImLb1EEEZNS1_14transform_implILb1ES3_S5_PmPlNS0_8identityIvEEEE10hipError_tT2_T3_mT4_P12ihipStream_tbEUlT_E_NS1_11comp_targetILNS1_3genE9ELNS1_11target_archE1100ELNS1_3gpuE3ELNS1_3repE0EEENS1_30default_config_static_selectorELNS0_4arch9wavefront6targetE0EEEvT1_
	.globl	_ZN7rocprim17ROCPRIM_400000_NS6detail17trampoline_kernelINS0_14default_configENS1_25transform_config_selectorImLb1EEEZNS1_14transform_implILb1ES3_S5_PmPlNS0_8identityIvEEEE10hipError_tT2_T3_mT4_P12ihipStream_tbEUlT_E_NS1_11comp_targetILNS1_3genE9ELNS1_11target_archE1100ELNS1_3gpuE3ELNS1_3repE0EEENS1_30default_config_static_selectorELNS0_4arch9wavefront6targetE0EEEvT1_
	.p2align	8
	.type	_ZN7rocprim17ROCPRIM_400000_NS6detail17trampoline_kernelINS0_14default_configENS1_25transform_config_selectorImLb1EEEZNS1_14transform_implILb1ES3_S5_PmPlNS0_8identityIvEEEE10hipError_tT2_T3_mT4_P12ihipStream_tbEUlT_E_NS1_11comp_targetILNS1_3genE9ELNS1_11target_archE1100ELNS1_3gpuE3ELNS1_3repE0EEENS1_30default_config_static_selectorELNS0_4arch9wavefront6targetE0EEEvT1_,@function
_ZN7rocprim17ROCPRIM_400000_NS6detail17trampoline_kernelINS0_14default_configENS1_25transform_config_selectorImLb1EEEZNS1_14transform_implILb1ES3_S5_PmPlNS0_8identityIvEEEE10hipError_tT2_T3_mT4_P12ihipStream_tbEUlT_E_NS1_11comp_targetILNS1_3genE9ELNS1_11target_archE1100ELNS1_3gpuE3ELNS1_3repE0EEENS1_30default_config_static_selectorELNS0_4arch9wavefront6targetE0EEEvT1_: ; @_ZN7rocprim17ROCPRIM_400000_NS6detail17trampoline_kernelINS0_14default_configENS1_25transform_config_selectorImLb1EEEZNS1_14transform_implILb1ES3_S5_PmPlNS0_8identityIvEEEE10hipError_tT2_T3_mT4_P12ihipStream_tbEUlT_E_NS1_11comp_targetILNS1_3genE9ELNS1_11target_archE1100ELNS1_3gpuE3ELNS1_3repE0EEENS1_30default_config_static_selectorELNS0_4arch9wavefront6targetE0EEEvT1_
; %bb.0:
	.section	.rodata,"a",@progbits
	.p2align	6, 0x0
	.amdhsa_kernel _ZN7rocprim17ROCPRIM_400000_NS6detail17trampoline_kernelINS0_14default_configENS1_25transform_config_selectorImLb1EEEZNS1_14transform_implILb1ES3_S5_PmPlNS0_8identityIvEEEE10hipError_tT2_T3_mT4_P12ihipStream_tbEUlT_E_NS1_11comp_targetILNS1_3genE9ELNS1_11target_archE1100ELNS1_3gpuE3ELNS1_3repE0EEENS1_30default_config_static_selectorELNS0_4arch9wavefront6targetE0EEEvT1_
		.amdhsa_group_segment_fixed_size 0
		.amdhsa_private_segment_fixed_size 0
		.amdhsa_kernarg_size 40
		.amdhsa_user_sgpr_count 2
		.amdhsa_user_sgpr_dispatch_ptr 0
		.amdhsa_user_sgpr_queue_ptr 0
		.amdhsa_user_sgpr_kernarg_segment_ptr 1
		.amdhsa_user_sgpr_dispatch_id 0
		.amdhsa_user_sgpr_private_segment_size 0
		.amdhsa_wavefront_size32 1
		.amdhsa_uses_dynamic_stack 0
		.amdhsa_enable_private_segment 0
		.amdhsa_system_sgpr_workgroup_id_x 1
		.amdhsa_system_sgpr_workgroup_id_y 0
		.amdhsa_system_sgpr_workgroup_id_z 0
		.amdhsa_system_sgpr_workgroup_info 0
		.amdhsa_system_vgpr_workitem_id 0
		.amdhsa_next_free_vgpr 1
		.amdhsa_next_free_sgpr 1
		.amdhsa_reserve_vcc 0
		.amdhsa_float_round_mode_32 0
		.amdhsa_float_round_mode_16_64 0
		.amdhsa_float_denorm_mode_32 3
		.amdhsa_float_denorm_mode_16_64 3
		.amdhsa_fp16_overflow 0
		.amdhsa_workgroup_processor_mode 1
		.amdhsa_memory_ordered 1
		.amdhsa_forward_progress 1
		.amdhsa_inst_pref_size 0
		.amdhsa_round_robin_scheduling 0
		.amdhsa_exception_fp_ieee_invalid_op 0
		.amdhsa_exception_fp_denorm_src 0
		.amdhsa_exception_fp_ieee_div_zero 0
		.amdhsa_exception_fp_ieee_overflow 0
		.amdhsa_exception_fp_ieee_underflow 0
		.amdhsa_exception_fp_ieee_inexact 0
		.amdhsa_exception_int_div_zero 0
	.end_amdhsa_kernel
	.section	.text._ZN7rocprim17ROCPRIM_400000_NS6detail17trampoline_kernelINS0_14default_configENS1_25transform_config_selectorImLb1EEEZNS1_14transform_implILb1ES3_S5_PmPlNS0_8identityIvEEEE10hipError_tT2_T3_mT4_P12ihipStream_tbEUlT_E_NS1_11comp_targetILNS1_3genE9ELNS1_11target_archE1100ELNS1_3gpuE3ELNS1_3repE0EEENS1_30default_config_static_selectorELNS0_4arch9wavefront6targetE0EEEvT1_,"axG",@progbits,_ZN7rocprim17ROCPRIM_400000_NS6detail17trampoline_kernelINS0_14default_configENS1_25transform_config_selectorImLb1EEEZNS1_14transform_implILb1ES3_S5_PmPlNS0_8identityIvEEEE10hipError_tT2_T3_mT4_P12ihipStream_tbEUlT_E_NS1_11comp_targetILNS1_3genE9ELNS1_11target_archE1100ELNS1_3gpuE3ELNS1_3repE0EEENS1_30default_config_static_selectorELNS0_4arch9wavefront6targetE0EEEvT1_,comdat
.Lfunc_end15:
	.size	_ZN7rocprim17ROCPRIM_400000_NS6detail17trampoline_kernelINS0_14default_configENS1_25transform_config_selectorImLb1EEEZNS1_14transform_implILb1ES3_S5_PmPlNS0_8identityIvEEEE10hipError_tT2_T3_mT4_P12ihipStream_tbEUlT_E_NS1_11comp_targetILNS1_3genE9ELNS1_11target_archE1100ELNS1_3gpuE3ELNS1_3repE0EEENS1_30default_config_static_selectorELNS0_4arch9wavefront6targetE0EEEvT1_, .Lfunc_end15-_ZN7rocprim17ROCPRIM_400000_NS6detail17trampoline_kernelINS0_14default_configENS1_25transform_config_selectorImLb1EEEZNS1_14transform_implILb1ES3_S5_PmPlNS0_8identityIvEEEE10hipError_tT2_T3_mT4_P12ihipStream_tbEUlT_E_NS1_11comp_targetILNS1_3genE9ELNS1_11target_archE1100ELNS1_3gpuE3ELNS1_3repE0EEENS1_30default_config_static_selectorELNS0_4arch9wavefront6targetE0EEEvT1_
                                        ; -- End function
	.set _ZN7rocprim17ROCPRIM_400000_NS6detail17trampoline_kernelINS0_14default_configENS1_25transform_config_selectorImLb1EEEZNS1_14transform_implILb1ES3_S5_PmPlNS0_8identityIvEEEE10hipError_tT2_T3_mT4_P12ihipStream_tbEUlT_E_NS1_11comp_targetILNS1_3genE9ELNS1_11target_archE1100ELNS1_3gpuE3ELNS1_3repE0EEENS1_30default_config_static_selectorELNS0_4arch9wavefront6targetE0EEEvT1_.num_vgpr, 0
	.set _ZN7rocprim17ROCPRIM_400000_NS6detail17trampoline_kernelINS0_14default_configENS1_25transform_config_selectorImLb1EEEZNS1_14transform_implILb1ES3_S5_PmPlNS0_8identityIvEEEE10hipError_tT2_T3_mT4_P12ihipStream_tbEUlT_E_NS1_11comp_targetILNS1_3genE9ELNS1_11target_archE1100ELNS1_3gpuE3ELNS1_3repE0EEENS1_30default_config_static_selectorELNS0_4arch9wavefront6targetE0EEEvT1_.num_agpr, 0
	.set _ZN7rocprim17ROCPRIM_400000_NS6detail17trampoline_kernelINS0_14default_configENS1_25transform_config_selectorImLb1EEEZNS1_14transform_implILb1ES3_S5_PmPlNS0_8identityIvEEEE10hipError_tT2_T3_mT4_P12ihipStream_tbEUlT_E_NS1_11comp_targetILNS1_3genE9ELNS1_11target_archE1100ELNS1_3gpuE3ELNS1_3repE0EEENS1_30default_config_static_selectorELNS0_4arch9wavefront6targetE0EEEvT1_.numbered_sgpr, 0
	.set _ZN7rocprim17ROCPRIM_400000_NS6detail17trampoline_kernelINS0_14default_configENS1_25transform_config_selectorImLb1EEEZNS1_14transform_implILb1ES3_S5_PmPlNS0_8identityIvEEEE10hipError_tT2_T3_mT4_P12ihipStream_tbEUlT_E_NS1_11comp_targetILNS1_3genE9ELNS1_11target_archE1100ELNS1_3gpuE3ELNS1_3repE0EEENS1_30default_config_static_selectorELNS0_4arch9wavefront6targetE0EEEvT1_.num_named_barrier, 0
	.set _ZN7rocprim17ROCPRIM_400000_NS6detail17trampoline_kernelINS0_14default_configENS1_25transform_config_selectorImLb1EEEZNS1_14transform_implILb1ES3_S5_PmPlNS0_8identityIvEEEE10hipError_tT2_T3_mT4_P12ihipStream_tbEUlT_E_NS1_11comp_targetILNS1_3genE9ELNS1_11target_archE1100ELNS1_3gpuE3ELNS1_3repE0EEENS1_30default_config_static_selectorELNS0_4arch9wavefront6targetE0EEEvT1_.private_seg_size, 0
	.set _ZN7rocprim17ROCPRIM_400000_NS6detail17trampoline_kernelINS0_14default_configENS1_25transform_config_selectorImLb1EEEZNS1_14transform_implILb1ES3_S5_PmPlNS0_8identityIvEEEE10hipError_tT2_T3_mT4_P12ihipStream_tbEUlT_E_NS1_11comp_targetILNS1_3genE9ELNS1_11target_archE1100ELNS1_3gpuE3ELNS1_3repE0EEENS1_30default_config_static_selectorELNS0_4arch9wavefront6targetE0EEEvT1_.uses_vcc, 0
	.set _ZN7rocprim17ROCPRIM_400000_NS6detail17trampoline_kernelINS0_14default_configENS1_25transform_config_selectorImLb1EEEZNS1_14transform_implILb1ES3_S5_PmPlNS0_8identityIvEEEE10hipError_tT2_T3_mT4_P12ihipStream_tbEUlT_E_NS1_11comp_targetILNS1_3genE9ELNS1_11target_archE1100ELNS1_3gpuE3ELNS1_3repE0EEENS1_30default_config_static_selectorELNS0_4arch9wavefront6targetE0EEEvT1_.uses_flat_scratch, 0
	.set _ZN7rocprim17ROCPRIM_400000_NS6detail17trampoline_kernelINS0_14default_configENS1_25transform_config_selectorImLb1EEEZNS1_14transform_implILb1ES3_S5_PmPlNS0_8identityIvEEEE10hipError_tT2_T3_mT4_P12ihipStream_tbEUlT_E_NS1_11comp_targetILNS1_3genE9ELNS1_11target_archE1100ELNS1_3gpuE3ELNS1_3repE0EEENS1_30default_config_static_selectorELNS0_4arch9wavefront6targetE0EEEvT1_.has_dyn_sized_stack, 0
	.set _ZN7rocprim17ROCPRIM_400000_NS6detail17trampoline_kernelINS0_14default_configENS1_25transform_config_selectorImLb1EEEZNS1_14transform_implILb1ES3_S5_PmPlNS0_8identityIvEEEE10hipError_tT2_T3_mT4_P12ihipStream_tbEUlT_E_NS1_11comp_targetILNS1_3genE9ELNS1_11target_archE1100ELNS1_3gpuE3ELNS1_3repE0EEENS1_30default_config_static_selectorELNS0_4arch9wavefront6targetE0EEEvT1_.has_recursion, 0
	.set _ZN7rocprim17ROCPRIM_400000_NS6detail17trampoline_kernelINS0_14default_configENS1_25transform_config_selectorImLb1EEEZNS1_14transform_implILb1ES3_S5_PmPlNS0_8identityIvEEEE10hipError_tT2_T3_mT4_P12ihipStream_tbEUlT_E_NS1_11comp_targetILNS1_3genE9ELNS1_11target_archE1100ELNS1_3gpuE3ELNS1_3repE0EEENS1_30default_config_static_selectorELNS0_4arch9wavefront6targetE0EEEvT1_.has_indirect_call, 0
	.section	.AMDGPU.csdata,"",@progbits
; Kernel info:
; codeLenInByte = 0
; TotalNumSgprs: 0
; NumVgprs: 0
; ScratchSize: 0
; MemoryBound: 0
; FloatMode: 240
; IeeeMode: 1
; LDSByteSize: 0 bytes/workgroup (compile time only)
; SGPRBlocks: 0
; VGPRBlocks: 0
; NumSGPRsForWavesPerEU: 1
; NumVGPRsForWavesPerEU: 1
; Occupancy: 16
; WaveLimiterHint : 0
; COMPUTE_PGM_RSRC2:SCRATCH_EN: 0
; COMPUTE_PGM_RSRC2:USER_SGPR: 2
; COMPUTE_PGM_RSRC2:TRAP_HANDLER: 0
; COMPUTE_PGM_RSRC2:TGID_X_EN: 1
; COMPUTE_PGM_RSRC2:TGID_Y_EN: 0
; COMPUTE_PGM_RSRC2:TGID_Z_EN: 0
; COMPUTE_PGM_RSRC2:TIDIG_COMP_CNT: 0
	.section	.text._ZN7rocprim17ROCPRIM_400000_NS6detail17trampoline_kernelINS0_14default_configENS1_25transform_config_selectorImLb1EEEZNS1_14transform_implILb1ES3_S5_PmPlNS0_8identityIvEEEE10hipError_tT2_T3_mT4_P12ihipStream_tbEUlT_E_NS1_11comp_targetILNS1_3genE8ELNS1_11target_archE1030ELNS1_3gpuE2ELNS1_3repE0EEENS1_30default_config_static_selectorELNS0_4arch9wavefront6targetE0EEEvT1_,"axG",@progbits,_ZN7rocprim17ROCPRIM_400000_NS6detail17trampoline_kernelINS0_14default_configENS1_25transform_config_selectorImLb1EEEZNS1_14transform_implILb1ES3_S5_PmPlNS0_8identityIvEEEE10hipError_tT2_T3_mT4_P12ihipStream_tbEUlT_E_NS1_11comp_targetILNS1_3genE8ELNS1_11target_archE1030ELNS1_3gpuE2ELNS1_3repE0EEENS1_30default_config_static_selectorELNS0_4arch9wavefront6targetE0EEEvT1_,comdat
	.protected	_ZN7rocprim17ROCPRIM_400000_NS6detail17trampoline_kernelINS0_14default_configENS1_25transform_config_selectorImLb1EEEZNS1_14transform_implILb1ES3_S5_PmPlNS0_8identityIvEEEE10hipError_tT2_T3_mT4_P12ihipStream_tbEUlT_E_NS1_11comp_targetILNS1_3genE8ELNS1_11target_archE1030ELNS1_3gpuE2ELNS1_3repE0EEENS1_30default_config_static_selectorELNS0_4arch9wavefront6targetE0EEEvT1_ ; -- Begin function _ZN7rocprim17ROCPRIM_400000_NS6detail17trampoline_kernelINS0_14default_configENS1_25transform_config_selectorImLb1EEEZNS1_14transform_implILb1ES3_S5_PmPlNS0_8identityIvEEEE10hipError_tT2_T3_mT4_P12ihipStream_tbEUlT_E_NS1_11comp_targetILNS1_3genE8ELNS1_11target_archE1030ELNS1_3gpuE2ELNS1_3repE0EEENS1_30default_config_static_selectorELNS0_4arch9wavefront6targetE0EEEvT1_
	.globl	_ZN7rocprim17ROCPRIM_400000_NS6detail17trampoline_kernelINS0_14default_configENS1_25transform_config_selectorImLb1EEEZNS1_14transform_implILb1ES3_S5_PmPlNS0_8identityIvEEEE10hipError_tT2_T3_mT4_P12ihipStream_tbEUlT_E_NS1_11comp_targetILNS1_3genE8ELNS1_11target_archE1030ELNS1_3gpuE2ELNS1_3repE0EEENS1_30default_config_static_selectorELNS0_4arch9wavefront6targetE0EEEvT1_
	.p2align	8
	.type	_ZN7rocprim17ROCPRIM_400000_NS6detail17trampoline_kernelINS0_14default_configENS1_25transform_config_selectorImLb1EEEZNS1_14transform_implILb1ES3_S5_PmPlNS0_8identityIvEEEE10hipError_tT2_T3_mT4_P12ihipStream_tbEUlT_E_NS1_11comp_targetILNS1_3genE8ELNS1_11target_archE1030ELNS1_3gpuE2ELNS1_3repE0EEENS1_30default_config_static_selectorELNS0_4arch9wavefront6targetE0EEEvT1_,@function
_ZN7rocprim17ROCPRIM_400000_NS6detail17trampoline_kernelINS0_14default_configENS1_25transform_config_selectorImLb1EEEZNS1_14transform_implILb1ES3_S5_PmPlNS0_8identityIvEEEE10hipError_tT2_T3_mT4_P12ihipStream_tbEUlT_E_NS1_11comp_targetILNS1_3genE8ELNS1_11target_archE1030ELNS1_3gpuE2ELNS1_3repE0EEENS1_30default_config_static_selectorELNS0_4arch9wavefront6targetE0EEEvT1_: ; @_ZN7rocprim17ROCPRIM_400000_NS6detail17trampoline_kernelINS0_14default_configENS1_25transform_config_selectorImLb1EEEZNS1_14transform_implILb1ES3_S5_PmPlNS0_8identityIvEEEE10hipError_tT2_T3_mT4_P12ihipStream_tbEUlT_E_NS1_11comp_targetILNS1_3genE8ELNS1_11target_archE1030ELNS1_3gpuE2ELNS1_3repE0EEENS1_30default_config_static_selectorELNS0_4arch9wavefront6targetE0EEEvT1_
; %bb.0:
	.section	.rodata,"a",@progbits
	.p2align	6, 0x0
	.amdhsa_kernel _ZN7rocprim17ROCPRIM_400000_NS6detail17trampoline_kernelINS0_14default_configENS1_25transform_config_selectorImLb1EEEZNS1_14transform_implILb1ES3_S5_PmPlNS0_8identityIvEEEE10hipError_tT2_T3_mT4_P12ihipStream_tbEUlT_E_NS1_11comp_targetILNS1_3genE8ELNS1_11target_archE1030ELNS1_3gpuE2ELNS1_3repE0EEENS1_30default_config_static_selectorELNS0_4arch9wavefront6targetE0EEEvT1_
		.amdhsa_group_segment_fixed_size 0
		.amdhsa_private_segment_fixed_size 0
		.amdhsa_kernarg_size 40
		.amdhsa_user_sgpr_count 2
		.amdhsa_user_sgpr_dispatch_ptr 0
		.amdhsa_user_sgpr_queue_ptr 0
		.amdhsa_user_sgpr_kernarg_segment_ptr 1
		.amdhsa_user_sgpr_dispatch_id 0
		.amdhsa_user_sgpr_private_segment_size 0
		.amdhsa_wavefront_size32 1
		.amdhsa_uses_dynamic_stack 0
		.amdhsa_enable_private_segment 0
		.amdhsa_system_sgpr_workgroup_id_x 1
		.amdhsa_system_sgpr_workgroup_id_y 0
		.amdhsa_system_sgpr_workgroup_id_z 0
		.amdhsa_system_sgpr_workgroup_info 0
		.amdhsa_system_vgpr_workitem_id 0
		.amdhsa_next_free_vgpr 1
		.amdhsa_next_free_sgpr 1
		.amdhsa_reserve_vcc 0
		.amdhsa_float_round_mode_32 0
		.amdhsa_float_round_mode_16_64 0
		.amdhsa_float_denorm_mode_32 3
		.amdhsa_float_denorm_mode_16_64 3
		.amdhsa_fp16_overflow 0
		.amdhsa_workgroup_processor_mode 1
		.amdhsa_memory_ordered 1
		.amdhsa_forward_progress 1
		.amdhsa_inst_pref_size 0
		.amdhsa_round_robin_scheduling 0
		.amdhsa_exception_fp_ieee_invalid_op 0
		.amdhsa_exception_fp_denorm_src 0
		.amdhsa_exception_fp_ieee_div_zero 0
		.amdhsa_exception_fp_ieee_overflow 0
		.amdhsa_exception_fp_ieee_underflow 0
		.amdhsa_exception_fp_ieee_inexact 0
		.amdhsa_exception_int_div_zero 0
	.end_amdhsa_kernel
	.section	.text._ZN7rocprim17ROCPRIM_400000_NS6detail17trampoline_kernelINS0_14default_configENS1_25transform_config_selectorImLb1EEEZNS1_14transform_implILb1ES3_S5_PmPlNS0_8identityIvEEEE10hipError_tT2_T3_mT4_P12ihipStream_tbEUlT_E_NS1_11comp_targetILNS1_3genE8ELNS1_11target_archE1030ELNS1_3gpuE2ELNS1_3repE0EEENS1_30default_config_static_selectorELNS0_4arch9wavefront6targetE0EEEvT1_,"axG",@progbits,_ZN7rocprim17ROCPRIM_400000_NS6detail17trampoline_kernelINS0_14default_configENS1_25transform_config_selectorImLb1EEEZNS1_14transform_implILb1ES3_S5_PmPlNS0_8identityIvEEEE10hipError_tT2_T3_mT4_P12ihipStream_tbEUlT_E_NS1_11comp_targetILNS1_3genE8ELNS1_11target_archE1030ELNS1_3gpuE2ELNS1_3repE0EEENS1_30default_config_static_selectorELNS0_4arch9wavefront6targetE0EEEvT1_,comdat
.Lfunc_end16:
	.size	_ZN7rocprim17ROCPRIM_400000_NS6detail17trampoline_kernelINS0_14default_configENS1_25transform_config_selectorImLb1EEEZNS1_14transform_implILb1ES3_S5_PmPlNS0_8identityIvEEEE10hipError_tT2_T3_mT4_P12ihipStream_tbEUlT_E_NS1_11comp_targetILNS1_3genE8ELNS1_11target_archE1030ELNS1_3gpuE2ELNS1_3repE0EEENS1_30default_config_static_selectorELNS0_4arch9wavefront6targetE0EEEvT1_, .Lfunc_end16-_ZN7rocprim17ROCPRIM_400000_NS6detail17trampoline_kernelINS0_14default_configENS1_25transform_config_selectorImLb1EEEZNS1_14transform_implILb1ES3_S5_PmPlNS0_8identityIvEEEE10hipError_tT2_T3_mT4_P12ihipStream_tbEUlT_E_NS1_11comp_targetILNS1_3genE8ELNS1_11target_archE1030ELNS1_3gpuE2ELNS1_3repE0EEENS1_30default_config_static_selectorELNS0_4arch9wavefront6targetE0EEEvT1_
                                        ; -- End function
	.set _ZN7rocprim17ROCPRIM_400000_NS6detail17trampoline_kernelINS0_14default_configENS1_25transform_config_selectorImLb1EEEZNS1_14transform_implILb1ES3_S5_PmPlNS0_8identityIvEEEE10hipError_tT2_T3_mT4_P12ihipStream_tbEUlT_E_NS1_11comp_targetILNS1_3genE8ELNS1_11target_archE1030ELNS1_3gpuE2ELNS1_3repE0EEENS1_30default_config_static_selectorELNS0_4arch9wavefront6targetE0EEEvT1_.num_vgpr, 0
	.set _ZN7rocprim17ROCPRIM_400000_NS6detail17trampoline_kernelINS0_14default_configENS1_25transform_config_selectorImLb1EEEZNS1_14transform_implILb1ES3_S5_PmPlNS0_8identityIvEEEE10hipError_tT2_T3_mT4_P12ihipStream_tbEUlT_E_NS1_11comp_targetILNS1_3genE8ELNS1_11target_archE1030ELNS1_3gpuE2ELNS1_3repE0EEENS1_30default_config_static_selectorELNS0_4arch9wavefront6targetE0EEEvT1_.num_agpr, 0
	.set _ZN7rocprim17ROCPRIM_400000_NS6detail17trampoline_kernelINS0_14default_configENS1_25transform_config_selectorImLb1EEEZNS1_14transform_implILb1ES3_S5_PmPlNS0_8identityIvEEEE10hipError_tT2_T3_mT4_P12ihipStream_tbEUlT_E_NS1_11comp_targetILNS1_3genE8ELNS1_11target_archE1030ELNS1_3gpuE2ELNS1_3repE0EEENS1_30default_config_static_selectorELNS0_4arch9wavefront6targetE0EEEvT1_.numbered_sgpr, 0
	.set _ZN7rocprim17ROCPRIM_400000_NS6detail17trampoline_kernelINS0_14default_configENS1_25transform_config_selectorImLb1EEEZNS1_14transform_implILb1ES3_S5_PmPlNS0_8identityIvEEEE10hipError_tT2_T3_mT4_P12ihipStream_tbEUlT_E_NS1_11comp_targetILNS1_3genE8ELNS1_11target_archE1030ELNS1_3gpuE2ELNS1_3repE0EEENS1_30default_config_static_selectorELNS0_4arch9wavefront6targetE0EEEvT1_.num_named_barrier, 0
	.set _ZN7rocprim17ROCPRIM_400000_NS6detail17trampoline_kernelINS0_14default_configENS1_25transform_config_selectorImLb1EEEZNS1_14transform_implILb1ES3_S5_PmPlNS0_8identityIvEEEE10hipError_tT2_T3_mT4_P12ihipStream_tbEUlT_E_NS1_11comp_targetILNS1_3genE8ELNS1_11target_archE1030ELNS1_3gpuE2ELNS1_3repE0EEENS1_30default_config_static_selectorELNS0_4arch9wavefront6targetE0EEEvT1_.private_seg_size, 0
	.set _ZN7rocprim17ROCPRIM_400000_NS6detail17trampoline_kernelINS0_14default_configENS1_25transform_config_selectorImLb1EEEZNS1_14transform_implILb1ES3_S5_PmPlNS0_8identityIvEEEE10hipError_tT2_T3_mT4_P12ihipStream_tbEUlT_E_NS1_11comp_targetILNS1_3genE8ELNS1_11target_archE1030ELNS1_3gpuE2ELNS1_3repE0EEENS1_30default_config_static_selectorELNS0_4arch9wavefront6targetE0EEEvT1_.uses_vcc, 0
	.set _ZN7rocprim17ROCPRIM_400000_NS6detail17trampoline_kernelINS0_14default_configENS1_25transform_config_selectorImLb1EEEZNS1_14transform_implILb1ES3_S5_PmPlNS0_8identityIvEEEE10hipError_tT2_T3_mT4_P12ihipStream_tbEUlT_E_NS1_11comp_targetILNS1_3genE8ELNS1_11target_archE1030ELNS1_3gpuE2ELNS1_3repE0EEENS1_30default_config_static_selectorELNS0_4arch9wavefront6targetE0EEEvT1_.uses_flat_scratch, 0
	.set _ZN7rocprim17ROCPRIM_400000_NS6detail17trampoline_kernelINS0_14default_configENS1_25transform_config_selectorImLb1EEEZNS1_14transform_implILb1ES3_S5_PmPlNS0_8identityIvEEEE10hipError_tT2_T3_mT4_P12ihipStream_tbEUlT_E_NS1_11comp_targetILNS1_3genE8ELNS1_11target_archE1030ELNS1_3gpuE2ELNS1_3repE0EEENS1_30default_config_static_selectorELNS0_4arch9wavefront6targetE0EEEvT1_.has_dyn_sized_stack, 0
	.set _ZN7rocprim17ROCPRIM_400000_NS6detail17trampoline_kernelINS0_14default_configENS1_25transform_config_selectorImLb1EEEZNS1_14transform_implILb1ES3_S5_PmPlNS0_8identityIvEEEE10hipError_tT2_T3_mT4_P12ihipStream_tbEUlT_E_NS1_11comp_targetILNS1_3genE8ELNS1_11target_archE1030ELNS1_3gpuE2ELNS1_3repE0EEENS1_30default_config_static_selectorELNS0_4arch9wavefront6targetE0EEEvT1_.has_recursion, 0
	.set _ZN7rocprim17ROCPRIM_400000_NS6detail17trampoline_kernelINS0_14default_configENS1_25transform_config_selectorImLb1EEEZNS1_14transform_implILb1ES3_S5_PmPlNS0_8identityIvEEEE10hipError_tT2_T3_mT4_P12ihipStream_tbEUlT_E_NS1_11comp_targetILNS1_3genE8ELNS1_11target_archE1030ELNS1_3gpuE2ELNS1_3repE0EEENS1_30default_config_static_selectorELNS0_4arch9wavefront6targetE0EEEvT1_.has_indirect_call, 0
	.section	.AMDGPU.csdata,"",@progbits
; Kernel info:
; codeLenInByte = 0
; TotalNumSgprs: 0
; NumVgprs: 0
; ScratchSize: 0
; MemoryBound: 0
; FloatMode: 240
; IeeeMode: 1
; LDSByteSize: 0 bytes/workgroup (compile time only)
; SGPRBlocks: 0
; VGPRBlocks: 0
; NumSGPRsForWavesPerEU: 1
; NumVGPRsForWavesPerEU: 1
; Occupancy: 16
; WaveLimiterHint : 0
; COMPUTE_PGM_RSRC2:SCRATCH_EN: 0
; COMPUTE_PGM_RSRC2:USER_SGPR: 2
; COMPUTE_PGM_RSRC2:TRAP_HANDLER: 0
; COMPUTE_PGM_RSRC2:TGID_X_EN: 1
; COMPUTE_PGM_RSRC2:TGID_Y_EN: 0
; COMPUTE_PGM_RSRC2:TGID_Z_EN: 0
; COMPUTE_PGM_RSRC2:TIDIG_COMP_CNT: 0
	.section	.text._ZN7rocprim17ROCPRIM_400000_NS6detail31init_lookback_scan_state_kernelINS1_19lookback_scan_stateIjLb1ELb1EEENS1_16block_id_wrapperIjLb1EEEEEvT_jT0_jPNS7_10value_typeE,"axG",@progbits,_ZN7rocprim17ROCPRIM_400000_NS6detail31init_lookback_scan_state_kernelINS1_19lookback_scan_stateIjLb1ELb1EEENS1_16block_id_wrapperIjLb1EEEEEvT_jT0_jPNS7_10value_typeE,comdat
	.protected	_ZN7rocprim17ROCPRIM_400000_NS6detail31init_lookback_scan_state_kernelINS1_19lookback_scan_stateIjLb1ELb1EEENS1_16block_id_wrapperIjLb1EEEEEvT_jT0_jPNS7_10value_typeE ; -- Begin function _ZN7rocprim17ROCPRIM_400000_NS6detail31init_lookback_scan_state_kernelINS1_19lookback_scan_stateIjLb1ELb1EEENS1_16block_id_wrapperIjLb1EEEEEvT_jT0_jPNS7_10value_typeE
	.globl	_ZN7rocprim17ROCPRIM_400000_NS6detail31init_lookback_scan_state_kernelINS1_19lookback_scan_stateIjLb1ELb1EEENS1_16block_id_wrapperIjLb1EEEEEvT_jT0_jPNS7_10value_typeE
	.p2align	8
	.type	_ZN7rocprim17ROCPRIM_400000_NS6detail31init_lookback_scan_state_kernelINS1_19lookback_scan_stateIjLb1ELb1EEENS1_16block_id_wrapperIjLb1EEEEEvT_jT0_jPNS7_10value_typeE,@function
_ZN7rocprim17ROCPRIM_400000_NS6detail31init_lookback_scan_state_kernelINS1_19lookback_scan_stateIjLb1ELb1EEENS1_16block_id_wrapperIjLb1EEEEEvT_jT0_jPNS7_10value_typeE: ; @_ZN7rocprim17ROCPRIM_400000_NS6detail31init_lookback_scan_state_kernelINS1_19lookback_scan_stateIjLb1ELb1EEENS1_16block_id_wrapperIjLb1EEEEEvT_jT0_jPNS7_10value_typeE
; %bb.0:
	s_clause 0x2
	s_load_b32 s7, s[0:1], 0x34
	s_load_b64 s[2:3], s[0:1], 0x20
	s_load_b96 s[4:6], s[0:1], 0x0
	s_wait_kmcnt 0x0
	s_and_b32 s7, s7, 0xffff
	s_cmp_eq_u64 s[2:3], 0
	v_mad_co_u64_u32 v[0:1], null, ttmp9, s7, v[0:1]
	s_cbranch_scc1 .LBB17_9
; %bb.1:
	s_load_b32 s8, s[0:1], 0x18
	s_mov_b32 s9, 0
	s_wait_kmcnt 0x0
	s_cmp_lt_u32 s8, s6
	s_cselect_b32 s7, s8, 0
	s_wait_alu 0xfffe
	v_cmp_eq_u32_e32 vcc_lo, s7, v0
	s_and_saveexec_b32 s7, vcc_lo
	s_cbranch_execz .LBB17_8
; %bb.2:
	s_add_co_i32 s8, s8, 32
	v_mov_b32_e32 v1, 0
	s_lshl_b64 s[8:9], s[8:9], 3
	s_delay_alu instid0(SALU_CYCLE_1) | instskip(SKIP_3) | instid1(VALU_DEP_1)
	s_add_nc_u64 s[8:9], s[4:5], s[8:9]
	global_load_b64 v[3:4], v1, s[8:9] scope:SCOPE_DEV
	s_wait_loadcnt 0x0
	v_and_b32_e32 v2, 0xff, v4
	v_cmp_ne_u64_e32 vcc_lo, 0, v[1:2]
	s_cbranch_vccnz .LBB17_7
; %bb.3:
	s_mov_b32 s10, 1
.LBB17_4:                               ; =>This Loop Header: Depth=1
                                        ;     Child Loop BB17_5 Depth 2
	s_delay_alu instid0(SALU_CYCLE_1)
	s_mov_b32 s11, s10
.LBB17_5:                               ;   Parent Loop BB17_4 Depth=1
                                        ; =>  This Inner Loop Header: Depth=2
	s_delay_alu instid0(SALU_CYCLE_1)
	s_add_co_i32 s11, s11, -1
	s_sleep 1
	s_cmp_eq_u32 s11, 0
	s_cbranch_scc0 .LBB17_5
; %bb.6:                                ;   in Loop: Header=BB17_4 Depth=1
	global_load_b64 v[3:4], v1, s[8:9] scope:SCOPE_DEV
	s_cmp_lt_u32 s10, 32
	s_cselect_b32 s11, -1, 0
	s_delay_alu instid0(SALU_CYCLE_1) | instskip(SKIP_3) | instid1(VALU_DEP_1)
	s_cmp_lg_u32 s11, 0
	s_add_co_ci_u32 s10, s10, 0
	s_wait_loadcnt 0x0
	v_and_b32_e32 v2, 0xff, v4
	v_cmp_ne_u64_e32 vcc_lo, 0, v[1:2]
	s_cbranch_vccz .LBB17_4
.LBB17_7:
	v_mov_b32_e32 v1, 0
	global_store_b32 v1, v3, s[2:3]
.LBB17_8:
	s_wait_alu 0xfffe
	s_or_b32 exec_lo, exec_lo, s7
.LBB17_9:
	s_delay_alu instid0(SALU_CYCLE_1)
	s_mov_b32 s2, exec_lo
	v_cmpx_eq_u32_e32 0, v0
	s_cbranch_execz .LBB17_11
; %bb.10:
	s_load_b64 s[0:1], s[0:1], 0x10
	v_mov_b32_e32 v1, 0
	s_wait_kmcnt 0x0
	global_store_b32 v1, v1, s[0:1]
.LBB17_11:
	s_or_b32 exec_lo, exec_lo, s2
	s_delay_alu instid0(SALU_CYCLE_1)
	s_mov_b32 s0, exec_lo
	v_cmpx_gt_u32_e64 s6, v0
	s_cbranch_execz .LBB17_13
; %bb.12:
	v_dual_mov_b32 v2, 0 :: v_dual_add_nc_u32 v1, 32, v0
	s_delay_alu instid0(VALU_DEP_1) | instskip(SKIP_1) | instid1(VALU_DEP_2)
	v_lshlrev_b64_e32 v[3:4], 3, v[1:2]
	v_mov_b32_e32 v1, v2
	v_add_co_u32 v3, vcc_lo, s4, v3
	s_delay_alu instid0(VALU_DEP_1)
	v_add_co_ci_u32_e64 v4, null, s5, v4, vcc_lo
	global_store_b64 v[3:4], v[1:2], off
.LBB17_13:
	s_wait_alu 0xfffe
	s_or_b32 exec_lo, exec_lo, s0
	s_delay_alu instid0(SALU_CYCLE_1)
	s_mov_b32 s0, exec_lo
	v_cmpx_gt_u32_e32 32, v0
	s_cbranch_execz .LBB17_15
; %bb.14:
	v_dual_mov_b32 v1, 0 :: v_dual_mov_b32 v4, 0xff
	s_delay_alu instid0(VALU_DEP_1) | instskip(NEXT) | instid1(VALU_DEP_1)
	v_lshlrev_b64_e32 v[2:3], 3, v[0:1]
	v_add_co_u32 v5, vcc_lo, s4, v2
	s_wait_alu 0xfffd
	s_delay_alu instid0(VALU_DEP_2)
	v_add_co_ci_u32_e64 v6, null, s5, v3, vcc_lo
	v_mov_b32_e32 v3, v1
	global_store_b64 v[5:6], v[3:4], off
.LBB17_15:
	s_endpgm
	.section	.rodata,"a",@progbits
	.p2align	6, 0x0
	.amdhsa_kernel _ZN7rocprim17ROCPRIM_400000_NS6detail31init_lookback_scan_state_kernelINS1_19lookback_scan_stateIjLb1ELb1EEENS1_16block_id_wrapperIjLb1EEEEEvT_jT0_jPNS7_10value_typeE
		.amdhsa_group_segment_fixed_size 0
		.amdhsa_private_segment_fixed_size 0
		.amdhsa_kernarg_size 296
		.amdhsa_user_sgpr_count 2
		.amdhsa_user_sgpr_dispatch_ptr 0
		.amdhsa_user_sgpr_queue_ptr 0
		.amdhsa_user_sgpr_kernarg_segment_ptr 1
		.amdhsa_user_sgpr_dispatch_id 0
		.amdhsa_user_sgpr_private_segment_size 0
		.amdhsa_wavefront_size32 1
		.amdhsa_uses_dynamic_stack 0
		.amdhsa_enable_private_segment 0
		.amdhsa_system_sgpr_workgroup_id_x 1
		.amdhsa_system_sgpr_workgroup_id_y 0
		.amdhsa_system_sgpr_workgroup_id_z 0
		.amdhsa_system_sgpr_workgroup_info 0
		.amdhsa_system_vgpr_workitem_id 0
		.amdhsa_next_free_vgpr 7
		.amdhsa_next_free_sgpr 12
		.amdhsa_reserve_vcc 1
		.amdhsa_float_round_mode_32 0
		.amdhsa_float_round_mode_16_64 0
		.amdhsa_float_denorm_mode_32 3
		.amdhsa_float_denorm_mode_16_64 3
		.amdhsa_fp16_overflow 0
		.amdhsa_workgroup_processor_mode 1
		.amdhsa_memory_ordered 1
		.amdhsa_forward_progress 1
		.amdhsa_inst_pref_size 4
		.amdhsa_round_robin_scheduling 0
		.amdhsa_exception_fp_ieee_invalid_op 0
		.amdhsa_exception_fp_denorm_src 0
		.amdhsa_exception_fp_ieee_div_zero 0
		.amdhsa_exception_fp_ieee_overflow 0
		.amdhsa_exception_fp_ieee_underflow 0
		.amdhsa_exception_fp_ieee_inexact 0
		.amdhsa_exception_int_div_zero 0
	.end_amdhsa_kernel
	.section	.text._ZN7rocprim17ROCPRIM_400000_NS6detail31init_lookback_scan_state_kernelINS1_19lookback_scan_stateIjLb1ELb1EEENS1_16block_id_wrapperIjLb1EEEEEvT_jT0_jPNS7_10value_typeE,"axG",@progbits,_ZN7rocprim17ROCPRIM_400000_NS6detail31init_lookback_scan_state_kernelINS1_19lookback_scan_stateIjLb1ELb1EEENS1_16block_id_wrapperIjLb1EEEEEvT_jT0_jPNS7_10value_typeE,comdat
.Lfunc_end17:
	.size	_ZN7rocprim17ROCPRIM_400000_NS6detail31init_lookback_scan_state_kernelINS1_19lookback_scan_stateIjLb1ELb1EEENS1_16block_id_wrapperIjLb1EEEEEvT_jT0_jPNS7_10value_typeE, .Lfunc_end17-_ZN7rocprim17ROCPRIM_400000_NS6detail31init_lookback_scan_state_kernelINS1_19lookback_scan_stateIjLb1ELb1EEENS1_16block_id_wrapperIjLb1EEEEEvT_jT0_jPNS7_10value_typeE
                                        ; -- End function
	.set _ZN7rocprim17ROCPRIM_400000_NS6detail31init_lookback_scan_state_kernelINS1_19lookback_scan_stateIjLb1ELb1EEENS1_16block_id_wrapperIjLb1EEEEEvT_jT0_jPNS7_10value_typeE.num_vgpr, 7
	.set _ZN7rocprim17ROCPRIM_400000_NS6detail31init_lookback_scan_state_kernelINS1_19lookback_scan_stateIjLb1ELb1EEENS1_16block_id_wrapperIjLb1EEEEEvT_jT0_jPNS7_10value_typeE.num_agpr, 0
	.set _ZN7rocprim17ROCPRIM_400000_NS6detail31init_lookback_scan_state_kernelINS1_19lookback_scan_stateIjLb1ELb1EEENS1_16block_id_wrapperIjLb1EEEEEvT_jT0_jPNS7_10value_typeE.numbered_sgpr, 12
	.set _ZN7rocprim17ROCPRIM_400000_NS6detail31init_lookback_scan_state_kernelINS1_19lookback_scan_stateIjLb1ELb1EEENS1_16block_id_wrapperIjLb1EEEEEvT_jT0_jPNS7_10value_typeE.num_named_barrier, 0
	.set _ZN7rocprim17ROCPRIM_400000_NS6detail31init_lookback_scan_state_kernelINS1_19lookback_scan_stateIjLb1ELb1EEENS1_16block_id_wrapperIjLb1EEEEEvT_jT0_jPNS7_10value_typeE.private_seg_size, 0
	.set _ZN7rocprim17ROCPRIM_400000_NS6detail31init_lookback_scan_state_kernelINS1_19lookback_scan_stateIjLb1ELb1EEENS1_16block_id_wrapperIjLb1EEEEEvT_jT0_jPNS7_10value_typeE.uses_vcc, 1
	.set _ZN7rocprim17ROCPRIM_400000_NS6detail31init_lookback_scan_state_kernelINS1_19lookback_scan_stateIjLb1ELb1EEENS1_16block_id_wrapperIjLb1EEEEEvT_jT0_jPNS7_10value_typeE.uses_flat_scratch, 0
	.set _ZN7rocprim17ROCPRIM_400000_NS6detail31init_lookback_scan_state_kernelINS1_19lookback_scan_stateIjLb1ELb1EEENS1_16block_id_wrapperIjLb1EEEEEvT_jT0_jPNS7_10value_typeE.has_dyn_sized_stack, 0
	.set _ZN7rocprim17ROCPRIM_400000_NS6detail31init_lookback_scan_state_kernelINS1_19lookback_scan_stateIjLb1ELb1EEENS1_16block_id_wrapperIjLb1EEEEEvT_jT0_jPNS7_10value_typeE.has_recursion, 0
	.set _ZN7rocprim17ROCPRIM_400000_NS6detail31init_lookback_scan_state_kernelINS1_19lookback_scan_stateIjLb1ELb1EEENS1_16block_id_wrapperIjLb1EEEEEvT_jT0_jPNS7_10value_typeE.has_indirect_call, 0
	.section	.AMDGPU.csdata,"",@progbits
; Kernel info:
; codeLenInByte = 464
; TotalNumSgprs: 14
; NumVgprs: 7
; ScratchSize: 0
; MemoryBound: 0
; FloatMode: 240
; IeeeMode: 1
; LDSByteSize: 0 bytes/workgroup (compile time only)
; SGPRBlocks: 0
; VGPRBlocks: 0
; NumSGPRsForWavesPerEU: 14
; NumVGPRsForWavesPerEU: 7
; Occupancy: 16
; WaveLimiterHint : 0
; COMPUTE_PGM_RSRC2:SCRATCH_EN: 0
; COMPUTE_PGM_RSRC2:USER_SGPR: 2
; COMPUTE_PGM_RSRC2:TRAP_HANDLER: 0
; COMPUTE_PGM_RSRC2:TGID_X_EN: 1
; COMPUTE_PGM_RSRC2:TGID_Y_EN: 0
; COMPUTE_PGM_RSRC2:TGID_Z_EN: 0
; COMPUTE_PGM_RSRC2:TIDIG_COMP_CNT: 0
	.section	.text._ZN7rocprim17ROCPRIM_400000_NS6detail17trampoline_kernelINS0_14default_configENS1_25partition_config_selectorILNS1_17partition_subalgoE9EiibEEZZNS1_14partition_implILS5_9ELb0ES3_jPKiN6thrust23THRUST_200600_302600_NS17counting_iteratorIiNSB_11use_defaultESD_SD_EEPNS0_10empty_typeENS0_5tupleIJPiSF_EEENSH_IJSI_SG_EEENS0_18inequality_wrapperIN6hipcub16HIPCUB_304000_NS8EqualityEEEPlJSF_EEE10hipError_tPvRmT3_T4_T5_T6_T7_T9_mT8_P12ihipStream_tbDpT10_ENKUlT_T0_E_clISt17integral_constantIbLb1EES1A_EEDaS15_S16_EUlS15_E_NS1_11comp_targetILNS1_3genE0ELNS1_11target_archE4294967295ELNS1_3gpuE0ELNS1_3repE0EEENS1_30default_config_static_selectorELNS0_4arch9wavefront6targetE0EEEvT1_,"axG",@progbits,_ZN7rocprim17ROCPRIM_400000_NS6detail17trampoline_kernelINS0_14default_configENS1_25partition_config_selectorILNS1_17partition_subalgoE9EiibEEZZNS1_14partition_implILS5_9ELb0ES3_jPKiN6thrust23THRUST_200600_302600_NS17counting_iteratorIiNSB_11use_defaultESD_SD_EEPNS0_10empty_typeENS0_5tupleIJPiSF_EEENSH_IJSI_SG_EEENS0_18inequality_wrapperIN6hipcub16HIPCUB_304000_NS8EqualityEEEPlJSF_EEE10hipError_tPvRmT3_T4_T5_T6_T7_T9_mT8_P12ihipStream_tbDpT10_ENKUlT_T0_E_clISt17integral_constantIbLb1EES1A_EEDaS15_S16_EUlS15_E_NS1_11comp_targetILNS1_3genE0ELNS1_11target_archE4294967295ELNS1_3gpuE0ELNS1_3repE0EEENS1_30default_config_static_selectorELNS0_4arch9wavefront6targetE0EEEvT1_,comdat
	.protected	_ZN7rocprim17ROCPRIM_400000_NS6detail17trampoline_kernelINS0_14default_configENS1_25partition_config_selectorILNS1_17partition_subalgoE9EiibEEZZNS1_14partition_implILS5_9ELb0ES3_jPKiN6thrust23THRUST_200600_302600_NS17counting_iteratorIiNSB_11use_defaultESD_SD_EEPNS0_10empty_typeENS0_5tupleIJPiSF_EEENSH_IJSI_SG_EEENS0_18inequality_wrapperIN6hipcub16HIPCUB_304000_NS8EqualityEEEPlJSF_EEE10hipError_tPvRmT3_T4_T5_T6_T7_T9_mT8_P12ihipStream_tbDpT10_ENKUlT_T0_E_clISt17integral_constantIbLb1EES1A_EEDaS15_S16_EUlS15_E_NS1_11comp_targetILNS1_3genE0ELNS1_11target_archE4294967295ELNS1_3gpuE0ELNS1_3repE0EEENS1_30default_config_static_selectorELNS0_4arch9wavefront6targetE0EEEvT1_ ; -- Begin function _ZN7rocprim17ROCPRIM_400000_NS6detail17trampoline_kernelINS0_14default_configENS1_25partition_config_selectorILNS1_17partition_subalgoE9EiibEEZZNS1_14partition_implILS5_9ELb0ES3_jPKiN6thrust23THRUST_200600_302600_NS17counting_iteratorIiNSB_11use_defaultESD_SD_EEPNS0_10empty_typeENS0_5tupleIJPiSF_EEENSH_IJSI_SG_EEENS0_18inequality_wrapperIN6hipcub16HIPCUB_304000_NS8EqualityEEEPlJSF_EEE10hipError_tPvRmT3_T4_T5_T6_T7_T9_mT8_P12ihipStream_tbDpT10_ENKUlT_T0_E_clISt17integral_constantIbLb1EES1A_EEDaS15_S16_EUlS15_E_NS1_11comp_targetILNS1_3genE0ELNS1_11target_archE4294967295ELNS1_3gpuE0ELNS1_3repE0EEENS1_30default_config_static_selectorELNS0_4arch9wavefront6targetE0EEEvT1_
	.globl	_ZN7rocprim17ROCPRIM_400000_NS6detail17trampoline_kernelINS0_14default_configENS1_25partition_config_selectorILNS1_17partition_subalgoE9EiibEEZZNS1_14partition_implILS5_9ELb0ES3_jPKiN6thrust23THRUST_200600_302600_NS17counting_iteratorIiNSB_11use_defaultESD_SD_EEPNS0_10empty_typeENS0_5tupleIJPiSF_EEENSH_IJSI_SG_EEENS0_18inequality_wrapperIN6hipcub16HIPCUB_304000_NS8EqualityEEEPlJSF_EEE10hipError_tPvRmT3_T4_T5_T6_T7_T9_mT8_P12ihipStream_tbDpT10_ENKUlT_T0_E_clISt17integral_constantIbLb1EES1A_EEDaS15_S16_EUlS15_E_NS1_11comp_targetILNS1_3genE0ELNS1_11target_archE4294967295ELNS1_3gpuE0ELNS1_3repE0EEENS1_30default_config_static_selectorELNS0_4arch9wavefront6targetE0EEEvT1_
	.p2align	8
	.type	_ZN7rocprim17ROCPRIM_400000_NS6detail17trampoline_kernelINS0_14default_configENS1_25partition_config_selectorILNS1_17partition_subalgoE9EiibEEZZNS1_14partition_implILS5_9ELb0ES3_jPKiN6thrust23THRUST_200600_302600_NS17counting_iteratorIiNSB_11use_defaultESD_SD_EEPNS0_10empty_typeENS0_5tupleIJPiSF_EEENSH_IJSI_SG_EEENS0_18inequality_wrapperIN6hipcub16HIPCUB_304000_NS8EqualityEEEPlJSF_EEE10hipError_tPvRmT3_T4_T5_T6_T7_T9_mT8_P12ihipStream_tbDpT10_ENKUlT_T0_E_clISt17integral_constantIbLb1EES1A_EEDaS15_S16_EUlS15_E_NS1_11comp_targetILNS1_3genE0ELNS1_11target_archE4294967295ELNS1_3gpuE0ELNS1_3repE0EEENS1_30default_config_static_selectorELNS0_4arch9wavefront6targetE0EEEvT1_,@function
_ZN7rocprim17ROCPRIM_400000_NS6detail17trampoline_kernelINS0_14default_configENS1_25partition_config_selectorILNS1_17partition_subalgoE9EiibEEZZNS1_14partition_implILS5_9ELb0ES3_jPKiN6thrust23THRUST_200600_302600_NS17counting_iteratorIiNSB_11use_defaultESD_SD_EEPNS0_10empty_typeENS0_5tupleIJPiSF_EEENSH_IJSI_SG_EEENS0_18inequality_wrapperIN6hipcub16HIPCUB_304000_NS8EqualityEEEPlJSF_EEE10hipError_tPvRmT3_T4_T5_T6_T7_T9_mT8_P12ihipStream_tbDpT10_ENKUlT_T0_E_clISt17integral_constantIbLb1EES1A_EEDaS15_S16_EUlS15_E_NS1_11comp_targetILNS1_3genE0ELNS1_11target_archE4294967295ELNS1_3gpuE0ELNS1_3repE0EEENS1_30default_config_static_selectorELNS0_4arch9wavefront6targetE0EEEvT1_: ; @_ZN7rocprim17ROCPRIM_400000_NS6detail17trampoline_kernelINS0_14default_configENS1_25partition_config_selectorILNS1_17partition_subalgoE9EiibEEZZNS1_14partition_implILS5_9ELb0ES3_jPKiN6thrust23THRUST_200600_302600_NS17counting_iteratorIiNSB_11use_defaultESD_SD_EEPNS0_10empty_typeENS0_5tupleIJPiSF_EEENSH_IJSI_SG_EEENS0_18inequality_wrapperIN6hipcub16HIPCUB_304000_NS8EqualityEEEPlJSF_EEE10hipError_tPvRmT3_T4_T5_T6_T7_T9_mT8_P12ihipStream_tbDpT10_ENKUlT_T0_E_clISt17integral_constantIbLb1EES1A_EEDaS15_S16_EUlS15_E_NS1_11comp_targetILNS1_3genE0ELNS1_11target_archE4294967295ELNS1_3gpuE0ELNS1_3repE0EEENS1_30default_config_static_selectorELNS0_4arch9wavefront6targetE0EEEvT1_
; %bb.0:
	.section	.rodata,"a",@progbits
	.p2align	6, 0x0
	.amdhsa_kernel _ZN7rocprim17ROCPRIM_400000_NS6detail17trampoline_kernelINS0_14default_configENS1_25partition_config_selectorILNS1_17partition_subalgoE9EiibEEZZNS1_14partition_implILS5_9ELb0ES3_jPKiN6thrust23THRUST_200600_302600_NS17counting_iteratorIiNSB_11use_defaultESD_SD_EEPNS0_10empty_typeENS0_5tupleIJPiSF_EEENSH_IJSI_SG_EEENS0_18inequality_wrapperIN6hipcub16HIPCUB_304000_NS8EqualityEEEPlJSF_EEE10hipError_tPvRmT3_T4_T5_T6_T7_T9_mT8_P12ihipStream_tbDpT10_ENKUlT_T0_E_clISt17integral_constantIbLb1EES1A_EEDaS15_S16_EUlS15_E_NS1_11comp_targetILNS1_3genE0ELNS1_11target_archE4294967295ELNS1_3gpuE0ELNS1_3repE0EEENS1_30default_config_static_selectorELNS0_4arch9wavefront6targetE0EEEvT1_
		.amdhsa_group_segment_fixed_size 0
		.amdhsa_private_segment_fixed_size 0
		.amdhsa_kernarg_size 128
		.amdhsa_user_sgpr_count 2
		.amdhsa_user_sgpr_dispatch_ptr 0
		.amdhsa_user_sgpr_queue_ptr 0
		.amdhsa_user_sgpr_kernarg_segment_ptr 1
		.amdhsa_user_sgpr_dispatch_id 0
		.amdhsa_user_sgpr_private_segment_size 0
		.amdhsa_wavefront_size32 1
		.amdhsa_uses_dynamic_stack 0
		.amdhsa_enable_private_segment 0
		.amdhsa_system_sgpr_workgroup_id_x 1
		.amdhsa_system_sgpr_workgroup_id_y 0
		.amdhsa_system_sgpr_workgroup_id_z 0
		.amdhsa_system_sgpr_workgroup_info 0
		.amdhsa_system_vgpr_workitem_id 0
		.amdhsa_next_free_vgpr 1
		.amdhsa_next_free_sgpr 1
		.amdhsa_reserve_vcc 0
		.amdhsa_float_round_mode_32 0
		.amdhsa_float_round_mode_16_64 0
		.amdhsa_float_denorm_mode_32 3
		.amdhsa_float_denorm_mode_16_64 3
		.amdhsa_fp16_overflow 0
		.amdhsa_workgroup_processor_mode 1
		.amdhsa_memory_ordered 1
		.amdhsa_forward_progress 1
		.amdhsa_inst_pref_size 0
		.amdhsa_round_robin_scheduling 0
		.amdhsa_exception_fp_ieee_invalid_op 0
		.amdhsa_exception_fp_denorm_src 0
		.amdhsa_exception_fp_ieee_div_zero 0
		.amdhsa_exception_fp_ieee_overflow 0
		.amdhsa_exception_fp_ieee_underflow 0
		.amdhsa_exception_fp_ieee_inexact 0
		.amdhsa_exception_int_div_zero 0
	.end_amdhsa_kernel
	.section	.text._ZN7rocprim17ROCPRIM_400000_NS6detail17trampoline_kernelINS0_14default_configENS1_25partition_config_selectorILNS1_17partition_subalgoE9EiibEEZZNS1_14partition_implILS5_9ELb0ES3_jPKiN6thrust23THRUST_200600_302600_NS17counting_iteratorIiNSB_11use_defaultESD_SD_EEPNS0_10empty_typeENS0_5tupleIJPiSF_EEENSH_IJSI_SG_EEENS0_18inequality_wrapperIN6hipcub16HIPCUB_304000_NS8EqualityEEEPlJSF_EEE10hipError_tPvRmT3_T4_T5_T6_T7_T9_mT8_P12ihipStream_tbDpT10_ENKUlT_T0_E_clISt17integral_constantIbLb1EES1A_EEDaS15_S16_EUlS15_E_NS1_11comp_targetILNS1_3genE0ELNS1_11target_archE4294967295ELNS1_3gpuE0ELNS1_3repE0EEENS1_30default_config_static_selectorELNS0_4arch9wavefront6targetE0EEEvT1_,"axG",@progbits,_ZN7rocprim17ROCPRIM_400000_NS6detail17trampoline_kernelINS0_14default_configENS1_25partition_config_selectorILNS1_17partition_subalgoE9EiibEEZZNS1_14partition_implILS5_9ELb0ES3_jPKiN6thrust23THRUST_200600_302600_NS17counting_iteratorIiNSB_11use_defaultESD_SD_EEPNS0_10empty_typeENS0_5tupleIJPiSF_EEENSH_IJSI_SG_EEENS0_18inequality_wrapperIN6hipcub16HIPCUB_304000_NS8EqualityEEEPlJSF_EEE10hipError_tPvRmT3_T4_T5_T6_T7_T9_mT8_P12ihipStream_tbDpT10_ENKUlT_T0_E_clISt17integral_constantIbLb1EES1A_EEDaS15_S16_EUlS15_E_NS1_11comp_targetILNS1_3genE0ELNS1_11target_archE4294967295ELNS1_3gpuE0ELNS1_3repE0EEENS1_30default_config_static_selectorELNS0_4arch9wavefront6targetE0EEEvT1_,comdat
.Lfunc_end18:
	.size	_ZN7rocprim17ROCPRIM_400000_NS6detail17trampoline_kernelINS0_14default_configENS1_25partition_config_selectorILNS1_17partition_subalgoE9EiibEEZZNS1_14partition_implILS5_9ELb0ES3_jPKiN6thrust23THRUST_200600_302600_NS17counting_iteratorIiNSB_11use_defaultESD_SD_EEPNS0_10empty_typeENS0_5tupleIJPiSF_EEENSH_IJSI_SG_EEENS0_18inequality_wrapperIN6hipcub16HIPCUB_304000_NS8EqualityEEEPlJSF_EEE10hipError_tPvRmT3_T4_T5_T6_T7_T9_mT8_P12ihipStream_tbDpT10_ENKUlT_T0_E_clISt17integral_constantIbLb1EES1A_EEDaS15_S16_EUlS15_E_NS1_11comp_targetILNS1_3genE0ELNS1_11target_archE4294967295ELNS1_3gpuE0ELNS1_3repE0EEENS1_30default_config_static_selectorELNS0_4arch9wavefront6targetE0EEEvT1_, .Lfunc_end18-_ZN7rocprim17ROCPRIM_400000_NS6detail17trampoline_kernelINS0_14default_configENS1_25partition_config_selectorILNS1_17partition_subalgoE9EiibEEZZNS1_14partition_implILS5_9ELb0ES3_jPKiN6thrust23THRUST_200600_302600_NS17counting_iteratorIiNSB_11use_defaultESD_SD_EEPNS0_10empty_typeENS0_5tupleIJPiSF_EEENSH_IJSI_SG_EEENS0_18inequality_wrapperIN6hipcub16HIPCUB_304000_NS8EqualityEEEPlJSF_EEE10hipError_tPvRmT3_T4_T5_T6_T7_T9_mT8_P12ihipStream_tbDpT10_ENKUlT_T0_E_clISt17integral_constantIbLb1EES1A_EEDaS15_S16_EUlS15_E_NS1_11comp_targetILNS1_3genE0ELNS1_11target_archE4294967295ELNS1_3gpuE0ELNS1_3repE0EEENS1_30default_config_static_selectorELNS0_4arch9wavefront6targetE0EEEvT1_
                                        ; -- End function
	.set _ZN7rocprim17ROCPRIM_400000_NS6detail17trampoline_kernelINS0_14default_configENS1_25partition_config_selectorILNS1_17partition_subalgoE9EiibEEZZNS1_14partition_implILS5_9ELb0ES3_jPKiN6thrust23THRUST_200600_302600_NS17counting_iteratorIiNSB_11use_defaultESD_SD_EEPNS0_10empty_typeENS0_5tupleIJPiSF_EEENSH_IJSI_SG_EEENS0_18inequality_wrapperIN6hipcub16HIPCUB_304000_NS8EqualityEEEPlJSF_EEE10hipError_tPvRmT3_T4_T5_T6_T7_T9_mT8_P12ihipStream_tbDpT10_ENKUlT_T0_E_clISt17integral_constantIbLb1EES1A_EEDaS15_S16_EUlS15_E_NS1_11comp_targetILNS1_3genE0ELNS1_11target_archE4294967295ELNS1_3gpuE0ELNS1_3repE0EEENS1_30default_config_static_selectorELNS0_4arch9wavefront6targetE0EEEvT1_.num_vgpr, 0
	.set _ZN7rocprim17ROCPRIM_400000_NS6detail17trampoline_kernelINS0_14default_configENS1_25partition_config_selectorILNS1_17partition_subalgoE9EiibEEZZNS1_14partition_implILS5_9ELb0ES3_jPKiN6thrust23THRUST_200600_302600_NS17counting_iteratorIiNSB_11use_defaultESD_SD_EEPNS0_10empty_typeENS0_5tupleIJPiSF_EEENSH_IJSI_SG_EEENS0_18inequality_wrapperIN6hipcub16HIPCUB_304000_NS8EqualityEEEPlJSF_EEE10hipError_tPvRmT3_T4_T5_T6_T7_T9_mT8_P12ihipStream_tbDpT10_ENKUlT_T0_E_clISt17integral_constantIbLb1EES1A_EEDaS15_S16_EUlS15_E_NS1_11comp_targetILNS1_3genE0ELNS1_11target_archE4294967295ELNS1_3gpuE0ELNS1_3repE0EEENS1_30default_config_static_selectorELNS0_4arch9wavefront6targetE0EEEvT1_.num_agpr, 0
	.set _ZN7rocprim17ROCPRIM_400000_NS6detail17trampoline_kernelINS0_14default_configENS1_25partition_config_selectorILNS1_17partition_subalgoE9EiibEEZZNS1_14partition_implILS5_9ELb0ES3_jPKiN6thrust23THRUST_200600_302600_NS17counting_iteratorIiNSB_11use_defaultESD_SD_EEPNS0_10empty_typeENS0_5tupleIJPiSF_EEENSH_IJSI_SG_EEENS0_18inequality_wrapperIN6hipcub16HIPCUB_304000_NS8EqualityEEEPlJSF_EEE10hipError_tPvRmT3_T4_T5_T6_T7_T9_mT8_P12ihipStream_tbDpT10_ENKUlT_T0_E_clISt17integral_constantIbLb1EES1A_EEDaS15_S16_EUlS15_E_NS1_11comp_targetILNS1_3genE0ELNS1_11target_archE4294967295ELNS1_3gpuE0ELNS1_3repE0EEENS1_30default_config_static_selectorELNS0_4arch9wavefront6targetE0EEEvT1_.numbered_sgpr, 0
	.set _ZN7rocprim17ROCPRIM_400000_NS6detail17trampoline_kernelINS0_14default_configENS1_25partition_config_selectorILNS1_17partition_subalgoE9EiibEEZZNS1_14partition_implILS5_9ELb0ES3_jPKiN6thrust23THRUST_200600_302600_NS17counting_iteratorIiNSB_11use_defaultESD_SD_EEPNS0_10empty_typeENS0_5tupleIJPiSF_EEENSH_IJSI_SG_EEENS0_18inequality_wrapperIN6hipcub16HIPCUB_304000_NS8EqualityEEEPlJSF_EEE10hipError_tPvRmT3_T4_T5_T6_T7_T9_mT8_P12ihipStream_tbDpT10_ENKUlT_T0_E_clISt17integral_constantIbLb1EES1A_EEDaS15_S16_EUlS15_E_NS1_11comp_targetILNS1_3genE0ELNS1_11target_archE4294967295ELNS1_3gpuE0ELNS1_3repE0EEENS1_30default_config_static_selectorELNS0_4arch9wavefront6targetE0EEEvT1_.num_named_barrier, 0
	.set _ZN7rocprim17ROCPRIM_400000_NS6detail17trampoline_kernelINS0_14default_configENS1_25partition_config_selectorILNS1_17partition_subalgoE9EiibEEZZNS1_14partition_implILS5_9ELb0ES3_jPKiN6thrust23THRUST_200600_302600_NS17counting_iteratorIiNSB_11use_defaultESD_SD_EEPNS0_10empty_typeENS0_5tupleIJPiSF_EEENSH_IJSI_SG_EEENS0_18inequality_wrapperIN6hipcub16HIPCUB_304000_NS8EqualityEEEPlJSF_EEE10hipError_tPvRmT3_T4_T5_T6_T7_T9_mT8_P12ihipStream_tbDpT10_ENKUlT_T0_E_clISt17integral_constantIbLb1EES1A_EEDaS15_S16_EUlS15_E_NS1_11comp_targetILNS1_3genE0ELNS1_11target_archE4294967295ELNS1_3gpuE0ELNS1_3repE0EEENS1_30default_config_static_selectorELNS0_4arch9wavefront6targetE0EEEvT1_.private_seg_size, 0
	.set _ZN7rocprim17ROCPRIM_400000_NS6detail17trampoline_kernelINS0_14default_configENS1_25partition_config_selectorILNS1_17partition_subalgoE9EiibEEZZNS1_14partition_implILS5_9ELb0ES3_jPKiN6thrust23THRUST_200600_302600_NS17counting_iteratorIiNSB_11use_defaultESD_SD_EEPNS0_10empty_typeENS0_5tupleIJPiSF_EEENSH_IJSI_SG_EEENS0_18inequality_wrapperIN6hipcub16HIPCUB_304000_NS8EqualityEEEPlJSF_EEE10hipError_tPvRmT3_T4_T5_T6_T7_T9_mT8_P12ihipStream_tbDpT10_ENKUlT_T0_E_clISt17integral_constantIbLb1EES1A_EEDaS15_S16_EUlS15_E_NS1_11comp_targetILNS1_3genE0ELNS1_11target_archE4294967295ELNS1_3gpuE0ELNS1_3repE0EEENS1_30default_config_static_selectorELNS0_4arch9wavefront6targetE0EEEvT1_.uses_vcc, 0
	.set _ZN7rocprim17ROCPRIM_400000_NS6detail17trampoline_kernelINS0_14default_configENS1_25partition_config_selectorILNS1_17partition_subalgoE9EiibEEZZNS1_14partition_implILS5_9ELb0ES3_jPKiN6thrust23THRUST_200600_302600_NS17counting_iteratorIiNSB_11use_defaultESD_SD_EEPNS0_10empty_typeENS0_5tupleIJPiSF_EEENSH_IJSI_SG_EEENS0_18inequality_wrapperIN6hipcub16HIPCUB_304000_NS8EqualityEEEPlJSF_EEE10hipError_tPvRmT3_T4_T5_T6_T7_T9_mT8_P12ihipStream_tbDpT10_ENKUlT_T0_E_clISt17integral_constantIbLb1EES1A_EEDaS15_S16_EUlS15_E_NS1_11comp_targetILNS1_3genE0ELNS1_11target_archE4294967295ELNS1_3gpuE0ELNS1_3repE0EEENS1_30default_config_static_selectorELNS0_4arch9wavefront6targetE0EEEvT1_.uses_flat_scratch, 0
	.set _ZN7rocprim17ROCPRIM_400000_NS6detail17trampoline_kernelINS0_14default_configENS1_25partition_config_selectorILNS1_17partition_subalgoE9EiibEEZZNS1_14partition_implILS5_9ELb0ES3_jPKiN6thrust23THRUST_200600_302600_NS17counting_iteratorIiNSB_11use_defaultESD_SD_EEPNS0_10empty_typeENS0_5tupleIJPiSF_EEENSH_IJSI_SG_EEENS0_18inequality_wrapperIN6hipcub16HIPCUB_304000_NS8EqualityEEEPlJSF_EEE10hipError_tPvRmT3_T4_T5_T6_T7_T9_mT8_P12ihipStream_tbDpT10_ENKUlT_T0_E_clISt17integral_constantIbLb1EES1A_EEDaS15_S16_EUlS15_E_NS1_11comp_targetILNS1_3genE0ELNS1_11target_archE4294967295ELNS1_3gpuE0ELNS1_3repE0EEENS1_30default_config_static_selectorELNS0_4arch9wavefront6targetE0EEEvT1_.has_dyn_sized_stack, 0
	.set _ZN7rocprim17ROCPRIM_400000_NS6detail17trampoline_kernelINS0_14default_configENS1_25partition_config_selectorILNS1_17partition_subalgoE9EiibEEZZNS1_14partition_implILS5_9ELb0ES3_jPKiN6thrust23THRUST_200600_302600_NS17counting_iteratorIiNSB_11use_defaultESD_SD_EEPNS0_10empty_typeENS0_5tupleIJPiSF_EEENSH_IJSI_SG_EEENS0_18inequality_wrapperIN6hipcub16HIPCUB_304000_NS8EqualityEEEPlJSF_EEE10hipError_tPvRmT3_T4_T5_T6_T7_T9_mT8_P12ihipStream_tbDpT10_ENKUlT_T0_E_clISt17integral_constantIbLb1EES1A_EEDaS15_S16_EUlS15_E_NS1_11comp_targetILNS1_3genE0ELNS1_11target_archE4294967295ELNS1_3gpuE0ELNS1_3repE0EEENS1_30default_config_static_selectorELNS0_4arch9wavefront6targetE0EEEvT1_.has_recursion, 0
	.set _ZN7rocprim17ROCPRIM_400000_NS6detail17trampoline_kernelINS0_14default_configENS1_25partition_config_selectorILNS1_17partition_subalgoE9EiibEEZZNS1_14partition_implILS5_9ELb0ES3_jPKiN6thrust23THRUST_200600_302600_NS17counting_iteratorIiNSB_11use_defaultESD_SD_EEPNS0_10empty_typeENS0_5tupleIJPiSF_EEENSH_IJSI_SG_EEENS0_18inequality_wrapperIN6hipcub16HIPCUB_304000_NS8EqualityEEEPlJSF_EEE10hipError_tPvRmT3_T4_T5_T6_T7_T9_mT8_P12ihipStream_tbDpT10_ENKUlT_T0_E_clISt17integral_constantIbLb1EES1A_EEDaS15_S16_EUlS15_E_NS1_11comp_targetILNS1_3genE0ELNS1_11target_archE4294967295ELNS1_3gpuE0ELNS1_3repE0EEENS1_30default_config_static_selectorELNS0_4arch9wavefront6targetE0EEEvT1_.has_indirect_call, 0
	.section	.AMDGPU.csdata,"",@progbits
; Kernel info:
; codeLenInByte = 0
; TotalNumSgprs: 0
; NumVgprs: 0
; ScratchSize: 0
; MemoryBound: 0
; FloatMode: 240
; IeeeMode: 1
; LDSByteSize: 0 bytes/workgroup (compile time only)
; SGPRBlocks: 0
; VGPRBlocks: 0
; NumSGPRsForWavesPerEU: 1
; NumVGPRsForWavesPerEU: 1
; Occupancy: 16
; WaveLimiterHint : 0
; COMPUTE_PGM_RSRC2:SCRATCH_EN: 0
; COMPUTE_PGM_RSRC2:USER_SGPR: 2
; COMPUTE_PGM_RSRC2:TRAP_HANDLER: 0
; COMPUTE_PGM_RSRC2:TGID_X_EN: 1
; COMPUTE_PGM_RSRC2:TGID_Y_EN: 0
; COMPUTE_PGM_RSRC2:TGID_Z_EN: 0
; COMPUTE_PGM_RSRC2:TIDIG_COMP_CNT: 0
	.section	.text._ZN7rocprim17ROCPRIM_400000_NS6detail17trampoline_kernelINS0_14default_configENS1_25partition_config_selectorILNS1_17partition_subalgoE9EiibEEZZNS1_14partition_implILS5_9ELb0ES3_jPKiN6thrust23THRUST_200600_302600_NS17counting_iteratorIiNSB_11use_defaultESD_SD_EEPNS0_10empty_typeENS0_5tupleIJPiSF_EEENSH_IJSI_SG_EEENS0_18inequality_wrapperIN6hipcub16HIPCUB_304000_NS8EqualityEEEPlJSF_EEE10hipError_tPvRmT3_T4_T5_T6_T7_T9_mT8_P12ihipStream_tbDpT10_ENKUlT_T0_E_clISt17integral_constantIbLb1EES1A_EEDaS15_S16_EUlS15_E_NS1_11comp_targetILNS1_3genE5ELNS1_11target_archE942ELNS1_3gpuE9ELNS1_3repE0EEENS1_30default_config_static_selectorELNS0_4arch9wavefront6targetE0EEEvT1_,"axG",@progbits,_ZN7rocprim17ROCPRIM_400000_NS6detail17trampoline_kernelINS0_14default_configENS1_25partition_config_selectorILNS1_17partition_subalgoE9EiibEEZZNS1_14partition_implILS5_9ELb0ES3_jPKiN6thrust23THRUST_200600_302600_NS17counting_iteratorIiNSB_11use_defaultESD_SD_EEPNS0_10empty_typeENS0_5tupleIJPiSF_EEENSH_IJSI_SG_EEENS0_18inequality_wrapperIN6hipcub16HIPCUB_304000_NS8EqualityEEEPlJSF_EEE10hipError_tPvRmT3_T4_T5_T6_T7_T9_mT8_P12ihipStream_tbDpT10_ENKUlT_T0_E_clISt17integral_constantIbLb1EES1A_EEDaS15_S16_EUlS15_E_NS1_11comp_targetILNS1_3genE5ELNS1_11target_archE942ELNS1_3gpuE9ELNS1_3repE0EEENS1_30default_config_static_selectorELNS0_4arch9wavefront6targetE0EEEvT1_,comdat
	.protected	_ZN7rocprim17ROCPRIM_400000_NS6detail17trampoline_kernelINS0_14default_configENS1_25partition_config_selectorILNS1_17partition_subalgoE9EiibEEZZNS1_14partition_implILS5_9ELb0ES3_jPKiN6thrust23THRUST_200600_302600_NS17counting_iteratorIiNSB_11use_defaultESD_SD_EEPNS0_10empty_typeENS0_5tupleIJPiSF_EEENSH_IJSI_SG_EEENS0_18inequality_wrapperIN6hipcub16HIPCUB_304000_NS8EqualityEEEPlJSF_EEE10hipError_tPvRmT3_T4_T5_T6_T7_T9_mT8_P12ihipStream_tbDpT10_ENKUlT_T0_E_clISt17integral_constantIbLb1EES1A_EEDaS15_S16_EUlS15_E_NS1_11comp_targetILNS1_3genE5ELNS1_11target_archE942ELNS1_3gpuE9ELNS1_3repE0EEENS1_30default_config_static_selectorELNS0_4arch9wavefront6targetE0EEEvT1_ ; -- Begin function _ZN7rocprim17ROCPRIM_400000_NS6detail17trampoline_kernelINS0_14default_configENS1_25partition_config_selectorILNS1_17partition_subalgoE9EiibEEZZNS1_14partition_implILS5_9ELb0ES3_jPKiN6thrust23THRUST_200600_302600_NS17counting_iteratorIiNSB_11use_defaultESD_SD_EEPNS0_10empty_typeENS0_5tupleIJPiSF_EEENSH_IJSI_SG_EEENS0_18inequality_wrapperIN6hipcub16HIPCUB_304000_NS8EqualityEEEPlJSF_EEE10hipError_tPvRmT3_T4_T5_T6_T7_T9_mT8_P12ihipStream_tbDpT10_ENKUlT_T0_E_clISt17integral_constantIbLb1EES1A_EEDaS15_S16_EUlS15_E_NS1_11comp_targetILNS1_3genE5ELNS1_11target_archE942ELNS1_3gpuE9ELNS1_3repE0EEENS1_30default_config_static_selectorELNS0_4arch9wavefront6targetE0EEEvT1_
	.globl	_ZN7rocprim17ROCPRIM_400000_NS6detail17trampoline_kernelINS0_14default_configENS1_25partition_config_selectorILNS1_17partition_subalgoE9EiibEEZZNS1_14partition_implILS5_9ELb0ES3_jPKiN6thrust23THRUST_200600_302600_NS17counting_iteratorIiNSB_11use_defaultESD_SD_EEPNS0_10empty_typeENS0_5tupleIJPiSF_EEENSH_IJSI_SG_EEENS0_18inequality_wrapperIN6hipcub16HIPCUB_304000_NS8EqualityEEEPlJSF_EEE10hipError_tPvRmT3_T4_T5_T6_T7_T9_mT8_P12ihipStream_tbDpT10_ENKUlT_T0_E_clISt17integral_constantIbLb1EES1A_EEDaS15_S16_EUlS15_E_NS1_11comp_targetILNS1_3genE5ELNS1_11target_archE942ELNS1_3gpuE9ELNS1_3repE0EEENS1_30default_config_static_selectorELNS0_4arch9wavefront6targetE0EEEvT1_
	.p2align	8
	.type	_ZN7rocprim17ROCPRIM_400000_NS6detail17trampoline_kernelINS0_14default_configENS1_25partition_config_selectorILNS1_17partition_subalgoE9EiibEEZZNS1_14partition_implILS5_9ELb0ES3_jPKiN6thrust23THRUST_200600_302600_NS17counting_iteratorIiNSB_11use_defaultESD_SD_EEPNS0_10empty_typeENS0_5tupleIJPiSF_EEENSH_IJSI_SG_EEENS0_18inequality_wrapperIN6hipcub16HIPCUB_304000_NS8EqualityEEEPlJSF_EEE10hipError_tPvRmT3_T4_T5_T6_T7_T9_mT8_P12ihipStream_tbDpT10_ENKUlT_T0_E_clISt17integral_constantIbLb1EES1A_EEDaS15_S16_EUlS15_E_NS1_11comp_targetILNS1_3genE5ELNS1_11target_archE942ELNS1_3gpuE9ELNS1_3repE0EEENS1_30default_config_static_selectorELNS0_4arch9wavefront6targetE0EEEvT1_,@function
_ZN7rocprim17ROCPRIM_400000_NS6detail17trampoline_kernelINS0_14default_configENS1_25partition_config_selectorILNS1_17partition_subalgoE9EiibEEZZNS1_14partition_implILS5_9ELb0ES3_jPKiN6thrust23THRUST_200600_302600_NS17counting_iteratorIiNSB_11use_defaultESD_SD_EEPNS0_10empty_typeENS0_5tupleIJPiSF_EEENSH_IJSI_SG_EEENS0_18inequality_wrapperIN6hipcub16HIPCUB_304000_NS8EqualityEEEPlJSF_EEE10hipError_tPvRmT3_T4_T5_T6_T7_T9_mT8_P12ihipStream_tbDpT10_ENKUlT_T0_E_clISt17integral_constantIbLb1EES1A_EEDaS15_S16_EUlS15_E_NS1_11comp_targetILNS1_3genE5ELNS1_11target_archE942ELNS1_3gpuE9ELNS1_3repE0EEENS1_30default_config_static_selectorELNS0_4arch9wavefront6targetE0EEEvT1_: ; @_ZN7rocprim17ROCPRIM_400000_NS6detail17trampoline_kernelINS0_14default_configENS1_25partition_config_selectorILNS1_17partition_subalgoE9EiibEEZZNS1_14partition_implILS5_9ELb0ES3_jPKiN6thrust23THRUST_200600_302600_NS17counting_iteratorIiNSB_11use_defaultESD_SD_EEPNS0_10empty_typeENS0_5tupleIJPiSF_EEENSH_IJSI_SG_EEENS0_18inequality_wrapperIN6hipcub16HIPCUB_304000_NS8EqualityEEEPlJSF_EEE10hipError_tPvRmT3_T4_T5_T6_T7_T9_mT8_P12ihipStream_tbDpT10_ENKUlT_T0_E_clISt17integral_constantIbLb1EES1A_EEDaS15_S16_EUlS15_E_NS1_11comp_targetILNS1_3genE5ELNS1_11target_archE942ELNS1_3gpuE9ELNS1_3repE0EEENS1_30default_config_static_selectorELNS0_4arch9wavefront6targetE0EEEvT1_
; %bb.0:
	.section	.rodata,"a",@progbits
	.p2align	6, 0x0
	.amdhsa_kernel _ZN7rocprim17ROCPRIM_400000_NS6detail17trampoline_kernelINS0_14default_configENS1_25partition_config_selectorILNS1_17partition_subalgoE9EiibEEZZNS1_14partition_implILS5_9ELb0ES3_jPKiN6thrust23THRUST_200600_302600_NS17counting_iteratorIiNSB_11use_defaultESD_SD_EEPNS0_10empty_typeENS0_5tupleIJPiSF_EEENSH_IJSI_SG_EEENS0_18inequality_wrapperIN6hipcub16HIPCUB_304000_NS8EqualityEEEPlJSF_EEE10hipError_tPvRmT3_T4_T5_T6_T7_T9_mT8_P12ihipStream_tbDpT10_ENKUlT_T0_E_clISt17integral_constantIbLb1EES1A_EEDaS15_S16_EUlS15_E_NS1_11comp_targetILNS1_3genE5ELNS1_11target_archE942ELNS1_3gpuE9ELNS1_3repE0EEENS1_30default_config_static_selectorELNS0_4arch9wavefront6targetE0EEEvT1_
		.amdhsa_group_segment_fixed_size 0
		.amdhsa_private_segment_fixed_size 0
		.amdhsa_kernarg_size 128
		.amdhsa_user_sgpr_count 2
		.amdhsa_user_sgpr_dispatch_ptr 0
		.amdhsa_user_sgpr_queue_ptr 0
		.amdhsa_user_sgpr_kernarg_segment_ptr 1
		.amdhsa_user_sgpr_dispatch_id 0
		.amdhsa_user_sgpr_private_segment_size 0
		.amdhsa_wavefront_size32 1
		.amdhsa_uses_dynamic_stack 0
		.amdhsa_enable_private_segment 0
		.amdhsa_system_sgpr_workgroup_id_x 1
		.amdhsa_system_sgpr_workgroup_id_y 0
		.amdhsa_system_sgpr_workgroup_id_z 0
		.amdhsa_system_sgpr_workgroup_info 0
		.amdhsa_system_vgpr_workitem_id 0
		.amdhsa_next_free_vgpr 1
		.amdhsa_next_free_sgpr 1
		.amdhsa_reserve_vcc 0
		.amdhsa_float_round_mode_32 0
		.amdhsa_float_round_mode_16_64 0
		.amdhsa_float_denorm_mode_32 3
		.amdhsa_float_denorm_mode_16_64 3
		.amdhsa_fp16_overflow 0
		.amdhsa_workgroup_processor_mode 1
		.amdhsa_memory_ordered 1
		.amdhsa_forward_progress 1
		.amdhsa_inst_pref_size 0
		.amdhsa_round_robin_scheduling 0
		.amdhsa_exception_fp_ieee_invalid_op 0
		.amdhsa_exception_fp_denorm_src 0
		.amdhsa_exception_fp_ieee_div_zero 0
		.amdhsa_exception_fp_ieee_overflow 0
		.amdhsa_exception_fp_ieee_underflow 0
		.amdhsa_exception_fp_ieee_inexact 0
		.amdhsa_exception_int_div_zero 0
	.end_amdhsa_kernel
	.section	.text._ZN7rocprim17ROCPRIM_400000_NS6detail17trampoline_kernelINS0_14default_configENS1_25partition_config_selectorILNS1_17partition_subalgoE9EiibEEZZNS1_14partition_implILS5_9ELb0ES3_jPKiN6thrust23THRUST_200600_302600_NS17counting_iteratorIiNSB_11use_defaultESD_SD_EEPNS0_10empty_typeENS0_5tupleIJPiSF_EEENSH_IJSI_SG_EEENS0_18inequality_wrapperIN6hipcub16HIPCUB_304000_NS8EqualityEEEPlJSF_EEE10hipError_tPvRmT3_T4_T5_T6_T7_T9_mT8_P12ihipStream_tbDpT10_ENKUlT_T0_E_clISt17integral_constantIbLb1EES1A_EEDaS15_S16_EUlS15_E_NS1_11comp_targetILNS1_3genE5ELNS1_11target_archE942ELNS1_3gpuE9ELNS1_3repE0EEENS1_30default_config_static_selectorELNS0_4arch9wavefront6targetE0EEEvT1_,"axG",@progbits,_ZN7rocprim17ROCPRIM_400000_NS6detail17trampoline_kernelINS0_14default_configENS1_25partition_config_selectorILNS1_17partition_subalgoE9EiibEEZZNS1_14partition_implILS5_9ELb0ES3_jPKiN6thrust23THRUST_200600_302600_NS17counting_iteratorIiNSB_11use_defaultESD_SD_EEPNS0_10empty_typeENS0_5tupleIJPiSF_EEENSH_IJSI_SG_EEENS0_18inequality_wrapperIN6hipcub16HIPCUB_304000_NS8EqualityEEEPlJSF_EEE10hipError_tPvRmT3_T4_T5_T6_T7_T9_mT8_P12ihipStream_tbDpT10_ENKUlT_T0_E_clISt17integral_constantIbLb1EES1A_EEDaS15_S16_EUlS15_E_NS1_11comp_targetILNS1_3genE5ELNS1_11target_archE942ELNS1_3gpuE9ELNS1_3repE0EEENS1_30default_config_static_selectorELNS0_4arch9wavefront6targetE0EEEvT1_,comdat
.Lfunc_end19:
	.size	_ZN7rocprim17ROCPRIM_400000_NS6detail17trampoline_kernelINS0_14default_configENS1_25partition_config_selectorILNS1_17partition_subalgoE9EiibEEZZNS1_14partition_implILS5_9ELb0ES3_jPKiN6thrust23THRUST_200600_302600_NS17counting_iteratorIiNSB_11use_defaultESD_SD_EEPNS0_10empty_typeENS0_5tupleIJPiSF_EEENSH_IJSI_SG_EEENS0_18inequality_wrapperIN6hipcub16HIPCUB_304000_NS8EqualityEEEPlJSF_EEE10hipError_tPvRmT3_T4_T5_T6_T7_T9_mT8_P12ihipStream_tbDpT10_ENKUlT_T0_E_clISt17integral_constantIbLb1EES1A_EEDaS15_S16_EUlS15_E_NS1_11comp_targetILNS1_3genE5ELNS1_11target_archE942ELNS1_3gpuE9ELNS1_3repE0EEENS1_30default_config_static_selectorELNS0_4arch9wavefront6targetE0EEEvT1_, .Lfunc_end19-_ZN7rocprim17ROCPRIM_400000_NS6detail17trampoline_kernelINS0_14default_configENS1_25partition_config_selectorILNS1_17partition_subalgoE9EiibEEZZNS1_14partition_implILS5_9ELb0ES3_jPKiN6thrust23THRUST_200600_302600_NS17counting_iteratorIiNSB_11use_defaultESD_SD_EEPNS0_10empty_typeENS0_5tupleIJPiSF_EEENSH_IJSI_SG_EEENS0_18inequality_wrapperIN6hipcub16HIPCUB_304000_NS8EqualityEEEPlJSF_EEE10hipError_tPvRmT3_T4_T5_T6_T7_T9_mT8_P12ihipStream_tbDpT10_ENKUlT_T0_E_clISt17integral_constantIbLb1EES1A_EEDaS15_S16_EUlS15_E_NS1_11comp_targetILNS1_3genE5ELNS1_11target_archE942ELNS1_3gpuE9ELNS1_3repE0EEENS1_30default_config_static_selectorELNS0_4arch9wavefront6targetE0EEEvT1_
                                        ; -- End function
	.set _ZN7rocprim17ROCPRIM_400000_NS6detail17trampoline_kernelINS0_14default_configENS1_25partition_config_selectorILNS1_17partition_subalgoE9EiibEEZZNS1_14partition_implILS5_9ELb0ES3_jPKiN6thrust23THRUST_200600_302600_NS17counting_iteratorIiNSB_11use_defaultESD_SD_EEPNS0_10empty_typeENS0_5tupleIJPiSF_EEENSH_IJSI_SG_EEENS0_18inequality_wrapperIN6hipcub16HIPCUB_304000_NS8EqualityEEEPlJSF_EEE10hipError_tPvRmT3_T4_T5_T6_T7_T9_mT8_P12ihipStream_tbDpT10_ENKUlT_T0_E_clISt17integral_constantIbLb1EES1A_EEDaS15_S16_EUlS15_E_NS1_11comp_targetILNS1_3genE5ELNS1_11target_archE942ELNS1_3gpuE9ELNS1_3repE0EEENS1_30default_config_static_selectorELNS0_4arch9wavefront6targetE0EEEvT1_.num_vgpr, 0
	.set _ZN7rocprim17ROCPRIM_400000_NS6detail17trampoline_kernelINS0_14default_configENS1_25partition_config_selectorILNS1_17partition_subalgoE9EiibEEZZNS1_14partition_implILS5_9ELb0ES3_jPKiN6thrust23THRUST_200600_302600_NS17counting_iteratorIiNSB_11use_defaultESD_SD_EEPNS0_10empty_typeENS0_5tupleIJPiSF_EEENSH_IJSI_SG_EEENS0_18inequality_wrapperIN6hipcub16HIPCUB_304000_NS8EqualityEEEPlJSF_EEE10hipError_tPvRmT3_T4_T5_T6_T7_T9_mT8_P12ihipStream_tbDpT10_ENKUlT_T0_E_clISt17integral_constantIbLb1EES1A_EEDaS15_S16_EUlS15_E_NS1_11comp_targetILNS1_3genE5ELNS1_11target_archE942ELNS1_3gpuE9ELNS1_3repE0EEENS1_30default_config_static_selectorELNS0_4arch9wavefront6targetE0EEEvT1_.num_agpr, 0
	.set _ZN7rocprim17ROCPRIM_400000_NS6detail17trampoline_kernelINS0_14default_configENS1_25partition_config_selectorILNS1_17partition_subalgoE9EiibEEZZNS1_14partition_implILS5_9ELb0ES3_jPKiN6thrust23THRUST_200600_302600_NS17counting_iteratorIiNSB_11use_defaultESD_SD_EEPNS0_10empty_typeENS0_5tupleIJPiSF_EEENSH_IJSI_SG_EEENS0_18inequality_wrapperIN6hipcub16HIPCUB_304000_NS8EqualityEEEPlJSF_EEE10hipError_tPvRmT3_T4_T5_T6_T7_T9_mT8_P12ihipStream_tbDpT10_ENKUlT_T0_E_clISt17integral_constantIbLb1EES1A_EEDaS15_S16_EUlS15_E_NS1_11comp_targetILNS1_3genE5ELNS1_11target_archE942ELNS1_3gpuE9ELNS1_3repE0EEENS1_30default_config_static_selectorELNS0_4arch9wavefront6targetE0EEEvT1_.numbered_sgpr, 0
	.set _ZN7rocprim17ROCPRIM_400000_NS6detail17trampoline_kernelINS0_14default_configENS1_25partition_config_selectorILNS1_17partition_subalgoE9EiibEEZZNS1_14partition_implILS5_9ELb0ES3_jPKiN6thrust23THRUST_200600_302600_NS17counting_iteratorIiNSB_11use_defaultESD_SD_EEPNS0_10empty_typeENS0_5tupleIJPiSF_EEENSH_IJSI_SG_EEENS0_18inequality_wrapperIN6hipcub16HIPCUB_304000_NS8EqualityEEEPlJSF_EEE10hipError_tPvRmT3_T4_T5_T6_T7_T9_mT8_P12ihipStream_tbDpT10_ENKUlT_T0_E_clISt17integral_constantIbLb1EES1A_EEDaS15_S16_EUlS15_E_NS1_11comp_targetILNS1_3genE5ELNS1_11target_archE942ELNS1_3gpuE9ELNS1_3repE0EEENS1_30default_config_static_selectorELNS0_4arch9wavefront6targetE0EEEvT1_.num_named_barrier, 0
	.set _ZN7rocprim17ROCPRIM_400000_NS6detail17trampoline_kernelINS0_14default_configENS1_25partition_config_selectorILNS1_17partition_subalgoE9EiibEEZZNS1_14partition_implILS5_9ELb0ES3_jPKiN6thrust23THRUST_200600_302600_NS17counting_iteratorIiNSB_11use_defaultESD_SD_EEPNS0_10empty_typeENS0_5tupleIJPiSF_EEENSH_IJSI_SG_EEENS0_18inequality_wrapperIN6hipcub16HIPCUB_304000_NS8EqualityEEEPlJSF_EEE10hipError_tPvRmT3_T4_T5_T6_T7_T9_mT8_P12ihipStream_tbDpT10_ENKUlT_T0_E_clISt17integral_constantIbLb1EES1A_EEDaS15_S16_EUlS15_E_NS1_11comp_targetILNS1_3genE5ELNS1_11target_archE942ELNS1_3gpuE9ELNS1_3repE0EEENS1_30default_config_static_selectorELNS0_4arch9wavefront6targetE0EEEvT1_.private_seg_size, 0
	.set _ZN7rocprim17ROCPRIM_400000_NS6detail17trampoline_kernelINS0_14default_configENS1_25partition_config_selectorILNS1_17partition_subalgoE9EiibEEZZNS1_14partition_implILS5_9ELb0ES3_jPKiN6thrust23THRUST_200600_302600_NS17counting_iteratorIiNSB_11use_defaultESD_SD_EEPNS0_10empty_typeENS0_5tupleIJPiSF_EEENSH_IJSI_SG_EEENS0_18inequality_wrapperIN6hipcub16HIPCUB_304000_NS8EqualityEEEPlJSF_EEE10hipError_tPvRmT3_T4_T5_T6_T7_T9_mT8_P12ihipStream_tbDpT10_ENKUlT_T0_E_clISt17integral_constantIbLb1EES1A_EEDaS15_S16_EUlS15_E_NS1_11comp_targetILNS1_3genE5ELNS1_11target_archE942ELNS1_3gpuE9ELNS1_3repE0EEENS1_30default_config_static_selectorELNS0_4arch9wavefront6targetE0EEEvT1_.uses_vcc, 0
	.set _ZN7rocprim17ROCPRIM_400000_NS6detail17trampoline_kernelINS0_14default_configENS1_25partition_config_selectorILNS1_17partition_subalgoE9EiibEEZZNS1_14partition_implILS5_9ELb0ES3_jPKiN6thrust23THRUST_200600_302600_NS17counting_iteratorIiNSB_11use_defaultESD_SD_EEPNS0_10empty_typeENS0_5tupleIJPiSF_EEENSH_IJSI_SG_EEENS0_18inequality_wrapperIN6hipcub16HIPCUB_304000_NS8EqualityEEEPlJSF_EEE10hipError_tPvRmT3_T4_T5_T6_T7_T9_mT8_P12ihipStream_tbDpT10_ENKUlT_T0_E_clISt17integral_constantIbLb1EES1A_EEDaS15_S16_EUlS15_E_NS1_11comp_targetILNS1_3genE5ELNS1_11target_archE942ELNS1_3gpuE9ELNS1_3repE0EEENS1_30default_config_static_selectorELNS0_4arch9wavefront6targetE0EEEvT1_.uses_flat_scratch, 0
	.set _ZN7rocprim17ROCPRIM_400000_NS6detail17trampoline_kernelINS0_14default_configENS1_25partition_config_selectorILNS1_17partition_subalgoE9EiibEEZZNS1_14partition_implILS5_9ELb0ES3_jPKiN6thrust23THRUST_200600_302600_NS17counting_iteratorIiNSB_11use_defaultESD_SD_EEPNS0_10empty_typeENS0_5tupleIJPiSF_EEENSH_IJSI_SG_EEENS0_18inequality_wrapperIN6hipcub16HIPCUB_304000_NS8EqualityEEEPlJSF_EEE10hipError_tPvRmT3_T4_T5_T6_T7_T9_mT8_P12ihipStream_tbDpT10_ENKUlT_T0_E_clISt17integral_constantIbLb1EES1A_EEDaS15_S16_EUlS15_E_NS1_11comp_targetILNS1_3genE5ELNS1_11target_archE942ELNS1_3gpuE9ELNS1_3repE0EEENS1_30default_config_static_selectorELNS0_4arch9wavefront6targetE0EEEvT1_.has_dyn_sized_stack, 0
	.set _ZN7rocprim17ROCPRIM_400000_NS6detail17trampoline_kernelINS0_14default_configENS1_25partition_config_selectorILNS1_17partition_subalgoE9EiibEEZZNS1_14partition_implILS5_9ELb0ES3_jPKiN6thrust23THRUST_200600_302600_NS17counting_iteratorIiNSB_11use_defaultESD_SD_EEPNS0_10empty_typeENS0_5tupleIJPiSF_EEENSH_IJSI_SG_EEENS0_18inequality_wrapperIN6hipcub16HIPCUB_304000_NS8EqualityEEEPlJSF_EEE10hipError_tPvRmT3_T4_T5_T6_T7_T9_mT8_P12ihipStream_tbDpT10_ENKUlT_T0_E_clISt17integral_constantIbLb1EES1A_EEDaS15_S16_EUlS15_E_NS1_11comp_targetILNS1_3genE5ELNS1_11target_archE942ELNS1_3gpuE9ELNS1_3repE0EEENS1_30default_config_static_selectorELNS0_4arch9wavefront6targetE0EEEvT1_.has_recursion, 0
	.set _ZN7rocprim17ROCPRIM_400000_NS6detail17trampoline_kernelINS0_14default_configENS1_25partition_config_selectorILNS1_17partition_subalgoE9EiibEEZZNS1_14partition_implILS5_9ELb0ES3_jPKiN6thrust23THRUST_200600_302600_NS17counting_iteratorIiNSB_11use_defaultESD_SD_EEPNS0_10empty_typeENS0_5tupleIJPiSF_EEENSH_IJSI_SG_EEENS0_18inequality_wrapperIN6hipcub16HIPCUB_304000_NS8EqualityEEEPlJSF_EEE10hipError_tPvRmT3_T4_T5_T6_T7_T9_mT8_P12ihipStream_tbDpT10_ENKUlT_T0_E_clISt17integral_constantIbLb1EES1A_EEDaS15_S16_EUlS15_E_NS1_11comp_targetILNS1_3genE5ELNS1_11target_archE942ELNS1_3gpuE9ELNS1_3repE0EEENS1_30default_config_static_selectorELNS0_4arch9wavefront6targetE0EEEvT1_.has_indirect_call, 0
	.section	.AMDGPU.csdata,"",@progbits
; Kernel info:
; codeLenInByte = 0
; TotalNumSgprs: 0
; NumVgprs: 0
; ScratchSize: 0
; MemoryBound: 0
; FloatMode: 240
; IeeeMode: 1
; LDSByteSize: 0 bytes/workgroup (compile time only)
; SGPRBlocks: 0
; VGPRBlocks: 0
; NumSGPRsForWavesPerEU: 1
; NumVGPRsForWavesPerEU: 1
; Occupancy: 16
; WaveLimiterHint : 0
; COMPUTE_PGM_RSRC2:SCRATCH_EN: 0
; COMPUTE_PGM_RSRC2:USER_SGPR: 2
; COMPUTE_PGM_RSRC2:TRAP_HANDLER: 0
; COMPUTE_PGM_RSRC2:TGID_X_EN: 1
; COMPUTE_PGM_RSRC2:TGID_Y_EN: 0
; COMPUTE_PGM_RSRC2:TGID_Z_EN: 0
; COMPUTE_PGM_RSRC2:TIDIG_COMP_CNT: 0
	.section	.text._ZN7rocprim17ROCPRIM_400000_NS6detail17trampoline_kernelINS0_14default_configENS1_25partition_config_selectorILNS1_17partition_subalgoE9EiibEEZZNS1_14partition_implILS5_9ELb0ES3_jPKiN6thrust23THRUST_200600_302600_NS17counting_iteratorIiNSB_11use_defaultESD_SD_EEPNS0_10empty_typeENS0_5tupleIJPiSF_EEENSH_IJSI_SG_EEENS0_18inequality_wrapperIN6hipcub16HIPCUB_304000_NS8EqualityEEEPlJSF_EEE10hipError_tPvRmT3_T4_T5_T6_T7_T9_mT8_P12ihipStream_tbDpT10_ENKUlT_T0_E_clISt17integral_constantIbLb1EES1A_EEDaS15_S16_EUlS15_E_NS1_11comp_targetILNS1_3genE4ELNS1_11target_archE910ELNS1_3gpuE8ELNS1_3repE0EEENS1_30default_config_static_selectorELNS0_4arch9wavefront6targetE0EEEvT1_,"axG",@progbits,_ZN7rocprim17ROCPRIM_400000_NS6detail17trampoline_kernelINS0_14default_configENS1_25partition_config_selectorILNS1_17partition_subalgoE9EiibEEZZNS1_14partition_implILS5_9ELb0ES3_jPKiN6thrust23THRUST_200600_302600_NS17counting_iteratorIiNSB_11use_defaultESD_SD_EEPNS0_10empty_typeENS0_5tupleIJPiSF_EEENSH_IJSI_SG_EEENS0_18inequality_wrapperIN6hipcub16HIPCUB_304000_NS8EqualityEEEPlJSF_EEE10hipError_tPvRmT3_T4_T5_T6_T7_T9_mT8_P12ihipStream_tbDpT10_ENKUlT_T0_E_clISt17integral_constantIbLb1EES1A_EEDaS15_S16_EUlS15_E_NS1_11comp_targetILNS1_3genE4ELNS1_11target_archE910ELNS1_3gpuE8ELNS1_3repE0EEENS1_30default_config_static_selectorELNS0_4arch9wavefront6targetE0EEEvT1_,comdat
	.protected	_ZN7rocprim17ROCPRIM_400000_NS6detail17trampoline_kernelINS0_14default_configENS1_25partition_config_selectorILNS1_17partition_subalgoE9EiibEEZZNS1_14partition_implILS5_9ELb0ES3_jPKiN6thrust23THRUST_200600_302600_NS17counting_iteratorIiNSB_11use_defaultESD_SD_EEPNS0_10empty_typeENS0_5tupleIJPiSF_EEENSH_IJSI_SG_EEENS0_18inequality_wrapperIN6hipcub16HIPCUB_304000_NS8EqualityEEEPlJSF_EEE10hipError_tPvRmT3_T4_T5_T6_T7_T9_mT8_P12ihipStream_tbDpT10_ENKUlT_T0_E_clISt17integral_constantIbLb1EES1A_EEDaS15_S16_EUlS15_E_NS1_11comp_targetILNS1_3genE4ELNS1_11target_archE910ELNS1_3gpuE8ELNS1_3repE0EEENS1_30default_config_static_selectorELNS0_4arch9wavefront6targetE0EEEvT1_ ; -- Begin function _ZN7rocprim17ROCPRIM_400000_NS6detail17trampoline_kernelINS0_14default_configENS1_25partition_config_selectorILNS1_17partition_subalgoE9EiibEEZZNS1_14partition_implILS5_9ELb0ES3_jPKiN6thrust23THRUST_200600_302600_NS17counting_iteratorIiNSB_11use_defaultESD_SD_EEPNS0_10empty_typeENS0_5tupleIJPiSF_EEENSH_IJSI_SG_EEENS0_18inequality_wrapperIN6hipcub16HIPCUB_304000_NS8EqualityEEEPlJSF_EEE10hipError_tPvRmT3_T4_T5_T6_T7_T9_mT8_P12ihipStream_tbDpT10_ENKUlT_T0_E_clISt17integral_constantIbLb1EES1A_EEDaS15_S16_EUlS15_E_NS1_11comp_targetILNS1_3genE4ELNS1_11target_archE910ELNS1_3gpuE8ELNS1_3repE0EEENS1_30default_config_static_selectorELNS0_4arch9wavefront6targetE0EEEvT1_
	.globl	_ZN7rocprim17ROCPRIM_400000_NS6detail17trampoline_kernelINS0_14default_configENS1_25partition_config_selectorILNS1_17partition_subalgoE9EiibEEZZNS1_14partition_implILS5_9ELb0ES3_jPKiN6thrust23THRUST_200600_302600_NS17counting_iteratorIiNSB_11use_defaultESD_SD_EEPNS0_10empty_typeENS0_5tupleIJPiSF_EEENSH_IJSI_SG_EEENS0_18inequality_wrapperIN6hipcub16HIPCUB_304000_NS8EqualityEEEPlJSF_EEE10hipError_tPvRmT3_T4_T5_T6_T7_T9_mT8_P12ihipStream_tbDpT10_ENKUlT_T0_E_clISt17integral_constantIbLb1EES1A_EEDaS15_S16_EUlS15_E_NS1_11comp_targetILNS1_3genE4ELNS1_11target_archE910ELNS1_3gpuE8ELNS1_3repE0EEENS1_30default_config_static_selectorELNS0_4arch9wavefront6targetE0EEEvT1_
	.p2align	8
	.type	_ZN7rocprim17ROCPRIM_400000_NS6detail17trampoline_kernelINS0_14default_configENS1_25partition_config_selectorILNS1_17partition_subalgoE9EiibEEZZNS1_14partition_implILS5_9ELb0ES3_jPKiN6thrust23THRUST_200600_302600_NS17counting_iteratorIiNSB_11use_defaultESD_SD_EEPNS0_10empty_typeENS0_5tupleIJPiSF_EEENSH_IJSI_SG_EEENS0_18inequality_wrapperIN6hipcub16HIPCUB_304000_NS8EqualityEEEPlJSF_EEE10hipError_tPvRmT3_T4_T5_T6_T7_T9_mT8_P12ihipStream_tbDpT10_ENKUlT_T0_E_clISt17integral_constantIbLb1EES1A_EEDaS15_S16_EUlS15_E_NS1_11comp_targetILNS1_3genE4ELNS1_11target_archE910ELNS1_3gpuE8ELNS1_3repE0EEENS1_30default_config_static_selectorELNS0_4arch9wavefront6targetE0EEEvT1_,@function
_ZN7rocprim17ROCPRIM_400000_NS6detail17trampoline_kernelINS0_14default_configENS1_25partition_config_selectorILNS1_17partition_subalgoE9EiibEEZZNS1_14partition_implILS5_9ELb0ES3_jPKiN6thrust23THRUST_200600_302600_NS17counting_iteratorIiNSB_11use_defaultESD_SD_EEPNS0_10empty_typeENS0_5tupleIJPiSF_EEENSH_IJSI_SG_EEENS0_18inequality_wrapperIN6hipcub16HIPCUB_304000_NS8EqualityEEEPlJSF_EEE10hipError_tPvRmT3_T4_T5_T6_T7_T9_mT8_P12ihipStream_tbDpT10_ENKUlT_T0_E_clISt17integral_constantIbLb1EES1A_EEDaS15_S16_EUlS15_E_NS1_11comp_targetILNS1_3genE4ELNS1_11target_archE910ELNS1_3gpuE8ELNS1_3repE0EEENS1_30default_config_static_selectorELNS0_4arch9wavefront6targetE0EEEvT1_: ; @_ZN7rocprim17ROCPRIM_400000_NS6detail17trampoline_kernelINS0_14default_configENS1_25partition_config_selectorILNS1_17partition_subalgoE9EiibEEZZNS1_14partition_implILS5_9ELb0ES3_jPKiN6thrust23THRUST_200600_302600_NS17counting_iteratorIiNSB_11use_defaultESD_SD_EEPNS0_10empty_typeENS0_5tupleIJPiSF_EEENSH_IJSI_SG_EEENS0_18inequality_wrapperIN6hipcub16HIPCUB_304000_NS8EqualityEEEPlJSF_EEE10hipError_tPvRmT3_T4_T5_T6_T7_T9_mT8_P12ihipStream_tbDpT10_ENKUlT_T0_E_clISt17integral_constantIbLb1EES1A_EEDaS15_S16_EUlS15_E_NS1_11comp_targetILNS1_3genE4ELNS1_11target_archE910ELNS1_3gpuE8ELNS1_3repE0EEENS1_30default_config_static_selectorELNS0_4arch9wavefront6targetE0EEEvT1_
; %bb.0:
	.section	.rodata,"a",@progbits
	.p2align	6, 0x0
	.amdhsa_kernel _ZN7rocprim17ROCPRIM_400000_NS6detail17trampoline_kernelINS0_14default_configENS1_25partition_config_selectorILNS1_17partition_subalgoE9EiibEEZZNS1_14partition_implILS5_9ELb0ES3_jPKiN6thrust23THRUST_200600_302600_NS17counting_iteratorIiNSB_11use_defaultESD_SD_EEPNS0_10empty_typeENS0_5tupleIJPiSF_EEENSH_IJSI_SG_EEENS0_18inequality_wrapperIN6hipcub16HIPCUB_304000_NS8EqualityEEEPlJSF_EEE10hipError_tPvRmT3_T4_T5_T6_T7_T9_mT8_P12ihipStream_tbDpT10_ENKUlT_T0_E_clISt17integral_constantIbLb1EES1A_EEDaS15_S16_EUlS15_E_NS1_11comp_targetILNS1_3genE4ELNS1_11target_archE910ELNS1_3gpuE8ELNS1_3repE0EEENS1_30default_config_static_selectorELNS0_4arch9wavefront6targetE0EEEvT1_
		.amdhsa_group_segment_fixed_size 0
		.amdhsa_private_segment_fixed_size 0
		.amdhsa_kernarg_size 128
		.amdhsa_user_sgpr_count 2
		.amdhsa_user_sgpr_dispatch_ptr 0
		.amdhsa_user_sgpr_queue_ptr 0
		.amdhsa_user_sgpr_kernarg_segment_ptr 1
		.amdhsa_user_sgpr_dispatch_id 0
		.amdhsa_user_sgpr_private_segment_size 0
		.amdhsa_wavefront_size32 1
		.amdhsa_uses_dynamic_stack 0
		.amdhsa_enable_private_segment 0
		.amdhsa_system_sgpr_workgroup_id_x 1
		.amdhsa_system_sgpr_workgroup_id_y 0
		.amdhsa_system_sgpr_workgroup_id_z 0
		.amdhsa_system_sgpr_workgroup_info 0
		.amdhsa_system_vgpr_workitem_id 0
		.amdhsa_next_free_vgpr 1
		.amdhsa_next_free_sgpr 1
		.amdhsa_reserve_vcc 0
		.amdhsa_float_round_mode_32 0
		.amdhsa_float_round_mode_16_64 0
		.amdhsa_float_denorm_mode_32 3
		.amdhsa_float_denorm_mode_16_64 3
		.amdhsa_fp16_overflow 0
		.amdhsa_workgroup_processor_mode 1
		.amdhsa_memory_ordered 1
		.amdhsa_forward_progress 1
		.amdhsa_inst_pref_size 0
		.amdhsa_round_robin_scheduling 0
		.amdhsa_exception_fp_ieee_invalid_op 0
		.amdhsa_exception_fp_denorm_src 0
		.amdhsa_exception_fp_ieee_div_zero 0
		.amdhsa_exception_fp_ieee_overflow 0
		.amdhsa_exception_fp_ieee_underflow 0
		.amdhsa_exception_fp_ieee_inexact 0
		.amdhsa_exception_int_div_zero 0
	.end_amdhsa_kernel
	.section	.text._ZN7rocprim17ROCPRIM_400000_NS6detail17trampoline_kernelINS0_14default_configENS1_25partition_config_selectorILNS1_17partition_subalgoE9EiibEEZZNS1_14partition_implILS5_9ELb0ES3_jPKiN6thrust23THRUST_200600_302600_NS17counting_iteratorIiNSB_11use_defaultESD_SD_EEPNS0_10empty_typeENS0_5tupleIJPiSF_EEENSH_IJSI_SG_EEENS0_18inequality_wrapperIN6hipcub16HIPCUB_304000_NS8EqualityEEEPlJSF_EEE10hipError_tPvRmT3_T4_T5_T6_T7_T9_mT8_P12ihipStream_tbDpT10_ENKUlT_T0_E_clISt17integral_constantIbLb1EES1A_EEDaS15_S16_EUlS15_E_NS1_11comp_targetILNS1_3genE4ELNS1_11target_archE910ELNS1_3gpuE8ELNS1_3repE0EEENS1_30default_config_static_selectorELNS0_4arch9wavefront6targetE0EEEvT1_,"axG",@progbits,_ZN7rocprim17ROCPRIM_400000_NS6detail17trampoline_kernelINS0_14default_configENS1_25partition_config_selectorILNS1_17partition_subalgoE9EiibEEZZNS1_14partition_implILS5_9ELb0ES3_jPKiN6thrust23THRUST_200600_302600_NS17counting_iteratorIiNSB_11use_defaultESD_SD_EEPNS0_10empty_typeENS0_5tupleIJPiSF_EEENSH_IJSI_SG_EEENS0_18inequality_wrapperIN6hipcub16HIPCUB_304000_NS8EqualityEEEPlJSF_EEE10hipError_tPvRmT3_T4_T5_T6_T7_T9_mT8_P12ihipStream_tbDpT10_ENKUlT_T0_E_clISt17integral_constantIbLb1EES1A_EEDaS15_S16_EUlS15_E_NS1_11comp_targetILNS1_3genE4ELNS1_11target_archE910ELNS1_3gpuE8ELNS1_3repE0EEENS1_30default_config_static_selectorELNS0_4arch9wavefront6targetE0EEEvT1_,comdat
.Lfunc_end20:
	.size	_ZN7rocprim17ROCPRIM_400000_NS6detail17trampoline_kernelINS0_14default_configENS1_25partition_config_selectorILNS1_17partition_subalgoE9EiibEEZZNS1_14partition_implILS5_9ELb0ES3_jPKiN6thrust23THRUST_200600_302600_NS17counting_iteratorIiNSB_11use_defaultESD_SD_EEPNS0_10empty_typeENS0_5tupleIJPiSF_EEENSH_IJSI_SG_EEENS0_18inequality_wrapperIN6hipcub16HIPCUB_304000_NS8EqualityEEEPlJSF_EEE10hipError_tPvRmT3_T4_T5_T6_T7_T9_mT8_P12ihipStream_tbDpT10_ENKUlT_T0_E_clISt17integral_constantIbLb1EES1A_EEDaS15_S16_EUlS15_E_NS1_11comp_targetILNS1_3genE4ELNS1_11target_archE910ELNS1_3gpuE8ELNS1_3repE0EEENS1_30default_config_static_selectorELNS0_4arch9wavefront6targetE0EEEvT1_, .Lfunc_end20-_ZN7rocprim17ROCPRIM_400000_NS6detail17trampoline_kernelINS0_14default_configENS1_25partition_config_selectorILNS1_17partition_subalgoE9EiibEEZZNS1_14partition_implILS5_9ELb0ES3_jPKiN6thrust23THRUST_200600_302600_NS17counting_iteratorIiNSB_11use_defaultESD_SD_EEPNS0_10empty_typeENS0_5tupleIJPiSF_EEENSH_IJSI_SG_EEENS0_18inequality_wrapperIN6hipcub16HIPCUB_304000_NS8EqualityEEEPlJSF_EEE10hipError_tPvRmT3_T4_T5_T6_T7_T9_mT8_P12ihipStream_tbDpT10_ENKUlT_T0_E_clISt17integral_constantIbLb1EES1A_EEDaS15_S16_EUlS15_E_NS1_11comp_targetILNS1_3genE4ELNS1_11target_archE910ELNS1_3gpuE8ELNS1_3repE0EEENS1_30default_config_static_selectorELNS0_4arch9wavefront6targetE0EEEvT1_
                                        ; -- End function
	.set _ZN7rocprim17ROCPRIM_400000_NS6detail17trampoline_kernelINS0_14default_configENS1_25partition_config_selectorILNS1_17partition_subalgoE9EiibEEZZNS1_14partition_implILS5_9ELb0ES3_jPKiN6thrust23THRUST_200600_302600_NS17counting_iteratorIiNSB_11use_defaultESD_SD_EEPNS0_10empty_typeENS0_5tupleIJPiSF_EEENSH_IJSI_SG_EEENS0_18inequality_wrapperIN6hipcub16HIPCUB_304000_NS8EqualityEEEPlJSF_EEE10hipError_tPvRmT3_T4_T5_T6_T7_T9_mT8_P12ihipStream_tbDpT10_ENKUlT_T0_E_clISt17integral_constantIbLb1EES1A_EEDaS15_S16_EUlS15_E_NS1_11comp_targetILNS1_3genE4ELNS1_11target_archE910ELNS1_3gpuE8ELNS1_3repE0EEENS1_30default_config_static_selectorELNS0_4arch9wavefront6targetE0EEEvT1_.num_vgpr, 0
	.set _ZN7rocprim17ROCPRIM_400000_NS6detail17trampoline_kernelINS0_14default_configENS1_25partition_config_selectorILNS1_17partition_subalgoE9EiibEEZZNS1_14partition_implILS5_9ELb0ES3_jPKiN6thrust23THRUST_200600_302600_NS17counting_iteratorIiNSB_11use_defaultESD_SD_EEPNS0_10empty_typeENS0_5tupleIJPiSF_EEENSH_IJSI_SG_EEENS0_18inequality_wrapperIN6hipcub16HIPCUB_304000_NS8EqualityEEEPlJSF_EEE10hipError_tPvRmT3_T4_T5_T6_T7_T9_mT8_P12ihipStream_tbDpT10_ENKUlT_T0_E_clISt17integral_constantIbLb1EES1A_EEDaS15_S16_EUlS15_E_NS1_11comp_targetILNS1_3genE4ELNS1_11target_archE910ELNS1_3gpuE8ELNS1_3repE0EEENS1_30default_config_static_selectorELNS0_4arch9wavefront6targetE0EEEvT1_.num_agpr, 0
	.set _ZN7rocprim17ROCPRIM_400000_NS6detail17trampoline_kernelINS0_14default_configENS1_25partition_config_selectorILNS1_17partition_subalgoE9EiibEEZZNS1_14partition_implILS5_9ELb0ES3_jPKiN6thrust23THRUST_200600_302600_NS17counting_iteratorIiNSB_11use_defaultESD_SD_EEPNS0_10empty_typeENS0_5tupleIJPiSF_EEENSH_IJSI_SG_EEENS0_18inequality_wrapperIN6hipcub16HIPCUB_304000_NS8EqualityEEEPlJSF_EEE10hipError_tPvRmT3_T4_T5_T6_T7_T9_mT8_P12ihipStream_tbDpT10_ENKUlT_T0_E_clISt17integral_constantIbLb1EES1A_EEDaS15_S16_EUlS15_E_NS1_11comp_targetILNS1_3genE4ELNS1_11target_archE910ELNS1_3gpuE8ELNS1_3repE0EEENS1_30default_config_static_selectorELNS0_4arch9wavefront6targetE0EEEvT1_.numbered_sgpr, 0
	.set _ZN7rocprim17ROCPRIM_400000_NS6detail17trampoline_kernelINS0_14default_configENS1_25partition_config_selectorILNS1_17partition_subalgoE9EiibEEZZNS1_14partition_implILS5_9ELb0ES3_jPKiN6thrust23THRUST_200600_302600_NS17counting_iteratorIiNSB_11use_defaultESD_SD_EEPNS0_10empty_typeENS0_5tupleIJPiSF_EEENSH_IJSI_SG_EEENS0_18inequality_wrapperIN6hipcub16HIPCUB_304000_NS8EqualityEEEPlJSF_EEE10hipError_tPvRmT3_T4_T5_T6_T7_T9_mT8_P12ihipStream_tbDpT10_ENKUlT_T0_E_clISt17integral_constantIbLb1EES1A_EEDaS15_S16_EUlS15_E_NS1_11comp_targetILNS1_3genE4ELNS1_11target_archE910ELNS1_3gpuE8ELNS1_3repE0EEENS1_30default_config_static_selectorELNS0_4arch9wavefront6targetE0EEEvT1_.num_named_barrier, 0
	.set _ZN7rocprim17ROCPRIM_400000_NS6detail17trampoline_kernelINS0_14default_configENS1_25partition_config_selectorILNS1_17partition_subalgoE9EiibEEZZNS1_14partition_implILS5_9ELb0ES3_jPKiN6thrust23THRUST_200600_302600_NS17counting_iteratorIiNSB_11use_defaultESD_SD_EEPNS0_10empty_typeENS0_5tupleIJPiSF_EEENSH_IJSI_SG_EEENS0_18inequality_wrapperIN6hipcub16HIPCUB_304000_NS8EqualityEEEPlJSF_EEE10hipError_tPvRmT3_T4_T5_T6_T7_T9_mT8_P12ihipStream_tbDpT10_ENKUlT_T0_E_clISt17integral_constantIbLb1EES1A_EEDaS15_S16_EUlS15_E_NS1_11comp_targetILNS1_3genE4ELNS1_11target_archE910ELNS1_3gpuE8ELNS1_3repE0EEENS1_30default_config_static_selectorELNS0_4arch9wavefront6targetE0EEEvT1_.private_seg_size, 0
	.set _ZN7rocprim17ROCPRIM_400000_NS6detail17trampoline_kernelINS0_14default_configENS1_25partition_config_selectorILNS1_17partition_subalgoE9EiibEEZZNS1_14partition_implILS5_9ELb0ES3_jPKiN6thrust23THRUST_200600_302600_NS17counting_iteratorIiNSB_11use_defaultESD_SD_EEPNS0_10empty_typeENS0_5tupleIJPiSF_EEENSH_IJSI_SG_EEENS0_18inequality_wrapperIN6hipcub16HIPCUB_304000_NS8EqualityEEEPlJSF_EEE10hipError_tPvRmT3_T4_T5_T6_T7_T9_mT8_P12ihipStream_tbDpT10_ENKUlT_T0_E_clISt17integral_constantIbLb1EES1A_EEDaS15_S16_EUlS15_E_NS1_11comp_targetILNS1_3genE4ELNS1_11target_archE910ELNS1_3gpuE8ELNS1_3repE0EEENS1_30default_config_static_selectorELNS0_4arch9wavefront6targetE0EEEvT1_.uses_vcc, 0
	.set _ZN7rocprim17ROCPRIM_400000_NS6detail17trampoline_kernelINS0_14default_configENS1_25partition_config_selectorILNS1_17partition_subalgoE9EiibEEZZNS1_14partition_implILS5_9ELb0ES3_jPKiN6thrust23THRUST_200600_302600_NS17counting_iteratorIiNSB_11use_defaultESD_SD_EEPNS0_10empty_typeENS0_5tupleIJPiSF_EEENSH_IJSI_SG_EEENS0_18inequality_wrapperIN6hipcub16HIPCUB_304000_NS8EqualityEEEPlJSF_EEE10hipError_tPvRmT3_T4_T5_T6_T7_T9_mT8_P12ihipStream_tbDpT10_ENKUlT_T0_E_clISt17integral_constantIbLb1EES1A_EEDaS15_S16_EUlS15_E_NS1_11comp_targetILNS1_3genE4ELNS1_11target_archE910ELNS1_3gpuE8ELNS1_3repE0EEENS1_30default_config_static_selectorELNS0_4arch9wavefront6targetE0EEEvT1_.uses_flat_scratch, 0
	.set _ZN7rocprim17ROCPRIM_400000_NS6detail17trampoline_kernelINS0_14default_configENS1_25partition_config_selectorILNS1_17partition_subalgoE9EiibEEZZNS1_14partition_implILS5_9ELb0ES3_jPKiN6thrust23THRUST_200600_302600_NS17counting_iteratorIiNSB_11use_defaultESD_SD_EEPNS0_10empty_typeENS0_5tupleIJPiSF_EEENSH_IJSI_SG_EEENS0_18inequality_wrapperIN6hipcub16HIPCUB_304000_NS8EqualityEEEPlJSF_EEE10hipError_tPvRmT3_T4_T5_T6_T7_T9_mT8_P12ihipStream_tbDpT10_ENKUlT_T0_E_clISt17integral_constantIbLb1EES1A_EEDaS15_S16_EUlS15_E_NS1_11comp_targetILNS1_3genE4ELNS1_11target_archE910ELNS1_3gpuE8ELNS1_3repE0EEENS1_30default_config_static_selectorELNS0_4arch9wavefront6targetE0EEEvT1_.has_dyn_sized_stack, 0
	.set _ZN7rocprim17ROCPRIM_400000_NS6detail17trampoline_kernelINS0_14default_configENS1_25partition_config_selectorILNS1_17partition_subalgoE9EiibEEZZNS1_14partition_implILS5_9ELb0ES3_jPKiN6thrust23THRUST_200600_302600_NS17counting_iteratorIiNSB_11use_defaultESD_SD_EEPNS0_10empty_typeENS0_5tupleIJPiSF_EEENSH_IJSI_SG_EEENS0_18inequality_wrapperIN6hipcub16HIPCUB_304000_NS8EqualityEEEPlJSF_EEE10hipError_tPvRmT3_T4_T5_T6_T7_T9_mT8_P12ihipStream_tbDpT10_ENKUlT_T0_E_clISt17integral_constantIbLb1EES1A_EEDaS15_S16_EUlS15_E_NS1_11comp_targetILNS1_3genE4ELNS1_11target_archE910ELNS1_3gpuE8ELNS1_3repE0EEENS1_30default_config_static_selectorELNS0_4arch9wavefront6targetE0EEEvT1_.has_recursion, 0
	.set _ZN7rocprim17ROCPRIM_400000_NS6detail17trampoline_kernelINS0_14default_configENS1_25partition_config_selectorILNS1_17partition_subalgoE9EiibEEZZNS1_14partition_implILS5_9ELb0ES3_jPKiN6thrust23THRUST_200600_302600_NS17counting_iteratorIiNSB_11use_defaultESD_SD_EEPNS0_10empty_typeENS0_5tupleIJPiSF_EEENSH_IJSI_SG_EEENS0_18inequality_wrapperIN6hipcub16HIPCUB_304000_NS8EqualityEEEPlJSF_EEE10hipError_tPvRmT3_T4_T5_T6_T7_T9_mT8_P12ihipStream_tbDpT10_ENKUlT_T0_E_clISt17integral_constantIbLb1EES1A_EEDaS15_S16_EUlS15_E_NS1_11comp_targetILNS1_3genE4ELNS1_11target_archE910ELNS1_3gpuE8ELNS1_3repE0EEENS1_30default_config_static_selectorELNS0_4arch9wavefront6targetE0EEEvT1_.has_indirect_call, 0
	.section	.AMDGPU.csdata,"",@progbits
; Kernel info:
; codeLenInByte = 0
; TotalNumSgprs: 0
; NumVgprs: 0
; ScratchSize: 0
; MemoryBound: 0
; FloatMode: 240
; IeeeMode: 1
; LDSByteSize: 0 bytes/workgroup (compile time only)
; SGPRBlocks: 0
; VGPRBlocks: 0
; NumSGPRsForWavesPerEU: 1
; NumVGPRsForWavesPerEU: 1
; Occupancy: 16
; WaveLimiterHint : 0
; COMPUTE_PGM_RSRC2:SCRATCH_EN: 0
; COMPUTE_PGM_RSRC2:USER_SGPR: 2
; COMPUTE_PGM_RSRC2:TRAP_HANDLER: 0
; COMPUTE_PGM_RSRC2:TGID_X_EN: 1
; COMPUTE_PGM_RSRC2:TGID_Y_EN: 0
; COMPUTE_PGM_RSRC2:TGID_Z_EN: 0
; COMPUTE_PGM_RSRC2:TIDIG_COMP_CNT: 0
	.section	.text._ZN7rocprim17ROCPRIM_400000_NS6detail17trampoline_kernelINS0_14default_configENS1_25partition_config_selectorILNS1_17partition_subalgoE9EiibEEZZNS1_14partition_implILS5_9ELb0ES3_jPKiN6thrust23THRUST_200600_302600_NS17counting_iteratorIiNSB_11use_defaultESD_SD_EEPNS0_10empty_typeENS0_5tupleIJPiSF_EEENSH_IJSI_SG_EEENS0_18inequality_wrapperIN6hipcub16HIPCUB_304000_NS8EqualityEEEPlJSF_EEE10hipError_tPvRmT3_T4_T5_T6_T7_T9_mT8_P12ihipStream_tbDpT10_ENKUlT_T0_E_clISt17integral_constantIbLb1EES1A_EEDaS15_S16_EUlS15_E_NS1_11comp_targetILNS1_3genE3ELNS1_11target_archE908ELNS1_3gpuE7ELNS1_3repE0EEENS1_30default_config_static_selectorELNS0_4arch9wavefront6targetE0EEEvT1_,"axG",@progbits,_ZN7rocprim17ROCPRIM_400000_NS6detail17trampoline_kernelINS0_14default_configENS1_25partition_config_selectorILNS1_17partition_subalgoE9EiibEEZZNS1_14partition_implILS5_9ELb0ES3_jPKiN6thrust23THRUST_200600_302600_NS17counting_iteratorIiNSB_11use_defaultESD_SD_EEPNS0_10empty_typeENS0_5tupleIJPiSF_EEENSH_IJSI_SG_EEENS0_18inequality_wrapperIN6hipcub16HIPCUB_304000_NS8EqualityEEEPlJSF_EEE10hipError_tPvRmT3_T4_T5_T6_T7_T9_mT8_P12ihipStream_tbDpT10_ENKUlT_T0_E_clISt17integral_constantIbLb1EES1A_EEDaS15_S16_EUlS15_E_NS1_11comp_targetILNS1_3genE3ELNS1_11target_archE908ELNS1_3gpuE7ELNS1_3repE0EEENS1_30default_config_static_selectorELNS0_4arch9wavefront6targetE0EEEvT1_,comdat
	.protected	_ZN7rocprim17ROCPRIM_400000_NS6detail17trampoline_kernelINS0_14default_configENS1_25partition_config_selectorILNS1_17partition_subalgoE9EiibEEZZNS1_14partition_implILS5_9ELb0ES3_jPKiN6thrust23THRUST_200600_302600_NS17counting_iteratorIiNSB_11use_defaultESD_SD_EEPNS0_10empty_typeENS0_5tupleIJPiSF_EEENSH_IJSI_SG_EEENS0_18inequality_wrapperIN6hipcub16HIPCUB_304000_NS8EqualityEEEPlJSF_EEE10hipError_tPvRmT3_T4_T5_T6_T7_T9_mT8_P12ihipStream_tbDpT10_ENKUlT_T0_E_clISt17integral_constantIbLb1EES1A_EEDaS15_S16_EUlS15_E_NS1_11comp_targetILNS1_3genE3ELNS1_11target_archE908ELNS1_3gpuE7ELNS1_3repE0EEENS1_30default_config_static_selectorELNS0_4arch9wavefront6targetE0EEEvT1_ ; -- Begin function _ZN7rocprim17ROCPRIM_400000_NS6detail17trampoline_kernelINS0_14default_configENS1_25partition_config_selectorILNS1_17partition_subalgoE9EiibEEZZNS1_14partition_implILS5_9ELb0ES3_jPKiN6thrust23THRUST_200600_302600_NS17counting_iteratorIiNSB_11use_defaultESD_SD_EEPNS0_10empty_typeENS0_5tupleIJPiSF_EEENSH_IJSI_SG_EEENS0_18inequality_wrapperIN6hipcub16HIPCUB_304000_NS8EqualityEEEPlJSF_EEE10hipError_tPvRmT3_T4_T5_T6_T7_T9_mT8_P12ihipStream_tbDpT10_ENKUlT_T0_E_clISt17integral_constantIbLb1EES1A_EEDaS15_S16_EUlS15_E_NS1_11comp_targetILNS1_3genE3ELNS1_11target_archE908ELNS1_3gpuE7ELNS1_3repE0EEENS1_30default_config_static_selectorELNS0_4arch9wavefront6targetE0EEEvT1_
	.globl	_ZN7rocprim17ROCPRIM_400000_NS6detail17trampoline_kernelINS0_14default_configENS1_25partition_config_selectorILNS1_17partition_subalgoE9EiibEEZZNS1_14partition_implILS5_9ELb0ES3_jPKiN6thrust23THRUST_200600_302600_NS17counting_iteratorIiNSB_11use_defaultESD_SD_EEPNS0_10empty_typeENS0_5tupleIJPiSF_EEENSH_IJSI_SG_EEENS0_18inequality_wrapperIN6hipcub16HIPCUB_304000_NS8EqualityEEEPlJSF_EEE10hipError_tPvRmT3_T4_T5_T6_T7_T9_mT8_P12ihipStream_tbDpT10_ENKUlT_T0_E_clISt17integral_constantIbLb1EES1A_EEDaS15_S16_EUlS15_E_NS1_11comp_targetILNS1_3genE3ELNS1_11target_archE908ELNS1_3gpuE7ELNS1_3repE0EEENS1_30default_config_static_selectorELNS0_4arch9wavefront6targetE0EEEvT1_
	.p2align	8
	.type	_ZN7rocprim17ROCPRIM_400000_NS6detail17trampoline_kernelINS0_14default_configENS1_25partition_config_selectorILNS1_17partition_subalgoE9EiibEEZZNS1_14partition_implILS5_9ELb0ES3_jPKiN6thrust23THRUST_200600_302600_NS17counting_iteratorIiNSB_11use_defaultESD_SD_EEPNS0_10empty_typeENS0_5tupleIJPiSF_EEENSH_IJSI_SG_EEENS0_18inequality_wrapperIN6hipcub16HIPCUB_304000_NS8EqualityEEEPlJSF_EEE10hipError_tPvRmT3_T4_T5_T6_T7_T9_mT8_P12ihipStream_tbDpT10_ENKUlT_T0_E_clISt17integral_constantIbLb1EES1A_EEDaS15_S16_EUlS15_E_NS1_11comp_targetILNS1_3genE3ELNS1_11target_archE908ELNS1_3gpuE7ELNS1_3repE0EEENS1_30default_config_static_selectorELNS0_4arch9wavefront6targetE0EEEvT1_,@function
_ZN7rocprim17ROCPRIM_400000_NS6detail17trampoline_kernelINS0_14default_configENS1_25partition_config_selectorILNS1_17partition_subalgoE9EiibEEZZNS1_14partition_implILS5_9ELb0ES3_jPKiN6thrust23THRUST_200600_302600_NS17counting_iteratorIiNSB_11use_defaultESD_SD_EEPNS0_10empty_typeENS0_5tupleIJPiSF_EEENSH_IJSI_SG_EEENS0_18inequality_wrapperIN6hipcub16HIPCUB_304000_NS8EqualityEEEPlJSF_EEE10hipError_tPvRmT3_T4_T5_T6_T7_T9_mT8_P12ihipStream_tbDpT10_ENKUlT_T0_E_clISt17integral_constantIbLb1EES1A_EEDaS15_S16_EUlS15_E_NS1_11comp_targetILNS1_3genE3ELNS1_11target_archE908ELNS1_3gpuE7ELNS1_3repE0EEENS1_30default_config_static_selectorELNS0_4arch9wavefront6targetE0EEEvT1_: ; @_ZN7rocprim17ROCPRIM_400000_NS6detail17trampoline_kernelINS0_14default_configENS1_25partition_config_selectorILNS1_17partition_subalgoE9EiibEEZZNS1_14partition_implILS5_9ELb0ES3_jPKiN6thrust23THRUST_200600_302600_NS17counting_iteratorIiNSB_11use_defaultESD_SD_EEPNS0_10empty_typeENS0_5tupleIJPiSF_EEENSH_IJSI_SG_EEENS0_18inequality_wrapperIN6hipcub16HIPCUB_304000_NS8EqualityEEEPlJSF_EEE10hipError_tPvRmT3_T4_T5_T6_T7_T9_mT8_P12ihipStream_tbDpT10_ENKUlT_T0_E_clISt17integral_constantIbLb1EES1A_EEDaS15_S16_EUlS15_E_NS1_11comp_targetILNS1_3genE3ELNS1_11target_archE908ELNS1_3gpuE7ELNS1_3repE0EEENS1_30default_config_static_selectorELNS0_4arch9wavefront6targetE0EEEvT1_
; %bb.0:
	.section	.rodata,"a",@progbits
	.p2align	6, 0x0
	.amdhsa_kernel _ZN7rocprim17ROCPRIM_400000_NS6detail17trampoline_kernelINS0_14default_configENS1_25partition_config_selectorILNS1_17partition_subalgoE9EiibEEZZNS1_14partition_implILS5_9ELb0ES3_jPKiN6thrust23THRUST_200600_302600_NS17counting_iteratorIiNSB_11use_defaultESD_SD_EEPNS0_10empty_typeENS0_5tupleIJPiSF_EEENSH_IJSI_SG_EEENS0_18inequality_wrapperIN6hipcub16HIPCUB_304000_NS8EqualityEEEPlJSF_EEE10hipError_tPvRmT3_T4_T5_T6_T7_T9_mT8_P12ihipStream_tbDpT10_ENKUlT_T0_E_clISt17integral_constantIbLb1EES1A_EEDaS15_S16_EUlS15_E_NS1_11comp_targetILNS1_3genE3ELNS1_11target_archE908ELNS1_3gpuE7ELNS1_3repE0EEENS1_30default_config_static_selectorELNS0_4arch9wavefront6targetE0EEEvT1_
		.amdhsa_group_segment_fixed_size 0
		.amdhsa_private_segment_fixed_size 0
		.amdhsa_kernarg_size 128
		.amdhsa_user_sgpr_count 2
		.amdhsa_user_sgpr_dispatch_ptr 0
		.amdhsa_user_sgpr_queue_ptr 0
		.amdhsa_user_sgpr_kernarg_segment_ptr 1
		.amdhsa_user_sgpr_dispatch_id 0
		.amdhsa_user_sgpr_private_segment_size 0
		.amdhsa_wavefront_size32 1
		.amdhsa_uses_dynamic_stack 0
		.amdhsa_enable_private_segment 0
		.amdhsa_system_sgpr_workgroup_id_x 1
		.amdhsa_system_sgpr_workgroup_id_y 0
		.amdhsa_system_sgpr_workgroup_id_z 0
		.amdhsa_system_sgpr_workgroup_info 0
		.amdhsa_system_vgpr_workitem_id 0
		.amdhsa_next_free_vgpr 1
		.amdhsa_next_free_sgpr 1
		.amdhsa_reserve_vcc 0
		.amdhsa_float_round_mode_32 0
		.amdhsa_float_round_mode_16_64 0
		.amdhsa_float_denorm_mode_32 3
		.amdhsa_float_denorm_mode_16_64 3
		.amdhsa_fp16_overflow 0
		.amdhsa_workgroup_processor_mode 1
		.amdhsa_memory_ordered 1
		.amdhsa_forward_progress 1
		.amdhsa_inst_pref_size 0
		.amdhsa_round_robin_scheduling 0
		.amdhsa_exception_fp_ieee_invalid_op 0
		.amdhsa_exception_fp_denorm_src 0
		.amdhsa_exception_fp_ieee_div_zero 0
		.amdhsa_exception_fp_ieee_overflow 0
		.amdhsa_exception_fp_ieee_underflow 0
		.amdhsa_exception_fp_ieee_inexact 0
		.amdhsa_exception_int_div_zero 0
	.end_amdhsa_kernel
	.section	.text._ZN7rocprim17ROCPRIM_400000_NS6detail17trampoline_kernelINS0_14default_configENS1_25partition_config_selectorILNS1_17partition_subalgoE9EiibEEZZNS1_14partition_implILS5_9ELb0ES3_jPKiN6thrust23THRUST_200600_302600_NS17counting_iteratorIiNSB_11use_defaultESD_SD_EEPNS0_10empty_typeENS0_5tupleIJPiSF_EEENSH_IJSI_SG_EEENS0_18inequality_wrapperIN6hipcub16HIPCUB_304000_NS8EqualityEEEPlJSF_EEE10hipError_tPvRmT3_T4_T5_T6_T7_T9_mT8_P12ihipStream_tbDpT10_ENKUlT_T0_E_clISt17integral_constantIbLb1EES1A_EEDaS15_S16_EUlS15_E_NS1_11comp_targetILNS1_3genE3ELNS1_11target_archE908ELNS1_3gpuE7ELNS1_3repE0EEENS1_30default_config_static_selectorELNS0_4arch9wavefront6targetE0EEEvT1_,"axG",@progbits,_ZN7rocprim17ROCPRIM_400000_NS6detail17trampoline_kernelINS0_14default_configENS1_25partition_config_selectorILNS1_17partition_subalgoE9EiibEEZZNS1_14partition_implILS5_9ELb0ES3_jPKiN6thrust23THRUST_200600_302600_NS17counting_iteratorIiNSB_11use_defaultESD_SD_EEPNS0_10empty_typeENS0_5tupleIJPiSF_EEENSH_IJSI_SG_EEENS0_18inequality_wrapperIN6hipcub16HIPCUB_304000_NS8EqualityEEEPlJSF_EEE10hipError_tPvRmT3_T4_T5_T6_T7_T9_mT8_P12ihipStream_tbDpT10_ENKUlT_T0_E_clISt17integral_constantIbLb1EES1A_EEDaS15_S16_EUlS15_E_NS1_11comp_targetILNS1_3genE3ELNS1_11target_archE908ELNS1_3gpuE7ELNS1_3repE0EEENS1_30default_config_static_selectorELNS0_4arch9wavefront6targetE0EEEvT1_,comdat
.Lfunc_end21:
	.size	_ZN7rocprim17ROCPRIM_400000_NS6detail17trampoline_kernelINS0_14default_configENS1_25partition_config_selectorILNS1_17partition_subalgoE9EiibEEZZNS1_14partition_implILS5_9ELb0ES3_jPKiN6thrust23THRUST_200600_302600_NS17counting_iteratorIiNSB_11use_defaultESD_SD_EEPNS0_10empty_typeENS0_5tupleIJPiSF_EEENSH_IJSI_SG_EEENS0_18inequality_wrapperIN6hipcub16HIPCUB_304000_NS8EqualityEEEPlJSF_EEE10hipError_tPvRmT3_T4_T5_T6_T7_T9_mT8_P12ihipStream_tbDpT10_ENKUlT_T0_E_clISt17integral_constantIbLb1EES1A_EEDaS15_S16_EUlS15_E_NS1_11comp_targetILNS1_3genE3ELNS1_11target_archE908ELNS1_3gpuE7ELNS1_3repE0EEENS1_30default_config_static_selectorELNS0_4arch9wavefront6targetE0EEEvT1_, .Lfunc_end21-_ZN7rocprim17ROCPRIM_400000_NS6detail17trampoline_kernelINS0_14default_configENS1_25partition_config_selectorILNS1_17partition_subalgoE9EiibEEZZNS1_14partition_implILS5_9ELb0ES3_jPKiN6thrust23THRUST_200600_302600_NS17counting_iteratorIiNSB_11use_defaultESD_SD_EEPNS0_10empty_typeENS0_5tupleIJPiSF_EEENSH_IJSI_SG_EEENS0_18inequality_wrapperIN6hipcub16HIPCUB_304000_NS8EqualityEEEPlJSF_EEE10hipError_tPvRmT3_T4_T5_T6_T7_T9_mT8_P12ihipStream_tbDpT10_ENKUlT_T0_E_clISt17integral_constantIbLb1EES1A_EEDaS15_S16_EUlS15_E_NS1_11comp_targetILNS1_3genE3ELNS1_11target_archE908ELNS1_3gpuE7ELNS1_3repE0EEENS1_30default_config_static_selectorELNS0_4arch9wavefront6targetE0EEEvT1_
                                        ; -- End function
	.set _ZN7rocprim17ROCPRIM_400000_NS6detail17trampoline_kernelINS0_14default_configENS1_25partition_config_selectorILNS1_17partition_subalgoE9EiibEEZZNS1_14partition_implILS5_9ELb0ES3_jPKiN6thrust23THRUST_200600_302600_NS17counting_iteratorIiNSB_11use_defaultESD_SD_EEPNS0_10empty_typeENS0_5tupleIJPiSF_EEENSH_IJSI_SG_EEENS0_18inequality_wrapperIN6hipcub16HIPCUB_304000_NS8EqualityEEEPlJSF_EEE10hipError_tPvRmT3_T4_T5_T6_T7_T9_mT8_P12ihipStream_tbDpT10_ENKUlT_T0_E_clISt17integral_constantIbLb1EES1A_EEDaS15_S16_EUlS15_E_NS1_11comp_targetILNS1_3genE3ELNS1_11target_archE908ELNS1_3gpuE7ELNS1_3repE0EEENS1_30default_config_static_selectorELNS0_4arch9wavefront6targetE0EEEvT1_.num_vgpr, 0
	.set _ZN7rocprim17ROCPRIM_400000_NS6detail17trampoline_kernelINS0_14default_configENS1_25partition_config_selectorILNS1_17partition_subalgoE9EiibEEZZNS1_14partition_implILS5_9ELb0ES3_jPKiN6thrust23THRUST_200600_302600_NS17counting_iteratorIiNSB_11use_defaultESD_SD_EEPNS0_10empty_typeENS0_5tupleIJPiSF_EEENSH_IJSI_SG_EEENS0_18inequality_wrapperIN6hipcub16HIPCUB_304000_NS8EqualityEEEPlJSF_EEE10hipError_tPvRmT3_T4_T5_T6_T7_T9_mT8_P12ihipStream_tbDpT10_ENKUlT_T0_E_clISt17integral_constantIbLb1EES1A_EEDaS15_S16_EUlS15_E_NS1_11comp_targetILNS1_3genE3ELNS1_11target_archE908ELNS1_3gpuE7ELNS1_3repE0EEENS1_30default_config_static_selectorELNS0_4arch9wavefront6targetE0EEEvT1_.num_agpr, 0
	.set _ZN7rocprim17ROCPRIM_400000_NS6detail17trampoline_kernelINS0_14default_configENS1_25partition_config_selectorILNS1_17partition_subalgoE9EiibEEZZNS1_14partition_implILS5_9ELb0ES3_jPKiN6thrust23THRUST_200600_302600_NS17counting_iteratorIiNSB_11use_defaultESD_SD_EEPNS0_10empty_typeENS0_5tupleIJPiSF_EEENSH_IJSI_SG_EEENS0_18inequality_wrapperIN6hipcub16HIPCUB_304000_NS8EqualityEEEPlJSF_EEE10hipError_tPvRmT3_T4_T5_T6_T7_T9_mT8_P12ihipStream_tbDpT10_ENKUlT_T0_E_clISt17integral_constantIbLb1EES1A_EEDaS15_S16_EUlS15_E_NS1_11comp_targetILNS1_3genE3ELNS1_11target_archE908ELNS1_3gpuE7ELNS1_3repE0EEENS1_30default_config_static_selectorELNS0_4arch9wavefront6targetE0EEEvT1_.numbered_sgpr, 0
	.set _ZN7rocprim17ROCPRIM_400000_NS6detail17trampoline_kernelINS0_14default_configENS1_25partition_config_selectorILNS1_17partition_subalgoE9EiibEEZZNS1_14partition_implILS5_9ELb0ES3_jPKiN6thrust23THRUST_200600_302600_NS17counting_iteratorIiNSB_11use_defaultESD_SD_EEPNS0_10empty_typeENS0_5tupleIJPiSF_EEENSH_IJSI_SG_EEENS0_18inequality_wrapperIN6hipcub16HIPCUB_304000_NS8EqualityEEEPlJSF_EEE10hipError_tPvRmT3_T4_T5_T6_T7_T9_mT8_P12ihipStream_tbDpT10_ENKUlT_T0_E_clISt17integral_constantIbLb1EES1A_EEDaS15_S16_EUlS15_E_NS1_11comp_targetILNS1_3genE3ELNS1_11target_archE908ELNS1_3gpuE7ELNS1_3repE0EEENS1_30default_config_static_selectorELNS0_4arch9wavefront6targetE0EEEvT1_.num_named_barrier, 0
	.set _ZN7rocprim17ROCPRIM_400000_NS6detail17trampoline_kernelINS0_14default_configENS1_25partition_config_selectorILNS1_17partition_subalgoE9EiibEEZZNS1_14partition_implILS5_9ELb0ES3_jPKiN6thrust23THRUST_200600_302600_NS17counting_iteratorIiNSB_11use_defaultESD_SD_EEPNS0_10empty_typeENS0_5tupleIJPiSF_EEENSH_IJSI_SG_EEENS0_18inequality_wrapperIN6hipcub16HIPCUB_304000_NS8EqualityEEEPlJSF_EEE10hipError_tPvRmT3_T4_T5_T6_T7_T9_mT8_P12ihipStream_tbDpT10_ENKUlT_T0_E_clISt17integral_constantIbLb1EES1A_EEDaS15_S16_EUlS15_E_NS1_11comp_targetILNS1_3genE3ELNS1_11target_archE908ELNS1_3gpuE7ELNS1_3repE0EEENS1_30default_config_static_selectorELNS0_4arch9wavefront6targetE0EEEvT1_.private_seg_size, 0
	.set _ZN7rocprim17ROCPRIM_400000_NS6detail17trampoline_kernelINS0_14default_configENS1_25partition_config_selectorILNS1_17partition_subalgoE9EiibEEZZNS1_14partition_implILS5_9ELb0ES3_jPKiN6thrust23THRUST_200600_302600_NS17counting_iteratorIiNSB_11use_defaultESD_SD_EEPNS0_10empty_typeENS0_5tupleIJPiSF_EEENSH_IJSI_SG_EEENS0_18inequality_wrapperIN6hipcub16HIPCUB_304000_NS8EqualityEEEPlJSF_EEE10hipError_tPvRmT3_T4_T5_T6_T7_T9_mT8_P12ihipStream_tbDpT10_ENKUlT_T0_E_clISt17integral_constantIbLb1EES1A_EEDaS15_S16_EUlS15_E_NS1_11comp_targetILNS1_3genE3ELNS1_11target_archE908ELNS1_3gpuE7ELNS1_3repE0EEENS1_30default_config_static_selectorELNS0_4arch9wavefront6targetE0EEEvT1_.uses_vcc, 0
	.set _ZN7rocprim17ROCPRIM_400000_NS6detail17trampoline_kernelINS0_14default_configENS1_25partition_config_selectorILNS1_17partition_subalgoE9EiibEEZZNS1_14partition_implILS5_9ELb0ES3_jPKiN6thrust23THRUST_200600_302600_NS17counting_iteratorIiNSB_11use_defaultESD_SD_EEPNS0_10empty_typeENS0_5tupleIJPiSF_EEENSH_IJSI_SG_EEENS0_18inequality_wrapperIN6hipcub16HIPCUB_304000_NS8EqualityEEEPlJSF_EEE10hipError_tPvRmT3_T4_T5_T6_T7_T9_mT8_P12ihipStream_tbDpT10_ENKUlT_T0_E_clISt17integral_constantIbLb1EES1A_EEDaS15_S16_EUlS15_E_NS1_11comp_targetILNS1_3genE3ELNS1_11target_archE908ELNS1_3gpuE7ELNS1_3repE0EEENS1_30default_config_static_selectorELNS0_4arch9wavefront6targetE0EEEvT1_.uses_flat_scratch, 0
	.set _ZN7rocprim17ROCPRIM_400000_NS6detail17trampoline_kernelINS0_14default_configENS1_25partition_config_selectorILNS1_17partition_subalgoE9EiibEEZZNS1_14partition_implILS5_9ELb0ES3_jPKiN6thrust23THRUST_200600_302600_NS17counting_iteratorIiNSB_11use_defaultESD_SD_EEPNS0_10empty_typeENS0_5tupleIJPiSF_EEENSH_IJSI_SG_EEENS0_18inequality_wrapperIN6hipcub16HIPCUB_304000_NS8EqualityEEEPlJSF_EEE10hipError_tPvRmT3_T4_T5_T6_T7_T9_mT8_P12ihipStream_tbDpT10_ENKUlT_T0_E_clISt17integral_constantIbLb1EES1A_EEDaS15_S16_EUlS15_E_NS1_11comp_targetILNS1_3genE3ELNS1_11target_archE908ELNS1_3gpuE7ELNS1_3repE0EEENS1_30default_config_static_selectorELNS0_4arch9wavefront6targetE0EEEvT1_.has_dyn_sized_stack, 0
	.set _ZN7rocprim17ROCPRIM_400000_NS6detail17trampoline_kernelINS0_14default_configENS1_25partition_config_selectorILNS1_17partition_subalgoE9EiibEEZZNS1_14partition_implILS5_9ELb0ES3_jPKiN6thrust23THRUST_200600_302600_NS17counting_iteratorIiNSB_11use_defaultESD_SD_EEPNS0_10empty_typeENS0_5tupleIJPiSF_EEENSH_IJSI_SG_EEENS0_18inequality_wrapperIN6hipcub16HIPCUB_304000_NS8EqualityEEEPlJSF_EEE10hipError_tPvRmT3_T4_T5_T6_T7_T9_mT8_P12ihipStream_tbDpT10_ENKUlT_T0_E_clISt17integral_constantIbLb1EES1A_EEDaS15_S16_EUlS15_E_NS1_11comp_targetILNS1_3genE3ELNS1_11target_archE908ELNS1_3gpuE7ELNS1_3repE0EEENS1_30default_config_static_selectorELNS0_4arch9wavefront6targetE0EEEvT1_.has_recursion, 0
	.set _ZN7rocprim17ROCPRIM_400000_NS6detail17trampoline_kernelINS0_14default_configENS1_25partition_config_selectorILNS1_17partition_subalgoE9EiibEEZZNS1_14partition_implILS5_9ELb0ES3_jPKiN6thrust23THRUST_200600_302600_NS17counting_iteratorIiNSB_11use_defaultESD_SD_EEPNS0_10empty_typeENS0_5tupleIJPiSF_EEENSH_IJSI_SG_EEENS0_18inequality_wrapperIN6hipcub16HIPCUB_304000_NS8EqualityEEEPlJSF_EEE10hipError_tPvRmT3_T4_T5_T6_T7_T9_mT8_P12ihipStream_tbDpT10_ENKUlT_T0_E_clISt17integral_constantIbLb1EES1A_EEDaS15_S16_EUlS15_E_NS1_11comp_targetILNS1_3genE3ELNS1_11target_archE908ELNS1_3gpuE7ELNS1_3repE0EEENS1_30default_config_static_selectorELNS0_4arch9wavefront6targetE0EEEvT1_.has_indirect_call, 0
	.section	.AMDGPU.csdata,"",@progbits
; Kernel info:
; codeLenInByte = 0
; TotalNumSgprs: 0
; NumVgprs: 0
; ScratchSize: 0
; MemoryBound: 0
; FloatMode: 240
; IeeeMode: 1
; LDSByteSize: 0 bytes/workgroup (compile time only)
; SGPRBlocks: 0
; VGPRBlocks: 0
; NumSGPRsForWavesPerEU: 1
; NumVGPRsForWavesPerEU: 1
; Occupancy: 16
; WaveLimiterHint : 0
; COMPUTE_PGM_RSRC2:SCRATCH_EN: 0
; COMPUTE_PGM_RSRC2:USER_SGPR: 2
; COMPUTE_PGM_RSRC2:TRAP_HANDLER: 0
; COMPUTE_PGM_RSRC2:TGID_X_EN: 1
; COMPUTE_PGM_RSRC2:TGID_Y_EN: 0
; COMPUTE_PGM_RSRC2:TGID_Z_EN: 0
; COMPUTE_PGM_RSRC2:TIDIG_COMP_CNT: 0
	.section	.text._ZN7rocprim17ROCPRIM_400000_NS6detail17trampoline_kernelINS0_14default_configENS1_25partition_config_selectorILNS1_17partition_subalgoE9EiibEEZZNS1_14partition_implILS5_9ELb0ES3_jPKiN6thrust23THRUST_200600_302600_NS17counting_iteratorIiNSB_11use_defaultESD_SD_EEPNS0_10empty_typeENS0_5tupleIJPiSF_EEENSH_IJSI_SG_EEENS0_18inequality_wrapperIN6hipcub16HIPCUB_304000_NS8EqualityEEEPlJSF_EEE10hipError_tPvRmT3_T4_T5_T6_T7_T9_mT8_P12ihipStream_tbDpT10_ENKUlT_T0_E_clISt17integral_constantIbLb1EES1A_EEDaS15_S16_EUlS15_E_NS1_11comp_targetILNS1_3genE2ELNS1_11target_archE906ELNS1_3gpuE6ELNS1_3repE0EEENS1_30default_config_static_selectorELNS0_4arch9wavefront6targetE0EEEvT1_,"axG",@progbits,_ZN7rocprim17ROCPRIM_400000_NS6detail17trampoline_kernelINS0_14default_configENS1_25partition_config_selectorILNS1_17partition_subalgoE9EiibEEZZNS1_14partition_implILS5_9ELb0ES3_jPKiN6thrust23THRUST_200600_302600_NS17counting_iteratorIiNSB_11use_defaultESD_SD_EEPNS0_10empty_typeENS0_5tupleIJPiSF_EEENSH_IJSI_SG_EEENS0_18inequality_wrapperIN6hipcub16HIPCUB_304000_NS8EqualityEEEPlJSF_EEE10hipError_tPvRmT3_T4_T5_T6_T7_T9_mT8_P12ihipStream_tbDpT10_ENKUlT_T0_E_clISt17integral_constantIbLb1EES1A_EEDaS15_S16_EUlS15_E_NS1_11comp_targetILNS1_3genE2ELNS1_11target_archE906ELNS1_3gpuE6ELNS1_3repE0EEENS1_30default_config_static_selectorELNS0_4arch9wavefront6targetE0EEEvT1_,comdat
	.protected	_ZN7rocprim17ROCPRIM_400000_NS6detail17trampoline_kernelINS0_14default_configENS1_25partition_config_selectorILNS1_17partition_subalgoE9EiibEEZZNS1_14partition_implILS5_9ELb0ES3_jPKiN6thrust23THRUST_200600_302600_NS17counting_iteratorIiNSB_11use_defaultESD_SD_EEPNS0_10empty_typeENS0_5tupleIJPiSF_EEENSH_IJSI_SG_EEENS0_18inequality_wrapperIN6hipcub16HIPCUB_304000_NS8EqualityEEEPlJSF_EEE10hipError_tPvRmT3_T4_T5_T6_T7_T9_mT8_P12ihipStream_tbDpT10_ENKUlT_T0_E_clISt17integral_constantIbLb1EES1A_EEDaS15_S16_EUlS15_E_NS1_11comp_targetILNS1_3genE2ELNS1_11target_archE906ELNS1_3gpuE6ELNS1_3repE0EEENS1_30default_config_static_selectorELNS0_4arch9wavefront6targetE0EEEvT1_ ; -- Begin function _ZN7rocprim17ROCPRIM_400000_NS6detail17trampoline_kernelINS0_14default_configENS1_25partition_config_selectorILNS1_17partition_subalgoE9EiibEEZZNS1_14partition_implILS5_9ELb0ES3_jPKiN6thrust23THRUST_200600_302600_NS17counting_iteratorIiNSB_11use_defaultESD_SD_EEPNS0_10empty_typeENS0_5tupleIJPiSF_EEENSH_IJSI_SG_EEENS0_18inequality_wrapperIN6hipcub16HIPCUB_304000_NS8EqualityEEEPlJSF_EEE10hipError_tPvRmT3_T4_T5_T6_T7_T9_mT8_P12ihipStream_tbDpT10_ENKUlT_T0_E_clISt17integral_constantIbLb1EES1A_EEDaS15_S16_EUlS15_E_NS1_11comp_targetILNS1_3genE2ELNS1_11target_archE906ELNS1_3gpuE6ELNS1_3repE0EEENS1_30default_config_static_selectorELNS0_4arch9wavefront6targetE0EEEvT1_
	.globl	_ZN7rocprim17ROCPRIM_400000_NS6detail17trampoline_kernelINS0_14default_configENS1_25partition_config_selectorILNS1_17partition_subalgoE9EiibEEZZNS1_14partition_implILS5_9ELb0ES3_jPKiN6thrust23THRUST_200600_302600_NS17counting_iteratorIiNSB_11use_defaultESD_SD_EEPNS0_10empty_typeENS0_5tupleIJPiSF_EEENSH_IJSI_SG_EEENS0_18inequality_wrapperIN6hipcub16HIPCUB_304000_NS8EqualityEEEPlJSF_EEE10hipError_tPvRmT3_T4_T5_T6_T7_T9_mT8_P12ihipStream_tbDpT10_ENKUlT_T0_E_clISt17integral_constantIbLb1EES1A_EEDaS15_S16_EUlS15_E_NS1_11comp_targetILNS1_3genE2ELNS1_11target_archE906ELNS1_3gpuE6ELNS1_3repE0EEENS1_30default_config_static_selectorELNS0_4arch9wavefront6targetE0EEEvT1_
	.p2align	8
	.type	_ZN7rocprim17ROCPRIM_400000_NS6detail17trampoline_kernelINS0_14default_configENS1_25partition_config_selectorILNS1_17partition_subalgoE9EiibEEZZNS1_14partition_implILS5_9ELb0ES3_jPKiN6thrust23THRUST_200600_302600_NS17counting_iteratorIiNSB_11use_defaultESD_SD_EEPNS0_10empty_typeENS0_5tupleIJPiSF_EEENSH_IJSI_SG_EEENS0_18inequality_wrapperIN6hipcub16HIPCUB_304000_NS8EqualityEEEPlJSF_EEE10hipError_tPvRmT3_T4_T5_T6_T7_T9_mT8_P12ihipStream_tbDpT10_ENKUlT_T0_E_clISt17integral_constantIbLb1EES1A_EEDaS15_S16_EUlS15_E_NS1_11comp_targetILNS1_3genE2ELNS1_11target_archE906ELNS1_3gpuE6ELNS1_3repE0EEENS1_30default_config_static_selectorELNS0_4arch9wavefront6targetE0EEEvT1_,@function
_ZN7rocprim17ROCPRIM_400000_NS6detail17trampoline_kernelINS0_14default_configENS1_25partition_config_selectorILNS1_17partition_subalgoE9EiibEEZZNS1_14partition_implILS5_9ELb0ES3_jPKiN6thrust23THRUST_200600_302600_NS17counting_iteratorIiNSB_11use_defaultESD_SD_EEPNS0_10empty_typeENS0_5tupleIJPiSF_EEENSH_IJSI_SG_EEENS0_18inequality_wrapperIN6hipcub16HIPCUB_304000_NS8EqualityEEEPlJSF_EEE10hipError_tPvRmT3_T4_T5_T6_T7_T9_mT8_P12ihipStream_tbDpT10_ENKUlT_T0_E_clISt17integral_constantIbLb1EES1A_EEDaS15_S16_EUlS15_E_NS1_11comp_targetILNS1_3genE2ELNS1_11target_archE906ELNS1_3gpuE6ELNS1_3repE0EEENS1_30default_config_static_selectorELNS0_4arch9wavefront6targetE0EEEvT1_: ; @_ZN7rocprim17ROCPRIM_400000_NS6detail17trampoline_kernelINS0_14default_configENS1_25partition_config_selectorILNS1_17partition_subalgoE9EiibEEZZNS1_14partition_implILS5_9ELb0ES3_jPKiN6thrust23THRUST_200600_302600_NS17counting_iteratorIiNSB_11use_defaultESD_SD_EEPNS0_10empty_typeENS0_5tupleIJPiSF_EEENSH_IJSI_SG_EEENS0_18inequality_wrapperIN6hipcub16HIPCUB_304000_NS8EqualityEEEPlJSF_EEE10hipError_tPvRmT3_T4_T5_T6_T7_T9_mT8_P12ihipStream_tbDpT10_ENKUlT_T0_E_clISt17integral_constantIbLb1EES1A_EEDaS15_S16_EUlS15_E_NS1_11comp_targetILNS1_3genE2ELNS1_11target_archE906ELNS1_3gpuE6ELNS1_3repE0EEENS1_30default_config_static_selectorELNS0_4arch9wavefront6targetE0EEEvT1_
; %bb.0:
	.section	.rodata,"a",@progbits
	.p2align	6, 0x0
	.amdhsa_kernel _ZN7rocprim17ROCPRIM_400000_NS6detail17trampoline_kernelINS0_14default_configENS1_25partition_config_selectorILNS1_17partition_subalgoE9EiibEEZZNS1_14partition_implILS5_9ELb0ES3_jPKiN6thrust23THRUST_200600_302600_NS17counting_iteratorIiNSB_11use_defaultESD_SD_EEPNS0_10empty_typeENS0_5tupleIJPiSF_EEENSH_IJSI_SG_EEENS0_18inequality_wrapperIN6hipcub16HIPCUB_304000_NS8EqualityEEEPlJSF_EEE10hipError_tPvRmT3_T4_T5_T6_T7_T9_mT8_P12ihipStream_tbDpT10_ENKUlT_T0_E_clISt17integral_constantIbLb1EES1A_EEDaS15_S16_EUlS15_E_NS1_11comp_targetILNS1_3genE2ELNS1_11target_archE906ELNS1_3gpuE6ELNS1_3repE0EEENS1_30default_config_static_selectorELNS0_4arch9wavefront6targetE0EEEvT1_
		.amdhsa_group_segment_fixed_size 0
		.amdhsa_private_segment_fixed_size 0
		.amdhsa_kernarg_size 128
		.amdhsa_user_sgpr_count 2
		.amdhsa_user_sgpr_dispatch_ptr 0
		.amdhsa_user_sgpr_queue_ptr 0
		.amdhsa_user_sgpr_kernarg_segment_ptr 1
		.amdhsa_user_sgpr_dispatch_id 0
		.amdhsa_user_sgpr_private_segment_size 0
		.amdhsa_wavefront_size32 1
		.amdhsa_uses_dynamic_stack 0
		.amdhsa_enable_private_segment 0
		.amdhsa_system_sgpr_workgroup_id_x 1
		.amdhsa_system_sgpr_workgroup_id_y 0
		.amdhsa_system_sgpr_workgroup_id_z 0
		.amdhsa_system_sgpr_workgroup_info 0
		.amdhsa_system_vgpr_workitem_id 0
		.amdhsa_next_free_vgpr 1
		.amdhsa_next_free_sgpr 1
		.amdhsa_reserve_vcc 0
		.amdhsa_float_round_mode_32 0
		.amdhsa_float_round_mode_16_64 0
		.amdhsa_float_denorm_mode_32 3
		.amdhsa_float_denorm_mode_16_64 3
		.amdhsa_fp16_overflow 0
		.amdhsa_workgroup_processor_mode 1
		.amdhsa_memory_ordered 1
		.amdhsa_forward_progress 1
		.amdhsa_inst_pref_size 0
		.amdhsa_round_robin_scheduling 0
		.amdhsa_exception_fp_ieee_invalid_op 0
		.amdhsa_exception_fp_denorm_src 0
		.amdhsa_exception_fp_ieee_div_zero 0
		.amdhsa_exception_fp_ieee_overflow 0
		.amdhsa_exception_fp_ieee_underflow 0
		.amdhsa_exception_fp_ieee_inexact 0
		.amdhsa_exception_int_div_zero 0
	.end_amdhsa_kernel
	.section	.text._ZN7rocprim17ROCPRIM_400000_NS6detail17trampoline_kernelINS0_14default_configENS1_25partition_config_selectorILNS1_17partition_subalgoE9EiibEEZZNS1_14partition_implILS5_9ELb0ES3_jPKiN6thrust23THRUST_200600_302600_NS17counting_iteratorIiNSB_11use_defaultESD_SD_EEPNS0_10empty_typeENS0_5tupleIJPiSF_EEENSH_IJSI_SG_EEENS0_18inequality_wrapperIN6hipcub16HIPCUB_304000_NS8EqualityEEEPlJSF_EEE10hipError_tPvRmT3_T4_T5_T6_T7_T9_mT8_P12ihipStream_tbDpT10_ENKUlT_T0_E_clISt17integral_constantIbLb1EES1A_EEDaS15_S16_EUlS15_E_NS1_11comp_targetILNS1_3genE2ELNS1_11target_archE906ELNS1_3gpuE6ELNS1_3repE0EEENS1_30default_config_static_selectorELNS0_4arch9wavefront6targetE0EEEvT1_,"axG",@progbits,_ZN7rocprim17ROCPRIM_400000_NS6detail17trampoline_kernelINS0_14default_configENS1_25partition_config_selectorILNS1_17partition_subalgoE9EiibEEZZNS1_14partition_implILS5_9ELb0ES3_jPKiN6thrust23THRUST_200600_302600_NS17counting_iteratorIiNSB_11use_defaultESD_SD_EEPNS0_10empty_typeENS0_5tupleIJPiSF_EEENSH_IJSI_SG_EEENS0_18inequality_wrapperIN6hipcub16HIPCUB_304000_NS8EqualityEEEPlJSF_EEE10hipError_tPvRmT3_T4_T5_T6_T7_T9_mT8_P12ihipStream_tbDpT10_ENKUlT_T0_E_clISt17integral_constantIbLb1EES1A_EEDaS15_S16_EUlS15_E_NS1_11comp_targetILNS1_3genE2ELNS1_11target_archE906ELNS1_3gpuE6ELNS1_3repE0EEENS1_30default_config_static_selectorELNS0_4arch9wavefront6targetE0EEEvT1_,comdat
.Lfunc_end22:
	.size	_ZN7rocprim17ROCPRIM_400000_NS6detail17trampoline_kernelINS0_14default_configENS1_25partition_config_selectorILNS1_17partition_subalgoE9EiibEEZZNS1_14partition_implILS5_9ELb0ES3_jPKiN6thrust23THRUST_200600_302600_NS17counting_iteratorIiNSB_11use_defaultESD_SD_EEPNS0_10empty_typeENS0_5tupleIJPiSF_EEENSH_IJSI_SG_EEENS0_18inequality_wrapperIN6hipcub16HIPCUB_304000_NS8EqualityEEEPlJSF_EEE10hipError_tPvRmT3_T4_T5_T6_T7_T9_mT8_P12ihipStream_tbDpT10_ENKUlT_T0_E_clISt17integral_constantIbLb1EES1A_EEDaS15_S16_EUlS15_E_NS1_11comp_targetILNS1_3genE2ELNS1_11target_archE906ELNS1_3gpuE6ELNS1_3repE0EEENS1_30default_config_static_selectorELNS0_4arch9wavefront6targetE0EEEvT1_, .Lfunc_end22-_ZN7rocprim17ROCPRIM_400000_NS6detail17trampoline_kernelINS0_14default_configENS1_25partition_config_selectorILNS1_17partition_subalgoE9EiibEEZZNS1_14partition_implILS5_9ELb0ES3_jPKiN6thrust23THRUST_200600_302600_NS17counting_iteratorIiNSB_11use_defaultESD_SD_EEPNS0_10empty_typeENS0_5tupleIJPiSF_EEENSH_IJSI_SG_EEENS0_18inequality_wrapperIN6hipcub16HIPCUB_304000_NS8EqualityEEEPlJSF_EEE10hipError_tPvRmT3_T4_T5_T6_T7_T9_mT8_P12ihipStream_tbDpT10_ENKUlT_T0_E_clISt17integral_constantIbLb1EES1A_EEDaS15_S16_EUlS15_E_NS1_11comp_targetILNS1_3genE2ELNS1_11target_archE906ELNS1_3gpuE6ELNS1_3repE0EEENS1_30default_config_static_selectorELNS0_4arch9wavefront6targetE0EEEvT1_
                                        ; -- End function
	.set _ZN7rocprim17ROCPRIM_400000_NS6detail17trampoline_kernelINS0_14default_configENS1_25partition_config_selectorILNS1_17partition_subalgoE9EiibEEZZNS1_14partition_implILS5_9ELb0ES3_jPKiN6thrust23THRUST_200600_302600_NS17counting_iteratorIiNSB_11use_defaultESD_SD_EEPNS0_10empty_typeENS0_5tupleIJPiSF_EEENSH_IJSI_SG_EEENS0_18inequality_wrapperIN6hipcub16HIPCUB_304000_NS8EqualityEEEPlJSF_EEE10hipError_tPvRmT3_T4_T5_T6_T7_T9_mT8_P12ihipStream_tbDpT10_ENKUlT_T0_E_clISt17integral_constantIbLb1EES1A_EEDaS15_S16_EUlS15_E_NS1_11comp_targetILNS1_3genE2ELNS1_11target_archE906ELNS1_3gpuE6ELNS1_3repE0EEENS1_30default_config_static_selectorELNS0_4arch9wavefront6targetE0EEEvT1_.num_vgpr, 0
	.set _ZN7rocprim17ROCPRIM_400000_NS6detail17trampoline_kernelINS0_14default_configENS1_25partition_config_selectorILNS1_17partition_subalgoE9EiibEEZZNS1_14partition_implILS5_9ELb0ES3_jPKiN6thrust23THRUST_200600_302600_NS17counting_iteratorIiNSB_11use_defaultESD_SD_EEPNS0_10empty_typeENS0_5tupleIJPiSF_EEENSH_IJSI_SG_EEENS0_18inequality_wrapperIN6hipcub16HIPCUB_304000_NS8EqualityEEEPlJSF_EEE10hipError_tPvRmT3_T4_T5_T6_T7_T9_mT8_P12ihipStream_tbDpT10_ENKUlT_T0_E_clISt17integral_constantIbLb1EES1A_EEDaS15_S16_EUlS15_E_NS1_11comp_targetILNS1_3genE2ELNS1_11target_archE906ELNS1_3gpuE6ELNS1_3repE0EEENS1_30default_config_static_selectorELNS0_4arch9wavefront6targetE0EEEvT1_.num_agpr, 0
	.set _ZN7rocprim17ROCPRIM_400000_NS6detail17trampoline_kernelINS0_14default_configENS1_25partition_config_selectorILNS1_17partition_subalgoE9EiibEEZZNS1_14partition_implILS5_9ELb0ES3_jPKiN6thrust23THRUST_200600_302600_NS17counting_iteratorIiNSB_11use_defaultESD_SD_EEPNS0_10empty_typeENS0_5tupleIJPiSF_EEENSH_IJSI_SG_EEENS0_18inequality_wrapperIN6hipcub16HIPCUB_304000_NS8EqualityEEEPlJSF_EEE10hipError_tPvRmT3_T4_T5_T6_T7_T9_mT8_P12ihipStream_tbDpT10_ENKUlT_T0_E_clISt17integral_constantIbLb1EES1A_EEDaS15_S16_EUlS15_E_NS1_11comp_targetILNS1_3genE2ELNS1_11target_archE906ELNS1_3gpuE6ELNS1_3repE0EEENS1_30default_config_static_selectorELNS0_4arch9wavefront6targetE0EEEvT1_.numbered_sgpr, 0
	.set _ZN7rocprim17ROCPRIM_400000_NS6detail17trampoline_kernelINS0_14default_configENS1_25partition_config_selectorILNS1_17partition_subalgoE9EiibEEZZNS1_14partition_implILS5_9ELb0ES3_jPKiN6thrust23THRUST_200600_302600_NS17counting_iteratorIiNSB_11use_defaultESD_SD_EEPNS0_10empty_typeENS0_5tupleIJPiSF_EEENSH_IJSI_SG_EEENS0_18inequality_wrapperIN6hipcub16HIPCUB_304000_NS8EqualityEEEPlJSF_EEE10hipError_tPvRmT3_T4_T5_T6_T7_T9_mT8_P12ihipStream_tbDpT10_ENKUlT_T0_E_clISt17integral_constantIbLb1EES1A_EEDaS15_S16_EUlS15_E_NS1_11comp_targetILNS1_3genE2ELNS1_11target_archE906ELNS1_3gpuE6ELNS1_3repE0EEENS1_30default_config_static_selectorELNS0_4arch9wavefront6targetE0EEEvT1_.num_named_barrier, 0
	.set _ZN7rocprim17ROCPRIM_400000_NS6detail17trampoline_kernelINS0_14default_configENS1_25partition_config_selectorILNS1_17partition_subalgoE9EiibEEZZNS1_14partition_implILS5_9ELb0ES3_jPKiN6thrust23THRUST_200600_302600_NS17counting_iteratorIiNSB_11use_defaultESD_SD_EEPNS0_10empty_typeENS0_5tupleIJPiSF_EEENSH_IJSI_SG_EEENS0_18inequality_wrapperIN6hipcub16HIPCUB_304000_NS8EqualityEEEPlJSF_EEE10hipError_tPvRmT3_T4_T5_T6_T7_T9_mT8_P12ihipStream_tbDpT10_ENKUlT_T0_E_clISt17integral_constantIbLb1EES1A_EEDaS15_S16_EUlS15_E_NS1_11comp_targetILNS1_3genE2ELNS1_11target_archE906ELNS1_3gpuE6ELNS1_3repE0EEENS1_30default_config_static_selectorELNS0_4arch9wavefront6targetE0EEEvT1_.private_seg_size, 0
	.set _ZN7rocprim17ROCPRIM_400000_NS6detail17trampoline_kernelINS0_14default_configENS1_25partition_config_selectorILNS1_17partition_subalgoE9EiibEEZZNS1_14partition_implILS5_9ELb0ES3_jPKiN6thrust23THRUST_200600_302600_NS17counting_iteratorIiNSB_11use_defaultESD_SD_EEPNS0_10empty_typeENS0_5tupleIJPiSF_EEENSH_IJSI_SG_EEENS0_18inequality_wrapperIN6hipcub16HIPCUB_304000_NS8EqualityEEEPlJSF_EEE10hipError_tPvRmT3_T4_T5_T6_T7_T9_mT8_P12ihipStream_tbDpT10_ENKUlT_T0_E_clISt17integral_constantIbLb1EES1A_EEDaS15_S16_EUlS15_E_NS1_11comp_targetILNS1_3genE2ELNS1_11target_archE906ELNS1_3gpuE6ELNS1_3repE0EEENS1_30default_config_static_selectorELNS0_4arch9wavefront6targetE0EEEvT1_.uses_vcc, 0
	.set _ZN7rocprim17ROCPRIM_400000_NS6detail17trampoline_kernelINS0_14default_configENS1_25partition_config_selectorILNS1_17partition_subalgoE9EiibEEZZNS1_14partition_implILS5_9ELb0ES3_jPKiN6thrust23THRUST_200600_302600_NS17counting_iteratorIiNSB_11use_defaultESD_SD_EEPNS0_10empty_typeENS0_5tupleIJPiSF_EEENSH_IJSI_SG_EEENS0_18inequality_wrapperIN6hipcub16HIPCUB_304000_NS8EqualityEEEPlJSF_EEE10hipError_tPvRmT3_T4_T5_T6_T7_T9_mT8_P12ihipStream_tbDpT10_ENKUlT_T0_E_clISt17integral_constantIbLb1EES1A_EEDaS15_S16_EUlS15_E_NS1_11comp_targetILNS1_3genE2ELNS1_11target_archE906ELNS1_3gpuE6ELNS1_3repE0EEENS1_30default_config_static_selectorELNS0_4arch9wavefront6targetE0EEEvT1_.uses_flat_scratch, 0
	.set _ZN7rocprim17ROCPRIM_400000_NS6detail17trampoline_kernelINS0_14default_configENS1_25partition_config_selectorILNS1_17partition_subalgoE9EiibEEZZNS1_14partition_implILS5_9ELb0ES3_jPKiN6thrust23THRUST_200600_302600_NS17counting_iteratorIiNSB_11use_defaultESD_SD_EEPNS0_10empty_typeENS0_5tupleIJPiSF_EEENSH_IJSI_SG_EEENS0_18inequality_wrapperIN6hipcub16HIPCUB_304000_NS8EqualityEEEPlJSF_EEE10hipError_tPvRmT3_T4_T5_T6_T7_T9_mT8_P12ihipStream_tbDpT10_ENKUlT_T0_E_clISt17integral_constantIbLb1EES1A_EEDaS15_S16_EUlS15_E_NS1_11comp_targetILNS1_3genE2ELNS1_11target_archE906ELNS1_3gpuE6ELNS1_3repE0EEENS1_30default_config_static_selectorELNS0_4arch9wavefront6targetE0EEEvT1_.has_dyn_sized_stack, 0
	.set _ZN7rocprim17ROCPRIM_400000_NS6detail17trampoline_kernelINS0_14default_configENS1_25partition_config_selectorILNS1_17partition_subalgoE9EiibEEZZNS1_14partition_implILS5_9ELb0ES3_jPKiN6thrust23THRUST_200600_302600_NS17counting_iteratorIiNSB_11use_defaultESD_SD_EEPNS0_10empty_typeENS0_5tupleIJPiSF_EEENSH_IJSI_SG_EEENS0_18inequality_wrapperIN6hipcub16HIPCUB_304000_NS8EqualityEEEPlJSF_EEE10hipError_tPvRmT3_T4_T5_T6_T7_T9_mT8_P12ihipStream_tbDpT10_ENKUlT_T0_E_clISt17integral_constantIbLb1EES1A_EEDaS15_S16_EUlS15_E_NS1_11comp_targetILNS1_3genE2ELNS1_11target_archE906ELNS1_3gpuE6ELNS1_3repE0EEENS1_30default_config_static_selectorELNS0_4arch9wavefront6targetE0EEEvT1_.has_recursion, 0
	.set _ZN7rocprim17ROCPRIM_400000_NS6detail17trampoline_kernelINS0_14default_configENS1_25partition_config_selectorILNS1_17partition_subalgoE9EiibEEZZNS1_14partition_implILS5_9ELb0ES3_jPKiN6thrust23THRUST_200600_302600_NS17counting_iteratorIiNSB_11use_defaultESD_SD_EEPNS0_10empty_typeENS0_5tupleIJPiSF_EEENSH_IJSI_SG_EEENS0_18inequality_wrapperIN6hipcub16HIPCUB_304000_NS8EqualityEEEPlJSF_EEE10hipError_tPvRmT3_T4_T5_T6_T7_T9_mT8_P12ihipStream_tbDpT10_ENKUlT_T0_E_clISt17integral_constantIbLb1EES1A_EEDaS15_S16_EUlS15_E_NS1_11comp_targetILNS1_3genE2ELNS1_11target_archE906ELNS1_3gpuE6ELNS1_3repE0EEENS1_30default_config_static_selectorELNS0_4arch9wavefront6targetE0EEEvT1_.has_indirect_call, 0
	.section	.AMDGPU.csdata,"",@progbits
; Kernel info:
; codeLenInByte = 0
; TotalNumSgprs: 0
; NumVgprs: 0
; ScratchSize: 0
; MemoryBound: 0
; FloatMode: 240
; IeeeMode: 1
; LDSByteSize: 0 bytes/workgroup (compile time only)
; SGPRBlocks: 0
; VGPRBlocks: 0
; NumSGPRsForWavesPerEU: 1
; NumVGPRsForWavesPerEU: 1
; Occupancy: 16
; WaveLimiterHint : 0
; COMPUTE_PGM_RSRC2:SCRATCH_EN: 0
; COMPUTE_PGM_RSRC2:USER_SGPR: 2
; COMPUTE_PGM_RSRC2:TRAP_HANDLER: 0
; COMPUTE_PGM_RSRC2:TGID_X_EN: 1
; COMPUTE_PGM_RSRC2:TGID_Y_EN: 0
; COMPUTE_PGM_RSRC2:TGID_Z_EN: 0
; COMPUTE_PGM_RSRC2:TIDIG_COMP_CNT: 0
	.section	.text._ZN7rocprim17ROCPRIM_400000_NS6detail17trampoline_kernelINS0_14default_configENS1_25partition_config_selectorILNS1_17partition_subalgoE9EiibEEZZNS1_14partition_implILS5_9ELb0ES3_jPKiN6thrust23THRUST_200600_302600_NS17counting_iteratorIiNSB_11use_defaultESD_SD_EEPNS0_10empty_typeENS0_5tupleIJPiSF_EEENSH_IJSI_SG_EEENS0_18inequality_wrapperIN6hipcub16HIPCUB_304000_NS8EqualityEEEPlJSF_EEE10hipError_tPvRmT3_T4_T5_T6_T7_T9_mT8_P12ihipStream_tbDpT10_ENKUlT_T0_E_clISt17integral_constantIbLb1EES1A_EEDaS15_S16_EUlS15_E_NS1_11comp_targetILNS1_3genE10ELNS1_11target_archE1200ELNS1_3gpuE4ELNS1_3repE0EEENS1_30default_config_static_selectorELNS0_4arch9wavefront6targetE0EEEvT1_,"axG",@progbits,_ZN7rocprim17ROCPRIM_400000_NS6detail17trampoline_kernelINS0_14default_configENS1_25partition_config_selectorILNS1_17partition_subalgoE9EiibEEZZNS1_14partition_implILS5_9ELb0ES3_jPKiN6thrust23THRUST_200600_302600_NS17counting_iteratorIiNSB_11use_defaultESD_SD_EEPNS0_10empty_typeENS0_5tupleIJPiSF_EEENSH_IJSI_SG_EEENS0_18inequality_wrapperIN6hipcub16HIPCUB_304000_NS8EqualityEEEPlJSF_EEE10hipError_tPvRmT3_T4_T5_T6_T7_T9_mT8_P12ihipStream_tbDpT10_ENKUlT_T0_E_clISt17integral_constantIbLb1EES1A_EEDaS15_S16_EUlS15_E_NS1_11comp_targetILNS1_3genE10ELNS1_11target_archE1200ELNS1_3gpuE4ELNS1_3repE0EEENS1_30default_config_static_selectorELNS0_4arch9wavefront6targetE0EEEvT1_,comdat
	.protected	_ZN7rocprim17ROCPRIM_400000_NS6detail17trampoline_kernelINS0_14default_configENS1_25partition_config_selectorILNS1_17partition_subalgoE9EiibEEZZNS1_14partition_implILS5_9ELb0ES3_jPKiN6thrust23THRUST_200600_302600_NS17counting_iteratorIiNSB_11use_defaultESD_SD_EEPNS0_10empty_typeENS0_5tupleIJPiSF_EEENSH_IJSI_SG_EEENS0_18inequality_wrapperIN6hipcub16HIPCUB_304000_NS8EqualityEEEPlJSF_EEE10hipError_tPvRmT3_T4_T5_T6_T7_T9_mT8_P12ihipStream_tbDpT10_ENKUlT_T0_E_clISt17integral_constantIbLb1EES1A_EEDaS15_S16_EUlS15_E_NS1_11comp_targetILNS1_3genE10ELNS1_11target_archE1200ELNS1_3gpuE4ELNS1_3repE0EEENS1_30default_config_static_selectorELNS0_4arch9wavefront6targetE0EEEvT1_ ; -- Begin function _ZN7rocprim17ROCPRIM_400000_NS6detail17trampoline_kernelINS0_14default_configENS1_25partition_config_selectorILNS1_17partition_subalgoE9EiibEEZZNS1_14partition_implILS5_9ELb0ES3_jPKiN6thrust23THRUST_200600_302600_NS17counting_iteratorIiNSB_11use_defaultESD_SD_EEPNS0_10empty_typeENS0_5tupleIJPiSF_EEENSH_IJSI_SG_EEENS0_18inequality_wrapperIN6hipcub16HIPCUB_304000_NS8EqualityEEEPlJSF_EEE10hipError_tPvRmT3_T4_T5_T6_T7_T9_mT8_P12ihipStream_tbDpT10_ENKUlT_T0_E_clISt17integral_constantIbLb1EES1A_EEDaS15_S16_EUlS15_E_NS1_11comp_targetILNS1_3genE10ELNS1_11target_archE1200ELNS1_3gpuE4ELNS1_3repE0EEENS1_30default_config_static_selectorELNS0_4arch9wavefront6targetE0EEEvT1_
	.globl	_ZN7rocprim17ROCPRIM_400000_NS6detail17trampoline_kernelINS0_14default_configENS1_25partition_config_selectorILNS1_17partition_subalgoE9EiibEEZZNS1_14partition_implILS5_9ELb0ES3_jPKiN6thrust23THRUST_200600_302600_NS17counting_iteratorIiNSB_11use_defaultESD_SD_EEPNS0_10empty_typeENS0_5tupleIJPiSF_EEENSH_IJSI_SG_EEENS0_18inequality_wrapperIN6hipcub16HIPCUB_304000_NS8EqualityEEEPlJSF_EEE10hipError_tPvRmT3_T4_T5_T6_T7_T9_mT8_P12ihipStream_tbDpT10_ENKUlT_T0_E_clISt17integral_constantIbLb1EES1A_EEDaS15_S16_EUlS15_E_NS1_11comp_targetILNS1_3genE10ELNS1_11target_archE1200ELNS1_3gpuE4ELNS1_3repE0EEENS1_30default_config_static_selectorELNS0_4arch9wavefront6targetE0EEEvT1_
	.p2align	8
	.type	_ZN7rocprim17ROCPRIM_400000_NS6detail17trampoline_kernelINS0_14default_configENS1_25partition_config_selectorILNS1_17partition_subalgoE9EiibEEZZNS1_14partition_implILS5_9ELb0ES3_jPKiN6thrust23THRUST_200600_302600_NS17counting_iteratorIiNSB_11use_defaultESD_SD_EEPNS0_10empty_typeENS0_5tupleIJPiSF_EEENSH_IJSI_SG_EEENS0_18inequality_wrapperIN6hipcub16HIPCUB_304000_NS8EqualityEEEPlJSF_EEE10hipError_tPvRmT3_T4_T5_T6_T7_T9_mT8_P12ihipStream_tbDpT10_ENKUlT_T0_E_clISt17integral_constantIbLb1EES1A_EEDaS15_S16_EUlS15_E_NS1_11comp_targetILNS1_3genE10ELNS1_11target_archE1200ELNS1_3gpuE4ELNS1_3repE0EEENS1_30default_config_static_selectorELNS0_4arch9wavefront6targetE0EEEvT1_,@function
_ZN7rocprim17ROCPRIM_400000_NS6detail17trampoline_kernelINS0_14default_configENS1_25partition_config_selectorILNS1_17partition_subalgoE9EiibEEZZNS1_14partition_implILS5_9ELb0ES3_jPKiN6thrust23THRUST_200600_302600_NS17counting_iteratorIiNSB_11use_defaultESD_SD_EEPNS0_10empty_typeENS0_5tupleIJPiSF_EEENSH_IJSI_SG_EEENS0_18inequality_wrapperIN6hipcub16HIPCUB_304000_NS8EqualityEEEPlJSF_EEE10hipError_tPvRmT3_T4_T5_T6_T7_T9_mT8_P12ihipStream_tbDpT10_ENKUlT_T0_E_clISt17integral_constantIbLb1EES1A_EEDaS15_S16_EUlS15_E_NS1_11comp_targetILNS1_3genE10ELNS1_11target_archE1200ELNS1_3gpuE4ELNS1_3repE0EEENS1_30default_config_static_selectorELNS0_4arch9wavefront6targetE0EEEvT1_: ; @_ZN7rocprim17ROCPRIM_400000_NS6detail17trampoline_kernelINS0_14default_configENS1_25partition_config_selectorILNS1_17partition_subalgoE9EiibEEZZNS1_14partition_implILS5_9ELb0ES3_jPKiN6thrust23THRUST_200600_302600_NS17counting_iteratorIiNSB_11use_defaultESD_SD_EEPNS0_10empty_typeENS0_5tupleIJPiSF_EEENSH_IJSI_SG_EEENS0_18inequality_wrapperIN6hipcub16HIPCUB_304000_NS8EqualityEEEPlJSF_EEE10hipError_tPvRmT3_T4_T5_T6_T7_T9_mT8_P12ihipStream_tbDpT10_ENKUlT_T0_E_clISt17integral_constantIbLb1EES1A_EEDaS15_S16_EUlS15_E_NS1_11comp_targetILNS1_3genE10ELNS1_11target_archE1200ELNS1_3gpuE4ELNS1_3repE0EEENS1_30default_config_static_selectorELNS0_4arch9wavefront6targetE0EEEvT1_
; %bb.0:
	s_endpgm
	.section	.rodata,"a",@progbits
	.p2align	6, 0x0
	.amdhsa_kernel _ZN7rocprim17ROCPRIM_400000_NS6detail17trampoline_kernelINS0_14default_configENS1_25partition_config_selectorILNS1_17partition_subalgoE9EiibEEZZNS1_14partition_implILS5_9ELb0ES3_jPKiN6thrust23THRUST_200600_302600_NS17counting_iteratorIiNSB_11use_defaultESD_SD_EEPNS0_10empty_typeENS0_5tupleIJPiSF_EEENSH_IJSI_SG_EEENS0_18inequality_wrapperIN6hipcub16HIPCUB_304000_NS8EqualityEEEPlJSF_EEE10hipError_tPvRmT3_T4_T5_T6_T7_T9_mT8_P12ihipStream_tbDpT10_ENKUlT_T0_E_clISt17integral_constantIbLb1EES1A_EEDaS15_S16_EUlS15_E_NS1_11comp_targetILNS1_3genE10ELNS1_11target_archE1200ELNS1_3gpuE4ELNS1_3repE0EEENS1_30default_config_static_selectorELNS0_4arch9wavefront6targetE0EEEvT1_
		.amdhsa_group_segment_fixed_size 0
		.amdhsa_private_segment_fixed_size 0
		.amdhsa_kernarg_size 128
		.amdhsa_user_sgpr_count 2
		.amdhsa_user_sgpr_dispatch_ptr 0
		.amdhsa_user_sgpr_queue_ptr 0
		.amdhsa_user_sgpr_kernarg_segment_ptr 1
		.amdhsa_user_sgpr_dispatch_id 0
		.amdhsa_user_sgpr_private_segment_size 0
		.amdhsa_wavefront_size32 1
		.amdhsa_uses_dynamic_stack 0
		.amdhsa_enable_private_segment 0
		.amdhsa_system_sgpr_workgroup_id_x 1
		.amdhsa_system_sgpr_workgroup_id_y 0
		.amdhsa_system_sgpr_workgroup_id_z 0
		.amdhsa_system_sgpr_workgroup_info 0
		.amdhsa_system_vgpr_workitem_id 0
		.amdhsa_next_free_vgpr 1
		.amdhsa_next_free_sgpr 1
		.amdhsa_reserve_vcc 0
		.amdhsa_float_round_mode_32 0
		.amdhsa_float_round_mode_16_64 0
		.amdhsa_float_denorm_mode_32 3
		.amdhsa_float_denorm_mode_16_64 3
		.amdhsa_fp16_overflow 0
		.amdhsa_workgroup_processor_mode 1
		.amdhsa_memory_ordered 1
		.amdhsa_forward_progress 1
		.amdhsa_inst_pref_size 1
		.amdhsa_round_robin_scheduling 0
		.amdhsa_exception_fp_ieee_invalid_op 0
		.amdhsa_exception_fp_denorm_src 0
		.amdhsa_exception_fp_ieee_div_zero 0
		.amdhsa_exception_fp_ieee_overflow 0
		.amdhsa_exception_fp_ieee_underflow 0
		.amdhsa_exception_fp_ieee_inexact 0
		.amdhsa_exception_int_div_zero 0
	.end_amdhsa_kernel
	.section	.text._ZN7rocprim17ROCPRIM_400000_NS6detail17trampoline_kernelINS0_14default_configENS1_25partition_config_selectorILNS1_17partition_subalgoE9EiibEEZZNS1_14partition_implILS5_9ELb0ES3_jPKiN6thrust23THRUST_200600_302600_NS17counting_iteratorIiNSB_11use_defaultESD_SD_EEPNS0_10empty_typeENS0_5tupleIJPiSF_EEENSH_IJSI_SG_EEENS0_18inequality_wrapperIN6hipcub16HIPCUB_304000_NS8EqualityEEEPlJSF_EEE10hipError_tPvRmT3_T4_T5_T6_T7_T9_mT8_P12ihipStream_tbDpT10_ENKUlT_T0_E_clISt17integral_constantIbLb1EES1A_EEDaS15_S16_EUlS15_E_NS1_11comp_targetILNS1_3genE10ELNS1_11target_archE1200ELNS1_3gpuE4ELNS1_3repE0EEENS1_30default_config_static_selectorELNS0_4arch9wavefront6targetE0EEEvT1_,"axG",@progbits,_ZN7rocprim17ROCPRIM_400000_NS6detail17trampoline_kernelINS0_14default_configENS1_25partition_config_selectorILNS1_17partition_subalgoE9EiibEEZZNS1_14partition_implILS5_9ELb0ES3_jPKiN6thrust23THRUST_200600_302600_NS17counting_iteratorIiNSB_11use_defaultESD_SD_EEPNS0_10empty_typeENS0_5tupleIJPiSF_EEENSH_IJSI_SG_EEENS0_18inequality_wrapperIN6hipcub16HIPCUB_304000_NS8EqualityEEEPlJSF_EEE10hipError_tPvRmT3_T4_T5_T6_T7_T9_mT8_P12ihipStream_tbDpT10_ENKUlT_T0_E_clISt17integral_constantIbLb1EES1A_EEDaS15_S16_EUlS15_E_NS1_11comp_targetILNS1_3genE10ELNS1_11target_archE1200ELNS1_3gpuE4ELNS1_3repE0EEENS1_30default_config_static_selectorELNS0_4arch9wavefront6targetE0EEEvT1_,comdat
.Lfunc_end23:
	.size	_ZN7rocprim17ROCPRIM_400000_NS6detail17trampoline_kernelINS0_14default_configENS1_25partition_config_selectorILNS1_17partition_subalgoE9EiibEEZZNS1_14partition_implILS5_9ELb0ES3_jPKiN6thrust23THRUST_200600_302600_NS17counting_iteratorIiNSB_11use_defaultESD_SD_EEPNS0_10empty_typeENS0_5tupleIJPiSF_EEENSH_IJSI_SG_EEENS0_18inequality_wrapperIN6hipcub16HIPCUB_304000_NS8EqualityEEEPlJSF_EEE10hipError_tPvRmT3_T4_T5_T6_T7_T9_mT8_P12ihipStream_tbDpT10_ENKUlT_T0_E_clISt17integral_constantIbLb1EES1A_EEDaS15_S16_EUlS15_E_NS1_11comp_targetILNS1_3genE10ELNS1_11target_archE1200ELNS1_3gpuE4ELNS1_3repE0EEENS1_30default_config_static_selectorELNS0_4arch9wavefront6targetE0EEEvT1_, .Lfunc_end23-_ZN7rocprim17ROCPRIM_400000_NS6detail17trampoline_kernelINS0_14default_configENS1_25partition_config_selectorILNS1_17partition_subalgoE9EiibEEZZNS1_14partition_implILS5_9ELb0ES3_jPKiN6thrust23THRUST_200600_302600_NS17counting_iteratorIiNSB_11use_defaultESD_SD_EEPNS0_10empty_typeENS0_5tupleIJPiSF_EEENSH_IJSI_SG_EEENS0_18inequality_wrapperIN6hipcub16HIPCUB_304000_NS8EqualityEEEPlJSF_EEE10hipError_tPvRmT3_T4_T5_T6_T7_T9_mT8_P12ihipStream_tbDpT10_ENKUlT_T0_E_clISt17integral_constantIbLb1EES1A_EEDaS15_S16_EUlS15_E_NS1_11comp_targetILNS1_3genE10ELNS1_11target_archE1200ELNS1_3gpuE4ELNS1_3repE0EEENS1_30default_config_static_selectorELNS0_4arch9wavefront6targetE0EEEvT1_
                                        ; -- End function
	.set _ZN7rocprim17ROCPRIM_400000_NS6detail17trampoline_kernelINS0_14default_configENS1_25partition_config_selectorILNS1_17partition_subalgoE9EiibEEZZNS1_14partition_implILS5_9ELb0ES3_jPKiN6thrust23THRUST_200600_302600_NS17counting_iteratorIiNSB_11use_defaultESD_SD_EEPNS0_10empty_typeENS0_5tupleIJPiSF_EEENSH_IJSI_SG_EEENS0_18inequality_wrapperIN6hipcub16HIPCUB_304000_NS8EqualityEEEPlJSF_EEE10hipError_tPvRmT3_T4_T5_T6_T7_T9_mT8_P12ihipStream_tbDpT10_ENKUlT_T0_E_clISt17integral_constantIbLb1EES1A_EEDaS15_S16_EUlS15_E_NS1_11comp_targetILNS1_3genE10ELNS1_11target_archE1200ELNS1_3gpuE4ELNS1_3repE0EEENS1_30default_config_static_selectorELNS0_4arch9wavefront6targetE0EEEvT1_.num_vgpr, 0
	.set _ZN7rocprim17ROCPRIM_400000_NS6detail17trampoline_kernelINS0_14default_configENS1_25partition_config_selectorILNS1_17partition_subalgoE9EiibEEZZNS1_14partition_implILS5_9ELb0ES3_jPKiN6thrust23THRUST_200600_302600_NS17counting_iteratorIiNSB_11use_defaultESD_SD_EEPNS0_10empty_typeENS0_5tupleIJPiSF_EEENSH_IJSI_SG_EEENS0_18inequality_wrapperIN6hipcub16HIPCUB_304000_NS8EqualityEEEPlJSF_EEE10hipError_tPvRmT3_T4_T5_T6_T7_T9_mT8_P12ihipStream_tbDpT10_ENKUlT_T0_E_clISt17integral_constantIbLb1EES1A_EEDaS15_S16_EUlS15_E_NS1_11comp_targetILNS1_3genE10ELNS1_11target_archE1200ELNS1_3gpuE4ELNS1_3repE0EEENS1_30default_config_static_selectorELNS0_4arch9wavefront6targetE0EEEvT1_.num_agpr, 0
	.set _ZN7rocprim17ROCPRIM_400000_NS6detail17trampoline_kernelINS0_14default_configENS1_25partition_config_selectorILNS1_17partition_subalgoE9EiibEEZZNS1_14partition_implILS5_9ELb0ES3_jPKiN6thrust23THRUST_200600_302600_NS17counting_iteratorIiNSB_11use_defaultESD_SD_EEPNS0_10empty_typeENS0_5tupleIJPiSF_EEENSH_IJSI_SG_EEENS0_18inequality_wrapperIN6hipcub16HIPCUB_304000_NS8EqualityEEEPlJSF_EEE10hipError_tPvRmT3_T4_T5_T6_T7_T9_mT8_P12ihipStream_tbDpT10_ENKUlT_T0_E_clISt17integral_constantIbLb1EES1A_EEDaS15_S16_EUlS15_E_NS1_11comp_targetILNS1_3genE10ELNS1_11target_archE1200ELNS1_3gpuE4ELNS1_3repE0EEENS1_30default_config_static_selectorELNS0_4arch9wavefront6targetE0EEEvT1_.numbered_sgpr, 0
	.set _ZN7rocprim17ROCPRIM_400000_NS6detail17trampoline_kernelINS0_14default_configENS1_25partition_config_selectorILNS1_17partition_subalgoE9EiibEEZZNS1_14partition_implILS5_9ELb0ES3_jPKiN6thrust23THRUST_200600_302600_NS17counting_iteratorIiNSB_11use_defaultESD_SD_EEPNS0_10empty_typeENS0_5tupleIJPiSF_EEENSH_IJSI_SG_EEENS0_18inequality_wrapperIN6hipcub16HIPCUB_304000_NS8EqualityEEEPlJSF_EEE10hipError_tPvRmT3_T4_T5_T6_T7_T9_mT8_P12ihipStream_tbDpT10_ENKUlT_T0_E_clISt17integral_constantIbLb1EES1A_EEDaS15_S16_EUlS15_E_NS1_11comp_targetILNS1_3genE10ELNS1_11target_archE1200ELNS1_3gpuE4ELNS1_3repE0EEENS1_30default_config_static_selectorELNS0_4arch9wavefront6targetE0EEEvT1_.num_named_barrier, 0
	.set _ZN7rocprim17ROCPRIM_400000_NS6detail17trampoline_kernelINS0_14default_configENS1_25partition_config_selectorILNS1_17partition_subalgoE9EiibEEZZNS1_14partition_implILS5_9ELb0ES3_jPKiN6thrust23THRUST_200600_302600_NS17counting_iteratorIiNSB_11use_defaultESD_SD_EEPNS0_10empty_typeENS0_5tupleIJPiSF_EEENSH_IJSI_SG_EEENS0_18inequality_wrapperIN6hipcub16HIPCUB_304000_NS8EqualityEEEPlJSF_EEE10hipError_tPvRmT3_T4_T5_T6_T7_T9_mT8_P12ihipStream_tbDpT10_ENKUlT_T0_E_clISt17integral_constantIbLb1EES1A_EEDaS15_S16_EUlS15_E_NS1_11comp_targetILNS1_3genE10ELNS1_11target_archE1200ELNS1_3gpuE4ELNS1_3repE0EEENS1_30default_config_static_selectorELNS0_4arch9wavefront6targetE0EEEvT1_.private_seg_size, 0
	.set _ZN7rocprim17ROCPRIM_400000_NS6detail17trampoline_kernelINS0_14default_configENS1_25partition_config_selectorILNS1_17partition_subalgoE9EiibEEZZNS1_14partition_implILS5_9ELb0ES3_jPKiN6thrust23THRUST_200600_302600_NS17counting_iteratorIiNSB_11use_defaultESD_SD_EEPNS0_10empty_typeENS0_5tupleIJPiSF_EEENSH_IJSI_SG_EEENS0_18inequality_wrapperIN6hipcub16HIPCUB_304000_NS8EqualityEEEPlJSF_EEE10hipError_tPvRmT3_T4_T5_T6_T7_T9_mT8_P12ihipStream_tbDpT10_ENKUlT_T0_E_clISt17integral_constantIbLb1EES1A_EEDaS15_S16_EUlS15_E_NS1_11comp_targetILNS1_3genE10ELNS1_11target_archE1200ELNS1_3gpuE4ELNS1_3repE0EEENS1_30default_config_static_selectorELNS0_4arch9wavefront6targetE0EEEvT1_.uses_vcc, 0
	.set _ZN7rocprim17ROCPRIM_400000_NS6detail17trampoline_kernelINS0_14default_configENS1_25partition_config_selectorILNS1_17partition_subalgoE9EiibEEZZNS1_14partition_implILS5_9ELb0ES3_jPKiN6thrust23THRUST_200600_302600_NS17counting_iteratorIiNSB_11use_defaultESD_SD_EEPNS0_10empty_typeENS0_5tupleIJPiSF_EEENSH_IJSI_SG_EEENS0_18inequality_wrapperIN6hipcub16HIPCUB_304000_NS8EqualityEEEPlJSF_EEE10hipError_tPvRmT3_T4_T5_T6_T7_T9_mT8_P12ihipStream_tbDpT10_ENKUlT_T0_E_clISt17integral_constantIbLb1EES1A_EEDaS15_S16_EUlS15_E_NS1_11comp_targetILNS1_3genE10ELNS1_11target_archE1200ELNS1_3gpuE4ELNS1_3repE0EEENS1_30default_config_static_selectorELNS0_4arch9wavefront6targetE0EEEvT1_.uses_flat_scratch, 0
	.set _ZN7rocprim17ROCPRIM_400000_NS6detail17trampoline_kernelINS0_14default_configENS1_25partition_config_selectorILNS1_17partition_subalgoE9EiibEEZZNS1_14partition_implILS5_9ELb0ES3_jPKiN6thrust23THRUST_200600_302600_NS17counting_iteratorIiNSB_11use_defaultESD_SD_EEPNS0_10empty_typeENS0_5tupleIJPiSF_EEENSH_IJSI_SG_EEENS0_18inequality_wrapperIN6hipcub16HIPCUB_304000_NS8EqualityEEEPlJSF_EEE10hipError_tPvRmT3_T4_T5_T6_T7_T9_mT8_P12ihipStream_tbDpT10_ENKUlT_T0_E_clISt17integral_constantIbLb1EES1A_EEDaS15_S16_EUlS15_E_NS1_11comp_targetILNS1_3genE10ELNS1_11target_archE1200ELNS1_3gpuE4ELNS1_3repE0EEENS1_30default_config_static_selectorELNS0_4arch9wavefront6targetE0EEEvT1_.has_dyn_sized_stack, 0
	.set _ZN7rocprim17ROCPRIM_400000_NS6detail17trampoline_kernelINS0_14default_configENS1_25partition_config_selectorILNS1_17partition_subalgoE9EiibEEZZNS1_14partition_implILS5_9ELb0ES3_jPKiN6thrust23THRUST_200600_302600_NS17counting_iteratorIiNSB_11use_defaultESD_SD_EEPNS0_10empty_typeENS0_5tupleIJPiSF_EEENSH_IJSI_SG_EEENS0_18inequality_wrapperIN6hipcub16HIPCUB_304000_NS8EqualityEEEPlJSF_EEE10hipError_tPvRmT3_T4_T5_T6_T7_T9_mT8_P12ihipStream_tbDpT10_ENKUlT_T0_E_clISt17integral_constantIbLb1EES1A_EEDaS15_S16_EUlS15_E_NS1_11comp_targetILNS1_3genE10ELNS1_11target_archE1200ELNS1_3gpuE4ELNS1_3repE0EEENS1_30default_config_static_selectorELNS0_4arch9wavefront6targetE0EEEvT1_.has_recursion, 0
	.set _ZN7rocprim17ROCPRIM_400000_NS6detail17trampoline_kernelINS0_14default_configENS1_25partition_config_selectorILNS1_17partition_subalgoE9EiibEEZZNS1_14partition_implILS5_9ELb0ES3_jPKiN6thrust23THRUST_200600_302600_NS17counting_iteratorIiNSB_11use_defaultESD_SD_EEPNS0_10empty_typeENS0_5tupleIJPiSF_EEENSH_IJSI_SG_EEENS0_18inequality_wrapperIN6hipcub16HIPCUB_304000_NS8EqualityEEEPlJSF_EEE10hipError_tPvRmT3_T4_T5_T6_T7_T9_mT8_P12ihipStream_tbDpT10_ENKUlT_T0_E_clISt17integral_constantIbLb1EES1A_EEDaS15_S16_EUlS15_E_NS1_11comp_targetILNS1_3genE10ELNS1_11target_archE1200ELNS1_3gpuE4ELNS1_3repE0EEENS1_30default_config_static_selectorELNS0_4arch9wavefront6targetE0EEEvT1_.has_indirect_call, 0
	.section	.AMDGPU.csdata,"",@progbits
; Kernel info:
; codeLenInByte = 4
; TotalNumSgprs: 0
; NumVgprs: 0
; ScratchSize: 0
; MemoryBound: 0
; FloatMode: 240
; IeeeMode: 1
; LDSByteSize: 0 bytes/workgroup (compile time only)
; SGPRBlocks: 0
; VGPRBlocks: 0
; NumSGPRsForWavesPerEU: 1
; NumVGPRsForWavesPerEU: 1
; Occupancy: 16
; WaveLimiterHint : 0
; COMPUTE_PGM_RSRC2:SCRATCH_EN: 0
; COMPUTE_PGM_RSRC2:USER_SGPR: 2
; COMPUTE_PGM_RSRC2:TRAP_HANDLER: 0
; COMPUTE_PGM_RSRC2:TGID_X_EN: 1
; COMPUTE_PGM_RSRC2:TGID_Y_EN: 0
; COMPUTE_PGM_RSRC2:TGID_Z_EN: 0
; COMPUTE_PGM_RSRC2:TIDIG_COMP_CNT: 0
	.section	.text._ZN7rocprim17ROCPRIM_400000_NS6detail17trampoline_kernelINS0_14default_configENS1_25partition_config_selectorILNS1_17partition_subalgoE9EiibEEZZNS1_14partition_implILS5_9ELb0ES3_jPKiN6thrust23THRUST_200600_302600_NS17counting_iteratorIiNSB_11use_defaultESD_SD_EEPNS0_10empty_typeENS0_5tupleIJPiSF_EEENSH_IJSI_SG_EEENS0_18inequality_wrapperIN6hipcub16HIPCUB_304000_NS8EqualityEEEPlJSF_EEE10hipError_tPvRmT3_T4_T5_T6_T7_T9_mT8_P12ihipStream_tbDpT10_ENKUlT_T0_E_clISt17integral_constantIbLb1EES1A_EEDaS15_S16_EUlS15_E_NS1_11comp_targetILNS1_3genE9ELNS1_11target_archE1100ELNS1_3gpuE3ELNS1_3repE0EEENS1_30default_config_static_selectorELNS0_4arch9wavefront6targetE0EEEvT1_,"axG",@progbits,_ZN7rocprim17ROCPRIM_400000_NS6detail17trampoline_kernelINS0_14default_configENS1_25partition_config_selectorILNS1_17partition_subalgoE9EiibEEZZNS1_14partition_implILS5_9ELb0ES3_jPKiN6thrust23THRUST_200600_302600_NS17counting_iteratorIiNSB_11use_defaultESD_SD_EEPNS0_10empty_typeENS0_5tupleIJPiSF_EEENSH_IJSI_SG_EEENS0_18inequality_wrapperIN6hipcub16HIPCUB_304000_NS8EqualityEEEPlJSF_EEE10hipError_tPvRmT3_T4_T5_T6_T7_T9_mT8_P12ihipStream_tbDpT10_ENKUlT_T0_E_clISt17integral_constantIbLb1EES1A_EEDaS15_S16_EUlS15_E_NS1_11comp_targetILNS1_3genE9ELNS1_11target_archE1100ELNS1_3gpuE3ELNS1_3repE0EEENS1_30default_config_static_selectorELNS0_4arch9wavefront6targetE0EEEvT1_,comdat
	.protected	_ZN7rocprim17ROCPRIM_400000_NS6detail17trampoline_kernelINS0_14default_configENS1_25partition_config_selectorILNS1_17partition_subalgoE9EiibEEZZNS1_14partition_implILS5_9ELb0ES3_jPKiN6thrust23THRUST_200600_302600_NS17counting_iteratorIiNSB_11use_defaultESD_SD_EEPNS0_10empty_typeENS0_5tupleIJPiSF_EEENSH_IJSI_SG_EEENS0_18inequality_wrapperIN6hipcub16HIPCUB_304000_NS8EqualityEEEPlJSF_EEE10hipError_tPvRmT3_T4_T5_T6_T7_T9_mT8_P12ihipStream_tbDpT10_ENKUlT_T0_E_clISt17integral_constantIbLb1EES1A_EEDaS15_S16_EUlS15_E_NS1_11comp_targetILNS1_3genE9ELNS1_11target_archE1100ELNS1_3gpuE3ELNS1_3repE0EEENS1_30default_config_static_selectorELNS0_4arch9wavefront6targetE0EEEvT1_ ; -- Begin function _ZN7rocprim17ROCPRIM_400000_NS6detail17trampoline_kernelINS0_14default_configENS1_25partition_config_selectorILNS1_17partition_subalgoE9EiibEEZZNS1_14partition_implILS5_9ELb0ES3_jPKiN6thrust23THRUST_200600_302600_NS17counting_iteratorIiNSB_11use_defaultESD_SD_EEPNS0_10empty_typeENS0_5tupleIJPiSF_EEENSH_IJSI_SG_EEENS0_18inequality_wrapperIN6hipcub16HIPCUB_304000_NS8EqualityEEEPlJSF_EEE10hipError_tPvRmT3_T4_T5_T6_T7_T9_mT8_P12ihipStream_tbDpT10_ENKUlT_T0_E_clISt17integral_constantIbLb1EES1A_EEDaS15_S16_EUlS15_E_NS1_11comp_targetILNS1_3genE9ELNS1_11target_archE1100ELNS1_3gpuE3ELNS1_3repE0EEENS1_30default_config_static_selectorELNS0_4arch9wavefront6targetE0EEEvT1_
	.globl	_ZN7rocprim17ROCPRIM_400000_NS6detail17trampoline_kernelINS0_14default_configENS1_25partition_config_selectorILNS1_17partition_subalgoE9EiibEEZZNS1_14partition_implILS5_9ELb0ES3_jPKiN6thrust23THRUST_200600_302600_NS17counting_iteratorIiNSB_11use_defaultESD_SD_EEPNS0_10empty_typeENS0_5tupleIJPiSF_EEENSH_IJSI_SG_EEENS0_18inequality_wrapperIN6hipcub16HIPCUB_304000_NS8EqualityEEEPlJSF_EEE10hipError_tPvRmT3_T4_T5_T6_T7_T9_mT8_P12ihipStream_tbDpT10_ENKUlT_T0_E_clISt17integral_constantIbLb1EES1A_EEDaS15_S16_EUlS15_E_NS1_11comp_targetILNS1_3genE9ELNS1_11target_archE1100ELNS1_3gpuE3ELNS1_3repE0EEENS1_30default_config_static_selectorELNS0_4arch9wavefront6targetE0EEEvT1_
	.p2align	8
	.type	_ZN7rocprim17ROCPRIM_400000_NS6detail17trampoline_kernelINS0_14default_configENS1_25partition_config_selectorILNS1_17partition_subalgoE9EiibEEZZNS1_14partition_implILS5_9ELb0ES3_jPKiN6thrust23THRUST_200600_302600_NS17counting_iteratorIiNSB_11use_defaultESD_SD_EEPNS0_10empty_typeENS0_5tupleIJPiSF_EEENSH_IJSI_SG_EEENS0_18inequality_wrapperIN6hipcub16HIPCUB_304000_NS8EqualityEEEPlJSF_EEE10hipError_tPvRmT3_T4_T5_T6_T7_T9_mT8_P12ihipStream_tbDpT10_ENKUlT_T0_E_clISt17integral_constantIbLb1EES1A_EEDaS15_S16_EUlS15_E_NS1_11comp_targetILNS1_3genE9ELNS1_11target_archE1100ELNS1_3gpuE3ELNS1_3repE0EEENS1_30default_config_static_selectorELNS0_4arch9wavefront6targetE0EEEvT1_,@function
_ZN7rocprim17ROCPRIM_400000_NS6detail17trampoline_kernelINS0_14default_configENS1_25partition_config_selectorILNS1_17partition_subalgoE9EiibEEZZNS1_14partition_implILS5_9ELb0ES3_jPKiN6thrust23THRUST_200600_302600_NS17counting_iteratorIiNSB_11use_defaultESD_SD_EEPNS0_10empty_typeENS0_5tupleIJPiSF_EEENSH_IJSI_SG_EEENS0_18inequality_wrapperIN6hipcub16HIPCUB_304000_NS8EqualityEEEPlJSF_EEE10hipError_tPvRmT3_T4_T5_T6_T7_T9_mT8_P12ihipStream_tbDpT10_ENKUlT_T0_E_clISt17integral_constantIbLb1EES1A_EEDaS15_S16_EUlS15_E_NS1_11comp_targetILNS1_3genE9ELNS1_11target_archE1100ELNS1_3gpuE3ELNS1_3repE0EEENS1_30default_config_static_selectorELNS0_4arch9wavefront6targetE0EEEvT1_: ; @_ZN7rocprim17ROCPRIM_400000_NS6detail17trampoline_kernelINS0_14default_configENS1_25partition_config_selectorILNS1_17partition_subalgoE9EiibEEZZNS1_14partition_implILS5_9ELb0ES3_jPKiN6thrust23THRUST_200600_302600_NS17counting_iteratorIiNSB_11use_defaultESD_SD_EEPNS0_10empty_typeENS0_5tupleIJPiSF_EEENSH_IJSI_SG_EEENS0_18inequality_wrapperIN6hipcub16HIPCUB_304000_NS8EqualityEEEPlJSF_EEE10hipError_tPvRmT3_T4_T5_T6_T7_T9_mT8_P12ihipStream_tbDpT10_ENKUlT_T0_E_clISt17integral_constantIbLb1EES1A_EEDaS15_S16_EUlS15_E_NS1_11comp_targetILNS1_3genE9ELNS1_11target_archE1100ELNS1_3gpuE3ELNS1_3repE0EEENS1_30default_config_static_selectorELNS0_4arch9wavefront6targetE0EEEvT1_
; %bb.0:
	.section	.rodata,"a",@progbits
	.p2align	6, 0x0
	.amdhsa_kernel _ZN7rocprim17ROCPRIM_400000_NS6detail17trampoline_kernelINS0_14default_configENS1_25partition_config_selectorILNS1_17partition_subalgoE9EiibEEZZNS1_14partition_implILS5_9ELb0ES3_jPKiN6thrust23THRUST_200600_302600_NS17counting_iteratorIiNSB_11use_defaultESD_SD_EEPNS0_10empty_typeENS0_5tupleIJPiSF_EEENSH_IJSI_SG_EEENS0_18inequality_wrapperIN6hipcub16HIPCUB_304000_NS8EqualityEEEPlJSF_EEE10hipError_tPvRmT3_T4_T5_T6_T7_T9_mT8_P12ihipStream_tbDpT10_ENKUlT_T0_E_clISt17integral_constantIbLb1EES1A_EEDaS15_S16_EUlS15_E_NS1_11comp_targetILNS1_3genE9ELNS1_11target_archE1100ELNS1_3gpuE3ELNS1_3repE0EEENS1_30default_config_static_selectorELNS0_4arch9wavefront6targetE0EEEvT1_
		.amdhsa_group_segment_fixed_size 0
		.amdhsa_private_segment_fixed_size 0
		.amdhsa_kernarg_size 128
		.amdhsa_user_sgpr_count 2
		.amdhsa_user_sgpr_dispatch_ptr 0
		.amdhsa_user_sgpr_queue_ptr 0
		.amdhsa_user_sgpr_kernarg_segment_ptr 1
		.amdhsa_user_sgpr_dispatch_id 0
		.amdhsa_user_sgpr_private_segment_size 0
		.amdhsa_wavefront_size32 1
		.amdhsa_uses_dynamic_stack 0
		.amdhsa_enable_private_segment 0
		.amdhsa_system_sgpr_workgroup_id_x 1
		.amdhsa_system_sgpr_workgroup_id_y 0
		.amdhsa_system_sgpr_workgroup_id_z 0
		.amdhsa_system_sgpr_workgroup_info 0
		.amdhsa_system_vgpr_workitem_id 0
		.amdhsa_next_free_vgpr 1
		.amdhsa_next_free_sgpr 1
		.amdhsa_reserve_vcc 0
		.amdhsa_float_round_mode_32 0
		.amdhsa_float_round_mode_16_64 0
		.amdhsa_float_denorm_mode_32 3
		.amdhsa_float_denorm_mode_16_64 3
		.amdhsa_fp16_overflow 0
		.amdhsa_workgroup_processor_mode 1
		.amdhsa_memory_ordered 1
		.amdhsa_forward_progress 1
		.amdhsa_inst_pref_size 0
		.amdhsa_round_robin_scheduling 0
		.amdhsa_exception_fp_ieee_invalid_op 0
		.amdhsa_exception_fp_denorm_src 0
		.amdhsa_exception_fp_ieee_div_zero 0
		.amdhsa_exception_fp_ieee_overflow 0
		.amdhsa_exception_fp_ieee_underflow 0
		.amdhsa_exception_fp_ieee_inexact 0
		.amdhsa_exception_int_div_zero 0
	.end_amdhsa_kernel
	.section	.text._ZN7rocprim17ROCPRIM_400000_NS6detail17trampoline_kernelINS0_14default_configENS1_25partition_config_selectorILNS1_17partition_subalgoE9EiibEEZZNS1_14partition_implILS5_9ELb0ES3_jPKiN6thrust23THRUST_200600_302600_NS17counting_iteratorIiNSB_11use_defaultESD_SD_EEPNS0_10empty_typeENS0_5tupleIJPiSF_EEENSH_IJSI_SG_EEENS0_18inequality_wrapperIN6hipcub16HIPCUB_304000_NS8EqualityEEEPlJSF_EEE10hipError_tPvRmT3_T4_T5_T6_T7_T9_mT8_P12ihipStream_tbDpT10_ENKUlT_T0_E_clISt17integral_constantIbLb1EES1A_EEDaS15_S16_EUlS15_E_NS1_11comp_targetILNS1_3genE9ELNS1_11target_archE1100ELNS1_3gpuE3ELNS1_3repE0EEENS1_30default_config_static_selectorELNS0_4arch9wavefront6targetE0EEEvT1_,"axG",@progbits,_ZN7rocprim17ROCPRIM_400000_NS6detail17trampoline_kernelINS0_14default_configENS1_25partition_config_selectorILNS1_17partition_subalgoE9EiibEEZZNS1_14partition_implILS5_9ELb0ES3_jPKiN6thrust23THRUST_200600_302600_NS17counting_iteratorIiNSB_11use_defaultESD_SD_EEPNS0_10empty_typeENS0_5tupleIJPiSF_EEENSH_IJSI_SG_EEENS0_18inequality_wrapperIN6hipcub16HIPCUB_304000_NS8EqualityEEEPlJSF_EEE10hipError_tPvRmT3_T4_T5_T6_T7_T9_mT8_P12ihipStream_tbDpT10_ENKUlT_T0_E_clISt17integral_constantIbLb1EES1A_EEDaS15_S16_EUlS15_E_NS1_11comp_targetILNS1_3genE9ELNS1_11target_archE1100ELNS1_3gpuE3ELNS1_3repE0EEENS1_30default_config_static_selectorELNS0_4arch9wavefront6targetE0EEEvT1_,comdat
.Lfunc_end24:
	.size	_ZN7rocprim17ROCPRIM_400000_NS6detail17trampoline_kernelINS0_14default_configENS1_25partition_config_selectorILNS1_17partition_subalgoE9EiibEEZZNS1_14partition_implILS5_9ELb0ES3_jPKiN6thrust23THRUST_200600_302600_NS17counting_iteratorIiNSB_11use_defaultESD_SD_EEPNS0_10empty_typeENS0_5tupleIJPiSF_EEENSH_IJSI_SG_EEENS0_18inequality_wrapperIN6hipcub16HIPCUB_304000_NS8EqualityEEEPlJSF_EEE10hipError_tPvRmT3_T4_T5_T6_T7_T9_mT8_P12ihipStream_tbDpT10_ENKUlT_T0_E_clISt17integral_constantIbLb1EES1A_EEDaS15_S16_EUlS15_E_NS1_11comp_targetILNS1_3genE9ELNS1_11target_archE1100ELNS1_3gpuE3ELNS1_3repE0EEENS1_30default_config_static_selectorELNS0_4arch9wavefront6targetE0EEEvT1_, .Lfunc_end24-_ZN7rocprim17ROCPRIM_400000_NS6detail17trampoline_kernelINS0_14default_configENS1_25partition_config_selectorILNS1_17partition_subalgoE9EiibEEZZNS1_14partition_implILS5_9ELb0ES3_jPKiN6thrust23THRUST_200600_302600_NS17counting_iteratorIiNSB_11use_defaultESD_SD_EEPNS0_10empty_typeENS0_5tupleIJPiSF_EEENSH_IJSI_SG_EEENS0_18inequality_wrapperIN6hipcub16HIPCUB_304000_NS8EqualityEEEPlJSF_EEE10hipError_tPvRmT3_T4_T5_T6_T7_T9_mT8_P12ihipStream_tbDpT10_ENKUlT_T0_E_clISt17integral_constantIbLb1EES1A_EEDaS15_S16_EUlS15_E_NS1_11comp_targetILNS1_3genE9ELNS1_11target_archE1100ELNS1_3gpuE3ELNS1_3repE0EEENS1_30default_config_static_selectorELNS0_4arch9wavefront6targetE0EEEvT1_
                                        ; -- End function
	.set _ZN7rocprim17ROCPRIM_400000_NS6detail17trampoline_kernelINS0_14default_configENS1_25partition_config_selectorILNS1_17partition_subalgoE9EiibEEZZNS1_14partition_implILS5_9ELb0ES3_jPKiN6thrust23THRUST_200600_302600_NS17counting_iteratorIiNSB_11use_defaultESD_SD_EEPNS0_10empty_typeENS0_5tupleIJPiSF_EEENSH_IJSI_SG_EEENS0_18inequality_wrapperIN6hipcub16HIPCUB_304000_NS8EqualityEEEPlJSF_EEE10hipError_tPvRmT3_T4_T5_T6_T7_T9_mT8_P12ihipStream_tbDpT10_ENKUlT_T0_E_clISt17integral_constantIbLb1EES1A_EEDaS15_S16_EUlS15_E_NS1_11comp_targetILNS1_3genE9ELNS1_11target_archE1100ELNS1_3gpuE3ELNS1_3repE0EEENS1_30default_config_static_selectorELNS0_4arch9wavefront6targetE0EEEvT1_.num_vgpr, 0
	.set _ZN7rocprim17ROCPRIM_400000_NS6detail17trampoline_kernelINS0_14default_configENS1_25partition_config_selectorILNS1_17partition_subalgoE9EiibEEZZNS1_14partition_implILS5_9ELb0ES3_jPKiN6thrust23THRUST_200600_302600_NS17counting_iteratorIiNSB_11use_defaultESD_SD_EEPNS0_10empty_typeENS0_5tupleIJPiSF_EEENSH_IJSI_SG_EEENS0_18inequality_wrapperIN6hipcub16HIPCUB_304000_NS8EqualityEEEPlJSF_EEE10hipError_tPvRmT3_T4_T5_T6_T7_T9_mT8_P12ihipStream_tbDpT10_ENKUlT_T0_E_clISt17integral_constantIbLb1EES1A_EEDaS15_S16_EUlS15_E_NS1_11comp_targetILNS1_3genE9ELNS1_11target_archE1100ELNS1_3gpuE3ELNS1_3repE0EEENS1_30default_config_static_selectorELNS0_4arch9wavefront6targetE0EEEvT1_.num_agpr, 0
	.set _ZN7rocprim17ROCPRIM_400000_NS6detail17trampoline_kernelINS0_14default_configENS1_25partition_config_selectorILNS1_17partition_subalgoE9EiibEEZZNS1_14partition_implILS5_9ELb0ES3_jPKiN6thrust23THRUST_200600_302600_NS17counting_iteratorIiNSB_11use_defaultESD_SD_EEPNS0_10empty_typeENS0_5tupleIJPiSF_EEENSH_IJSI_SG_EEENS0_18inequality_wrapperIN6hipcub16HIPCUB_304000_NS8EqualityEEEPlJSF_EEE10hipError_tPvRmT3_T4_T5_T6_T7_T9_mT8_P12ihipStream_tbDpT10_ENKUlT_T0_E_clISt17integral_constantIbLb1EES1A_EEDaS15_S16_EUlS15_E_NS1_11comp_targetILNS1_3genE9ELNS1_11target_archE1100ELNS1_3gpuE3ELNS1_3repE0EEENS1_30default_config_static_selectorELNS0_4arch9wavefront6targetE0EEEvT1_.numbered_sgpr, 0
	.set _ZN7rocprim17ROCPRIM_400000_NS6detail17trampoline_kernelINS0_14default_configENS1_25partition_config_selectorILNS1_17partition_subalgoE9EiibEEZZNS1_14partition_implILS5_9ELb0ES3_jPKiN6thrust23THRUST_200600_302600_NS17counting_iteratorIiNSB_11use_defaultESD_SD_EEPNS0_10empty_typeENS0_5tupleIJPiSF_EEENSH_IJSI_SG_EEENS0_18inequality_wrapperIN6hipcub16HIPCUB_304000_NS8EqualityEEEPlJSF_EEE10hipError_tPvRmT3_T4_T5_T6_T7_T9_mT8_P12ihipStream_tbDpT10_ENKUlT_T0_E_clISt17integral_constantIbLb1EES1A_EEDaS15_S16_EUlS15_E_NS1_11comp_targetILNS1_3genE9ELNS1_11target_archE1100ELNS1_3gpuE3ELNS1_3repE0EEENS1_30default_config_static_selectorELNS0_4arch9wavefront6targetE0EEEvT1_.num_named_barrier, 0
	.set _ZN7rocprim17ROCPRIM_400000_NS6detail17trampoline_kernelINS0_14default_configENS1_25partition_config_selectorILNS1_17partition_subalgoE9EiibEEZZNS1_14partition_implILS5_9ELb0ES3_jPKiN6thrust23THRUST_200600_302600_NS17counting_iteratorIiNSB_11use_defaultESD_SD_EEPNS0_10empty_typeENS0_5tupleIJPiSF_EEENSH_IJSI_SG_EEENS0_18inequality_wrapperIN6hipcub16HIPCUB_304000_NS8EqualityEEEPlJSF_EEE10hipError_tPvRmT3_T4_T5_T6_T7_T9_mT8_P12ihipStream_tbDpT10_ENKUlT_T0_E_clISt17integral_constantIbLb1EES1A_EEDaS15_S16_EUlS15_E_NS1_11comp_targetILNS1_3genE9ELNS1_11target_archE1100ELNS1_3gpuE3ELNS1_3repE0EEENS1_30default_config_static_selectorELNS0_4arch9wavefront6targetE0EEEvT1_.private_seg_size, 0
	.set _ZN7rocprim17ROCPRIM_400000_NS6detail17trampoline_kernelINS0_14default_configENS1_25partition_config_selectorILNS1_17partition_subalgoE9EiibEEZZNS1_14partition_implILS5_9ELb0ES3_jPKiN6thrust23THRUST_200600_302600_NS17counting_iteratorIiNSB_11use_defaultESD_SD_EEPNS0_10empty_typeENS0_5tupleIJPiSF_EEENSH_IJSI_SG_EEENS0_18inequality_wrapperIN6hipcub16HIPCUB_304000_NS8EqualityEEEPlJSF_EEE10hipError_tPvRmT3_T4_T5_T6_T7_T9_mT8_P12ihipStream_tbDpT10_ENKUlT_T0_E_clISt17integral_constantIbLb1EES1A_EEDaS15_S16_EUlS15_E_NS1_11comp_targetILNS1_3genE9ELNS1_11target_archE1100ELNS1_3gpuE3ELNS1_3repE0EEENS1_30default_config_static_selectorELNS0_4arch9wavefront6targetE0EEEvT1_.uses_vcc, 0
	.set _ZN7rocprim17ROCPRIM_400000_NS6detail17trampoline_kernelINS0_14default_configENS1_25partition_config_selectorILNS1_17partition_subalgoE9EiibEEZZNS1_14partition_implILS5_9ELb0ES3_jPKiN6thrust23THRUST_200600_302600_NS17counting_iteratorIiNSB_11use_defaultESD_SD_EEPNS0_10empty_typeENS0_5tupleIJPiSF_EEENSH_IJSI_SG_EEENS0_18inequality_wrapperIN6hipcub16HIPCUB_304000_NS8EqualityEEEPlJSF_EEE10hipError_tPvRmT3_T4_T5_T6_T7_T9_mT8_P12ihipStream_tbDpT10_ENKUlT_T0_E_clISt17integral_constantIbLb1EES1A_EEDaS15_S16_EUlS15_E_NS1_11comp_targetILNS1_3genE9ELNS1_11target_archE1100ELNS1_3gpuE3ELNS1_3repE0EEENS1_30default_config_static_selectorELNS0_4arch9wavefront6targetE0EEEvT1_.uses_flat_scratch, 0
	.set _ZN7rocprim17ROCPRIM_400000_NS6detail17trampoline_kernelINS0_14default_configENS1_25partition_config_selectorILNS1_17partition_subalgoE9EiibEEZZNS1_14partition_implILS5_9ELb0ES3_jPKiN6thrust23THRUST_200600_302600_NS17counting_iteratorIiNSB_11use_defaultESD_SD_EEPNS0_10empty_typeENS0_5tupleIJPiSF_EEENSH_IJSI_SG_EEENS0_18inequality_wrapperIN6hipcub16HIPCUB_304000_NS8EqualityEEEPlJSF_EEE10hipError_tPvRmT3_T4_T5_T6_T7_T9_mT8_P12ihipStream_tbDpT10_ENKUlT_T0_E_clISt17integral_constantIbLb1EES1A_EEDaS15_S16_EUlS15_E_NS1_11comp_targetILNS1_3genE9ELNS1_11target_archE1100ELNS1_3gpuE3ELNS1_3repE0EEENS1_30default_config_static_selectorELNS0_4arch9wavefront6targetE0EEEvT1_.has_dyn_sized_stack, 0
	.set _ZN7rocprim17ROCPRIM_400000_NS6detail17trampoline_kernelINS0_14default_configENS1_25partition_config_selectorILNS1_17partition_subalgoE9EiibEEZZNS1_14partition_implILS5_9ELb0ES3_jPKiN6thrust23THRUST_200600_302600_NS17counting_iteratorIiNSB_11use_defaultESD_SD_EEPNS0_10empty_typeENS0_5tupleIJPiSF_EEENSH_IJSI_SG_EEENS0_18inequality_wrapperIN6hipcub16HIPCUB_304000_NS8EqualityEEEPlJSF_EEE10hipError_tPvRmT3_T4_T5_T6_T7_T9_mT8_P12ihipStream_tbDpT10_ENKUlT_T0_E_clISt17integral_constantIbLb1EES1A_EEDaS15_S16_EUlS15_E_NS1_11comp_targetILNS1_3genE9ELNS1_11target_archE1100ELNS1_3gpuE3ELNS1_3repE0EEENS1_30default_config_static_selectorELNS0_4arch9wavefront6targetE0EEEvT1_.has_recursion, 0
	.set _ZN7rocprim17ROCPRIM_400000_NS6detail17trampoline_kernelINS0_14default_configENS1_25partition_config_selectorILNS1_17partition_subalgoE9EiibEEZZNS1_14partition_implILS5_9ELb0ES3_jPKiN6thrust23THRUST_200600_302600_NS17counting_iteratorIiNSB_11use_defaultESD_SD_EEPNS0_10empty_typeENS0_5tupleIJPiSF_EEENSH_IJSI_SG_EEENS0_18inequality_wrapperIN6hipcub16HIPCUB_304000_NS8EqualityEEEPlJSF_EEE10hipError_tPvRmT3_T4_T5_T6_T7_T9_mT8_P12ihipStream_tbDpT10_ENKUlT_T0_E_clISt17integral_constantIbLb1EES1A_EEDaS15_S16_EUlS15_E_NS1_11comp_targetILNS1_3genE9ELNS1_11target_archE1100ELNS1_3gpuE3ELNS1_3repE0EEENS1_30default_config_static_selectorELNS0_4arch9wavefront6targetE0EEEvT1_.has_indirect_call, 0
	.section	.AMDGPU.csdata,"",@progbits
; Kernel info:
; codeLenInByte = 0
; TotalNumSgprs: 0
; NumVgprs: 0
; ScratchSize: 0
; MemoryBound: 0
; FloatMode: 240
; IeeeMode: 1
; LDSByteSize: 0 bytes/workgroup (compile time only)
; SGPRBlocks: 0
; VGPRBlocks: 0
; NumSGPRsForWavesPerEU: 1
; NumVGPRsForWavesPerEU: 1
; Occupancy: 16
; WaveLimiterHint : 0
; COMPUTE_PGM_RSRC2:SCRATCH_EN: 0
; COMPUTE_PGM_RSRC2:USER_SGPR: 2
; COMPUTE_PGM_RSRC2:TRAP_HANDLER: 0
; COMPUTE_PGM_RSRC2:TGID_X_EN: 1
; COMPUTE_PGM_RSRC2:TGID_Y_EN: 0
; COMPUTE_PGM_RSRC2:TGID_Z_EN: 0
; COMPUTE_PGM_RSRC2:TIDIG_COMP_CNT: 0
	.section	.text._ZN7rocprim17ROCPRIM_400000_NS6detail17trampoline_kernelINS0_14default_configENS1_25partition_config_selectorILNS1_17partition_subalgoE9EiibEEZZNS1_14partition_implILS5_9ELb0ES3_jPKiN6thrust23THRUST_200600_302600_NS17counting_iteratorIiNSB_11use_defaultESD_SD_EEPNS0_10empty_typeENS0_5tupleIJPiSF_EEENSH_IJSI_SG_EEENS0_18inequality_wrapperIN6hipcub16HIPCUB_304000_NS8EqualityEEEPlJSF_EEE10hipError_tPvRmT3_T4_T5_T6_T7_T9_mT8_P12ihipStream_tbDpT10_ENKUlT_T0_E_clISt17integral_constantIbLb1EES1A_EEDaS15_S16_EUlS15_E_NS1_11comp_targetILNS1_3genE8ELNS1_11target_archE1030ELNS1_3gpuE2ELNS1_3repE0EEENS1_30default_config_static_selectorELNS0_4arch9wavefront6targetE0EEEvT1_,"axG",@progbits,_ZN7rocprim17ROCPRIM_400000_NS6detail17trampoline_kernelINS0_14default_configENS1_25partition_config_selectorILNS1_17partition_subalgoE9EiibEEZZNS1_14partition_implILS5_9ELb0ES3_jPKiN6thrust23THRUST_200600_302600_NS17counting_iteratorIiNSB_11use_defaultESD_SD_EEPNS0_10empty_typeENS0_5tupleIJPiSF_EEENSH_IJSI_SG_EEENS0_18inequality_wrapperIN6hipcub16HIPCUB_304000_NS8EqualityEEEPlJSF_EEE10hipError_tPvRmT3_T4_T5_T6_T7_T9_mT8_P12ihipStream_tbDpT10_ENKUlT_T0_E_clISt17integral_constantIbLb1EES1A_EEDaS15_S16_EUlS15_E_NS1_11comp_targetILNS1_3genE8ELNS1_11target_archE1030ELNS1_3gpuE2ELNS1_3repE0EEENS1_30default_config_static_selectorELNS0_4arch9wavefront6targetE0EEEvT1_,comdat
	.protected	_ZN7rocprim17ROCPRIM_400000_NS6detail17trampoline_kernelINS0_14default_configENS1_25partition_config_selectorILNS1_17partition_subalgoE9EiibEEZZNS1_14partition_implILS5_9ELb0ES3_jPKiN6thrust23THRUST_200600_302600_NS17counting_iteratorIiNSB_11use_defaultESD_SD_EEPNS0_10empty_typeENS0_5tupleIJPiSF_EEENSH_IJSI_SG_EEENS0_18inequality_wrapperIN6hipcub16HIPCUB_304000_NS8EqualityEEEPlJSF_EEE10hipError_tPvRmT3_T4_T5_T6_T7_T9_mT8_P12ihipStream_tbDpT10_ENKUlT_T0_E_clISt17integral_constantIbLb1EES1A_EEDaS15_S16_EUlS15_E_NS1_11comp_targetILNS1_3genE8ELNS1_11target_archE1030ELNS1_3gpuE2ELNS1_3repE0EEENS1_30default_config_static_selectorELNS0_4arch9wavefront6targetE0EEEvT1_ ; -- Begin function _ZN7rocprim17ROCPRIM_400000_NS6detail17trampoline_kernelINS0_14default_configENS1_25partition_config_selectorILNS1_17partition_subalgoE9EiibEEZZNS1_14partition_implILS5_9ELb0ES3_jPKiN6thrust23THRUST_200600_302600_NS17counting_iteratorIiNSB_11use_defaultESD_SD_EEPNS0_10empty_typeENS0_5tupleIJPiSF_EEENSH_IJSI_SG_EEENS0_18inequality_wrapperIN6hipcub16HIPCUB_304000_NS8EqualityEEEPlJSF_EEE10hipError_tPvRmT3_T4_T5_T6_T7_T9_mT8_P12ihipStream_tbDpT10_ENKUlT_T0_E_clISt17integral_constantIbLb1EES1A_EEDaS15_S16_EUlS15_E_NS1_11comp_targetILNS1_3genE8ELNS1_11target_archE1030ELNS1_3gpuE2ELNS1_3repE0EEENS1_30default_config_static_selectorELNS0_4arch9wavefront6targetE0EEEvT1_
	.globl	_ZN7rocprim17ROCPRIM_400000_NS6detail17trampoline_kernelINS0_14default_configENS1_25partition_config_selectorILNS1_17partition_subalgoE9EiibEEZZNS1_14partition_implILS5_9ELb0ES3_jPKiN6thrust23THRUST_200600_302600_NS17counting_iteratorIiNSB_11use_defaultESD_SD_EEPNS0_10empty_typeENS0_5tupleIJPiSF_EEENSH_IJSI_SG_EEENS0_18inequality_wrapperIN6hipcub16HIPCUB_304000_NS8EqualityEEEPlJSF_EEE10hipError_tPvRmT3_T4_T5_T6_T7_T9_mT8_P12ihipStream_tbDpT10_ENKUlT_T0_E_clISt17integral_constantIbLb1EES1A_EEDaS15_S16_EUlS15_E_NS1_11comp_targetILNS1_3genE8ELNS1_11target_archE1030ELNS1_3gpuE2ELNS1_3repE0EEENS1_30default_config_static_selectorELNS0_4arch9wavefront6targetE0EEEvT1_
	.p2align	8
	.type	_ZN7rocprim17ROCPRIM_400000_NS6detail17trampoline_kernelINS0_14default_configENS1_25partition_config_selectorILNS1_17partition_subalgoE9EiibEEZZNS1_14partition_implILS5_9ELb0ES3_jPKiN6thrust23THRUST_200600_302600_NS17counting_iteratorIiNSB_11use_defaultESD_SD_EEPNS0_10empty_typeENS0_5tupleIJPiSF_EEENSH_IJSI_SG_EEENS0_18inequality_wrapperIN6hipcub16HIPCUB_304000_NS8EqualityEEEPlJSF_EEE10hipError_tPvRmT3_T4_T5_T6_T7_T9_mT8_P12ihipStream_tbDpT10_ENKUlT_T0_E_clISt17integral_constantIbLb1EES1A_EEDaS15_S16_EUlS15_E_NS1_11comp_targetILNS1_3genE8ELNS1_11target_archE1030ELNS1_3gpuE2ELNS1_3repE0EEENS1_30default_config_static_selectorELNS0_4arch9wavefront6targetE0EEEvT1_,@function
_ZN7rocprim17ROCPRIM_400000_NS6detail17trampoline_kernelINS0_14default_configENS1_25partition_config_selectorILNS1_17partition_subalgoE9EiibEEZZNS1_14partition_implILS5_9ELb0ES3_jPKiN6thrust23THRUST_200600_302600_NS17counting_iteratorIiNSB_11use_defaultESD_SD_EEPNS0_10empty_typeENS0_5tupleIJPiSF_EEENSH_IJSI_SG_EEENS0_18inequality_wrapperIN6hipcub16HIPCUB_304000_NS8EqualityEEEPlJSF_EEE10hipError_tPvRmT3_T4_T5_T6_T7_T9_mT8_P12ihipStream_tbDpT10_ENKUlT_T0_E_clISt17integral_constantIbLb1EES1A_EEDaS15_S16_EUlS15_E_NS1_11comp_targetILNS1_3genE8ELNS1_11target_archE1030ELNS1_3gpuE2ELNS1_3repE0EEENS1_30default_config_static_selectorELNS0_4arch9wavefront6targetE0EEEvT1_: ; @_ZN7rocprim17ROCPRIM_400000_NS6detail17trampoline_kernelINS0_14default_configENS1_25partition_config_selectorILNS1_17partition_subalgoE9EiibEEZZNS1_14partition_implILS5_9ELb0ES3_jPKiN6thrust23THRUST_200600_302600_NS17counting_iteratorIiNSB_11use_defaultESD_SD_EEPNS0_10empty_typeENS0_5tupleIJPiSF_EEENSH_IJSI_SG_EEENS0_18inequality_wrapperIN6hipcub16HIPCUB_304000_NS8EqualityEEEPlJSF_EEE10hipError_tPvRmT3_T4_T5_T6_T7_T9_mT8_P12ihipStream_tbDpT10_ENKUlT_T0_E_clISt17integral_constantIbLb1EES1A_EEDaS15_S16_EUlS15_E_NS1_11comp_targetILNS1_3genE8ELNS1_11target_archE1030ELNS1_3gpuE2ELNS1_3repE0EEENS1_30default_config_static_selectorELNS0_4arch9wavefront6targetE0EEEvT1_
; %bb.0:
	.section	.rodata,"a",@progbits
	.p2align	6, 0x0
	.amdhsa_kernel _ZN7rocprim17ROCPRIM_400000_NS6detail17trampoline_kernelINS0_14default_configENS1_25partition_config_selectorILNS1_17partition_subalgoE9EiibEEZZNS1_14partition_implILS5_9ELb0ES3_jPKiN6thrust23THRUST_200600_302600_NS17counting_iteratorIiNSB_11use_defaultESD_SD_EEPNS0_10empty_typeENS0_5tupleIJPiSF_EEENSH_IJSI_SG_EEENS0_18inequality_wrapperIN6hipcub16HIPCUB_304000_NS8EqualityEEEPlJSF_EEE10hipError_tPvRmT3_T4_T5_T6_T7_T9_mT8_P12ihipStream_tbDpT10_ENKUlT_T0_E_clISt17integral_constantIbLb1EES1A_EEDaS15_S16_EUlS15_E_NS1_11comp_targetILNS1_3genE8ELNS1_11target_archE1030ELNS1_3gpuE2ELNS1_3repE0EEENS1_30default_config_static_selectorELNS0_4arch9wavefront6targetE0EEEvT1_
		.amdhsa_group_segment_fixed_size 0
		.amdhsa_private_segment_fixed_size 0
		.amdhsa_kernarg_size 128
		.amdhsa_user_sgpr_count 2
		.amdhsa_user_sgpr_dispatch_ptr 0
		.amdhsa_user_sgpr_queue_ptr 0
		.amdhsa_user_sgpr_kernarg_segment_ptr 1
		.amdhsa_user_sgpr_dispatch_id 0
		.amdhsa_user_sgpr_private_segment_size 0
		.amdhsa_wavefront_size32 1
		.amdhsa_uses_dynamic_stack 0
		.amdhsa_enable_private_segment 0
		.amdhsa_system_sgpr_workgroup_id_x 1
		.amdhsa_system_sgpr_workgroup_id_y 0
		.amdhsa_system_sgpr_workgroup_id_z 0
		.amdhsa_system_sgpr_workgroup_info 0
		.amdhsa_system_vgpr_workitem_id 0
		.amdhsa_next_free_vgpr 1
		.amdhsa_next_free_sgpr 1
		.amdhsa_reserve_vcc 0
		.amdhsa_float_round_mode_32 0
		.amdhsa_float_round_mode_16_64 0
		.amdhsa_float_denorm_mode_32 3
		.amdhsa_float_denorm_mode_16_64 3
		.amdhsa_fp16_overflow 0
		.amdhsa_workgroup_processor_mode 1
		.amdhsa_memory_ordered 1
		.amdhsa_forward_progress 1
		.amdhsa_inst_pref_size 0
		.amdhsa_round_robin_scheduling 0
		.amdhsa_exception_fp_ieee_invalid_op 0
		.amdhsa_exception_fp_denorm_src 0
		.amdhsa_exception_fp_ieee_div_zero 0
		.amdhsa_exception_fp_ieee_overflow 0
		.amdhsa_exception_fp_ieee_underflow 0
		.amdhsa_exception_fp_ieee_inexact 0
		.amdhsa_exception_int_div_zero 0
	.end_amdhsa_kernel
	.section	.text._ZN7rocprim17ROCPRIM_400000_NS6detail17trampoline_kernelINS0_14default_configENS1_25partition_config_selectorILNS1_17partition_subalgoE9EiibEEZZNS1_14partition_implILS5_9ELb0ES3_jPKiN6thrust23THRUST_200600_302600_NS17counting_iteratorIiNSB_11use_defaultESD_SD_EEPNS0_10empty_typeENS0_5tupleIJPiSF_EEENSH_IJSI_SG_EEENS0_18inequality_wrapperIN6hipcub16HIPCUB_304000_NS8EqualityEEEPlJSF_EEE10hipError_tPvRmT3_T4_T5_T6_T7_T9_mT8_P12ihipStream_tbDpT10_ENKUlT_T0_E_clISt17integral_constantIbLb1EES1A_EEDaS15_S16_EUlS15_E_NS1_11comp_targetILNS1_3genE8ELNS1_11target_archE1030ELNS1_3gpuE2ELNS1_3repE0EEENS1_30default_config_static_selectorELNS0_4arch9wavefront6targetE0EEEvT1_,"axG",@progbits,_ZN7rocprim17ROCPRIM_400000_NS6detail17trampoline_kernelINS0_14default_configENS1_25partition_config_selectorILNS1_17partition_subalgoE9EiibEEZZNS1_14partition_implILS5_9ELb0ES3_jPKiN6thrust23THRUST_200600_302600_NS17counting_iteratorIiNSB_11use_defaultESD_SD_EEPNS0_10empty_typeENS0_5tupleIJPiSF_EEENSH_IJSI_SG_EEENS0_18inequality_wrapperIN6hipcub16HIPCUB_304000_NS8EqualityEEEPlJSF_EEE10hipError_tPvRmT3_T4_T5_T6_T7_T9_mT8_P12ihipStream_tbDpT10_ENKUlT_T0_E_clISt17integral_constantIbLb1EES1A_EEDaS15_S16_EUlS15_E_NS1_11comp_targetILNS1_3genE8ELNS1_11target_archE1030ELNS1_3gpuE2ELNS1_3repE0EEENS1_30default_config_static_selectorELNS0_4arch9wavefront6targetE0EEEvT1_,comdat
.Lfunc_end25:
	.size	_ZN7rocprim17ROCPRIM_400000_NS6detail17trampoline_kernelINS0_14default_configENS1_25partition_config_selectorILNS1_17partition_subalgoE9EiibEEZZNS1_14partition_implILS5_9ELb0ES3_jPKiN6thrust23THRUST_200600_302600_NS17counting_iteratorIiNSB_11use_defaultESD_SD_EEPNS0_10empty_typeENS0_5tupleIJPiSF_EEENSH_IJSI_SG_EEENS0_18inequality_wrapperIN6hipcub16HIPCUB_304000_NS8EqualityEEEPlJSF_EEE10hipError_tPvRmT3_T4_T5_T6_T7_T9_mT8_P12ihipStream_tbDpT10_ENKUlT_T0_E_clISt17integral_constantIbLb1EES1A_EEDaS15_S16_EUlS15_E_NS1_11comp_targetILNS1_3genE8ELNS1_11target_archE1030ELNS1_3gpuE2ELNS1_3repE0EEENS1_30default_config_static_selectorELNS0_4arch9wavefront6targetE0EEEvT1_, .Lfunc_end25-_ZN7rocprim17ROCPRIM_400000_NS6detail17trampoline_kernelINS0_14default_configENS1_25partition_config_selectorILNS1_17partition_subalgoE9EiibEEZZNS1_14partition_implILS5_9ELb0ES3_jPKiN6thrust23THRUST_200600_302600_NS17counting_iteratorIiNSB_11use_defaultESD_SD_EEPNS0_10empty_typeENS0_5tupleIJPiSF_EEENSH_IJSI_SG_EEENS0_18inequality_wrapperIN6hipcub16HIPCUB_304000_NS8EqualityEEEPlJSF_EEE10hipError_tPvRmT3_T4_T5_T6_T7_T9_mT8_P12ihipStream_tbDpT10_ENKUlT_T0_E_clISt17integral_constantIbLb1EES1A_EEDaS15_S16_EUlS15_E_NS1_11comp_targetILNS1_3genE8ELNS1_11target_archE1030ELNS1_3gpuE2ELNS1_3repE0EEENS1_30default_config_static_selectorELNS0_4arch9wavefront6targetE0EEEvT1_
                                        ; -- End function
	.set _ZN7rocprim17ROCPRIM_400000_NS6detail17trampoline_kernelINS0_14default_configENS1_25partition_config_selectorILNS1_17partition_subalgoE9EiibEEZZNS1_14partition_implILS5_9ELb0ES3_jPKiN6thrust23THRUST_200600_302600_NS17counting_iteratorIiNSB_11use_defaultESD_SD_EEPNS0_10empty_typeENS0_5tupleIJPiSF_EEENSH_IJSI_SG_EEENS0_18inequality_wrapperIN6hipcub16HIPCUB_304000_NS8EqualityEEEPlJSF_EEE10hipError_tPvRmT3_T4_T5_T6_T7_T9_mT8_P12ihipStream_tbDpT10_ENKUlT_T0_E_clISt17integral_constantIbLb1EES1A_EEDaS15_S16_EUlS15_E_NS1_11comp_targetILNS1_3genE8ELNS1_11target_archE1030ELNS1_3gpuE2ELNS1_3repE0EEENS1_30default_config_static_selectorELNS0_4arch9wavefront6targetE0EEEvT1_.num_vgpr, 0
	.set _ZN7rocprim17ROCPRIM_400000_NS6detail17trampoline_kernelINS0_14default_configENS1_25partition_config_selectorILNS1_17partition_subalgoE9EiibEEZZNS1_14partition_implILS5_9ELb0ES3_jPKiN6thrust23THRUST_200600_302600_NS17counting_iteratorIiNSB_11use_defaultESD_SD_EEPNS0_10empty_typeENS0_5tupleIJPiSF_EEENSH_IJSI_SG_EEENS0_18inequality_wrapperIN6hipcub16HIPCUB_304000_NS8EqualityEEEPlJSF_EEE10hipError_tPvRmT3_T4_T5_T6_T7_T9_mT8_P12ihipStream_tbDpT10_ENKUlT_T0_E_clISt17integral_constantIbLb1EES1A_EEDaS15_S16_EUlS15_E_NS1_11comp_targetILNS1_3genE8ELNS1_11target_archE1030ELNS1_3gpuE2ELNS1_3repE0EEENS1_30default_config_static_selectorELNS0_4arch9wavefront6targetE0EEEvT1_.num_agpr, 0
	.set _ZN7rocprim17ROCPRIM_400000_NS6detail17trampoline_kernelINS0_14default_configENS1_25partition_config_selectorILNS1_17partition_subalgoE9EiibEEZZNS1_14partition_implILS5_9ELb0ES3_jPKiN6thrust23THRUST_200600_302600_NS17counting_iteratorIiNSB_11use_defaultESD_SD_EEPNS0_10empty_typeENS0_5tupleIJPiSF_EEENSH_IJSI_SG_EEENS0_18inequality_wrapperIN6hipcub16HIPCUB_304000_NS8EqualityEEEPlJSF_EEE10hipError_tPvRmT3_T4_T5_T6_T7_T9_mT8_P12ihipStream_tbDpT10_ENKUlT_T0_E_clISt17integral_constantIbLb1EES1A_EEDaS15_S16_EUlS15_E_NS1_11comp_targetILNS1_3genE8ELNS1_11target_archE1030ELNS1_3gpuE2ELNS1_3repE0EEENS1_30default_config_static_selectorELNS0_4arch9wavefront6targetE0EEEvT1_.numbered_sgpr, 0
	.set _ZN7rocprim17ROCPRIM_400000_NS6detail17trampoline_kernelINS0_14default_configENS1_25partition_config_selectorILNS1_17partition_subalgoE9EiibEEZZNS1_14partition_implILS5_9ELb0ES3_jPKiN6thrust23THRUST_200600_302600_NS17counting_iteratorIiNSB_11use_defaultESD_SD_EEPNS0_10empty_typeENS0_5tupleIJPiSF_EEENSH_IJSI_SG_EEENS0_18inequality_wrapperIN6hipcub16HIPCUB_304000_NS8EqualityEEEPlJSF_EEE10hipError_tPvRmT3_T4_T5_T6_T7_T9_mT8_P12ihipStream_tbDpT10_ENKUlT_T0_E_clISt17integral_constantIbLb1EES1A_EEDaS15_S16_EUlS15_E_NS1_11comp_targetILNS1_3genE8ELNS1_11target_archE1030ELNS1_3gpuE2ELNS1_3repE0EEENS1_30default_config_static_selectorELNS0_4arch9wavefront6targetE0EEEvT1_.num_named_barrier, 0
	.set _ZN7rocprim17ROCPRIM_400000_NS6detail17trampoline_kernelINS0_14default_configENS1_25partition_config_selectorILNS1_17partition_subalgoE9EiibEEZZNS1_14partition_implILS5_9ELb0ES3_jPKiN6thrust23THRUST_200600_302600_NS17counting_iteratorIiNSB_11use_defaultESD_SD_EEPNS0_10empty_typeENS0_5tupleIJPiSF_EEENSH_IJSI_SG_EEENS0_18inequality_wrapperIN6hipcub16HIPCUB_304000_NS8EqualityEEEPlJSF_EEE10hipError_tPvRmT3_T4_T5_T6_T7_T9_mT8_P12ihipStream_tbDpT10_ENKUlT_T0_E_clISt17integral_constantIbLb1EES1A_EEDaS15_S16_EUlS15_E_NS1_11comp_targetILNS1_3genE8ELNS1_11target_archE1030ELNS1_3gpuE2ELNS1_3repE0EEENS1_30default_config_static_selectorELNS0_4arch9wavefront6targetE0EEEvT1_.private_seg_size, 0
	.set _ZN7rocprim17ROCPRIM_400000_NS6detail17trampoline_kernelINS0_14default_configENS1_25partition_config_selectorILNS1_17partition_subalgoE9EiibEEZZNS1_14partition_implILS5_9ELb0ES3_jPKiN6thrust23THRUST_200600_302600_NS17counting_iteratorIiNSB_11use_defaultESD_SD_EEPNS0_10empty_typeENS0_5tupleIJPiSF_EEENSH_IJSI_SG_EEENS0_18inequality_wrapperIN6hipcub16HIPCUB_304000_NS8EqualityEEEPlJSF_EEE10hipError_tPvRmT3_T4_T5_T6_T7_T9_mT8_P12ihipStream_tbDpT10_ENKUlT_T0_E_clISt17integral_constantIbLb1EES1A_EEDaS15_S16_EUlS15_E_NS1_11comp_targetILNS1_3genE8ELNS1_11target_archE1030ELNS1_3gpuE2ELNS1_3repE0EEENS1_30default_config_static_selectorELNS0_4arch9wavefront6targetE0EEEvT1_.uses_vcc, 0
	.set _ZN7rocprim17ROCPRIM_400000_NS6detail17trampoline_kernelINS0_14default_configENS1_25partition_config_selectorILNS1_17partition_subalgoE9EiibEEZZNS1_14partition_implILS5_9ELb0ES3_jPKiN6thrust23THRUST_200600_302600_NS17counting_iteratorIiNSB_11use_defaultESD_SD_EEPNS0_10empty_typeENS0_5tupleIJPiSF_EEENSH_IJSI_SG_EEENS0_18inequality_wrapperIN6hipcub16HIPCUB_304000_NS8EqualityEEEPlJSF_EEE10hipError_tPvRmT3_T4_T5_T6_T7_T9_mT8_P12ihipStream_tbDpT10_ENKUlT_T0_E_clISt17integral_constantIbLb1EES1A_EEDaS15_S16_EUlS15_E_NS1_11comp_targetILNS1_3genE8ELNS1_11target_archE1030ELNS1_3gpuE2ELNS1_3repE0EEENS1_30default_config_static_selectorELNS0_4arch9wavefront6targetE0EEEvT1_.uses_flat_scratch, 0
	.set _ZN7rocprim17ROCPRIM_400000_NS6detail17trampoline_kernelINS0_14default_configENS1_25partition_config_selectorILNS1_17partition_subalgoE9EiibEEZZNS1_14partition_implILS5_9ELb0ES3_jPKiN6thrust23THRUST_200600_302600_NS17counting_iteratorIiNSB_11use_defaultESD_SD_EEPNS0_10empty_typeENS0_5tupleIJPiSF_EEENSH_IJSI_SG_EEENS0_18inequality_wrapperIN6hipcub16HIPCUB_304000_NS8EqualityEEEPlJSF_EEE10hipError_tPvRmT3_T4_T5_T6_T7_T9_mT8_P12ihipStream_tbDpT10_ENKUlT_T0_E_clISt17integral_constantIbLb1EES1A_EEDaS15_S16_EUlS15_E_NS1_11comp_targetILNS1_3genE8ELNS1_11target_archE1030ELNS1_3gpuE2ELNS1_3repE0EEENS1_30default_config_static_selectorELNS0_4arch9wavefront6targetE0EEEvT1_.has_dyn_sized_stack, 0
	.set _ZN7rocprim17ROCPRIM_400000_NS6detail17trampoline_kernelINS0_14default_configENS1_25partition_config_selectorILNS1_17partition_subalgoE9EiibEEZZNS1_14partition_implILS5_9ELb0ES3_jPKiN6thrust23THRUST_200600_302600_NS17counting_iteratorIiNSB_11use_defaultESD_SD_EEPNS0_10empty_typeENS0_5tupleIJPiSF_EEENSH_IJSI_SG_EEENS0_18inequality_wrapperIN6hipcub16HIPCUB_304000_NS8EqualityEEEPlJSF_EEE10hipError_tPvRmT3_T4_T5_T6_T7_T9_mT8_P12ihipStream_tbDpT10_ENKUlT_T0_E_clISt17integral_constantIbLb1EES1A_EEDaS15_S16_EUlS15_E_NS1_11comp_targetILNS1_3genE8ELNS1_11target_archE1030ELNS1_3gpuE2ELNS1_3repE0EEENS1_30default_config_static_selectorELNS0_4arch9wavefront6targetE0EEEvT1_.has_recursion, 0
	.set _ZN7rocprim17ROCPRIM_400000_NS6detail17trampoline_kernelINS0_14default_configENS1_25partition_config_selectorILNS1_17partition_subalgoE9EiibEEZZNS1_14partition_implILS5_9ELb0ES3_jPKiN6thrust23THRUST_200600_302600_NS17counting_iteratorIiNSB_11use_defaultESD_SD_EEPNS0_10empty_typeENS0_5tupleIJPiSF_EEENSH_IJSI_SG_EEENS0_18inequality_wrapperIN6hipcub16HIPCUB_304000_NS8EqualityEEEPlJSF_EEE10hipError_tPvRmT3_T4_T5_T6_T7_T9_mT8_P12ihipStream_tbDpT10_ENKUlT_T0_E_clISt17integral_constantIbLb1EES1A_EEDaS15_S16_EUlS15_E_NS1_11comp_targetILNS1_3genE8ELNS1_11target_archE1030ELNS1_3gpuE2ELNS1_3repE0EEENS1_30default_config_static_selectorELNS0_4arch9wavefront6targetE0EEEvT1_.has_indirect_call, 0
	.section	.AMDGPU.csdata,"",@progbits
; Kernel info:
; codeLenInByte = 0
; TotalNumSgprs: 0
; NumVgprs: 0
; ScratchSize: 0
; MemoryBound: 0
; FloatMode: 240
; IeeeMode: 1
; LDSByteSize: 0 bytes/workgroup (compile time only)
; SGPRBlocks: 0
; VGPRBlocks: 0
; NumSGPRsForWavesPerEU: 1
; NumVGPRsForWavesPerEU: 1
; Occupancy: 16
; WaveLimiterHint : 0
; COMPUTE_PGM_RSRC2:SCRATCH_EN: 0
; COMPUTE_PGM_RSRC2:USER_SGPR: 2
; COMPUTE_PGM_RSRC2:TRAP_HANDLER: 0
; COMPUTE_PGM_RSRC2:TGID_X_EN: 1
; COMPUTE_PGM_RSRC2:TGID_Y_EN: 0
; COMPUTE_PGM_RSRC2:TGID_Z_EN: 0
; COMPUTE_PGM_RSRC2:TIDIG_COMP_CNT: 0
	.section	.text._ZN7rocprim17ROCPRIM_400000_NS6detail31init_lookback_scan_state_kernelINS1_19lookback_scan_stateIjLb1ELb1EEENS1_16block_id_wrapperIjLb0EEEEEvT_jT0_jPNS7_10value_typeE,"axG",@progbits,_ZN7rocprim17ROCPRIM_400000_NS6detail31init_lookback_scan_state_kernelINS1_19lookback_scan_stateIjLb1ELb1EEENS1_16block_id_wrapperIjLb0EEEEEvT_jT0_jPNS7_10value_typeE,comdat
	.protected	_ZN7rocprim17ROCPRIM_400000_NS6detail31init_lookback_scan_state_kernelINS1_19lookback_scan_stateIjLb1ELb1EEENS1_16block_id_wrapperIjLb0EEEEEvT_jT0_jPNS7_10value_typeE ; -- Begin function _ZN7rocprim17ROCPRIM_400000_NS6detail31init_lookback_scan_state_kernelINS1_19lookback_scan_stateIjLb1ELb1EEENS1_16block_id_wrapperIjLb0EEEEEvT_jT0_jPNS7_10value_typeE
	.globl	_ZN7rocprim17ROCPRIM_400000_NS6detail31init_lookback_scan_state_kernelINS1_19lookback_scan_stateIjLb1ELb1EEENS1_16block_id_wrapperIjLb0EEEEEvT_jT0_jPNS7_10value_typeE
	.p2align	8
	.type	_ZN7rocprim17ROCPRIM_400000_NS6detail31init_lookback_scan_state_kernelINS1_19lookback_scan_stateIjLb1ELb1EEENS1_16block_id_wrapperIjLb0EEEEEvT_jT0_jPNS7_10value_typeE,@function
_ZN7rocprim17ROCPRIM_400000_NS6detail31init_lookback_scan_state_kernelINS1_19lookback_scan_stateIjLb1ELb1EEENS1_16block_id_wrapperIjLb0EEEEEvT_jT0_jPNS7_10value_typeE: ; @_ZN7rocprim17ROCPRIM_400000_NS6detail31init_lookback_scan_state_kernelINS1_19lookback_scan_stateIjLb1ELb1EEENS1_16block_id_wrapperIjLb0EEEEEvT_jT0_jPNS7_10value_typeE
; %bb.0:
	s_clause 0x2
	s_load_b32 s7, s[0:1], 0x2c
	s_load_b64 s[2:3], s[0:1], 0x18
	s_load_b96 s[4:6], s[0:1], 0x0
	s_wait_kmcnt 0x0
	s_and_b32 s7, s7, 0xffff
	s_cmp_eq_u64 s[2:3], 0
	v_mad_co_u64_u32 v[0:1], null, ttmp9, s7, v[0:1]
	s_cbranch_scc1 .LBB26_9
; %bb.1:
	s_load_b32 s0, s[0:1], 0x10
	s_wait_kmcnt 0x0
	s_cmp_lt_u32 s0, s6
	s_cselect_b32 s1, s0, 0
	s_wait_alu 0xfffe
	v_cmp_eq_u32_e32 vcc_lo, s1, v0
	s_mov_b32 s1, 0
	s_and_saveexec_b32 s7, vcc_lo
	s_cbranch_execz .LBB26_8
; %bb.2:
	s_add_co_i32 s0, s0, 32
	v_mov_b32_e32 v1, 0
	s_wait_alu 0xfffe
	s_lshl_b64 s[0:1], s[0:1], 3
	s_wait_alu 0xfffe
	s_add_nc_u64 s[0:1], s[4:5], s[0:1]
	global_load_b64 v[3:4], v1, s[0:1] scope:SCOPE_DEV
	s_wait_loadcnt 0x0
	v_and_b32_e32 v2, 0xff, v4
	s_delay_alu instid0(VALU_DEP_1)
	v_cmp_ne_u64_e32 vcc_lo, 0, v[1:2]
	s_cbranch_vccnz .LBB26_7
; %bb.3:
	s_mov_b32 s8, 1
.LBB26_4:                               ; =>This Loop Header: Depth=1
                                        ;     Child Loop BB26_5 Depth 2
	s_delay_alu instid0(SALU_CYCLE_1)
	s_mov_b32 s9, s8
.LBB26_5:                               ;   Parent Loop BB26_4 Depth=1
                                        ; =>  This Inner Loop Header: Depth=2
	s_delay_alu instid0(SALU_CYCLE_1)
	s_add_co_i32 s9, s9, -1
	s_sleep 1
	s_cmp_eq_u32 s9, 0
	s_cbranch_scc0 .LBB26_5
; %bb.6:                                ;   in Loop: Header=BB26_4 Depth=1
	global_load_b64 v[3:4], v1, s[0:1] scope:SCOPE_DEV
	s_cmp_lt_u32 s8, 32
	s_cselect_b32 s9, -1, 0
	s_delay_alu instid0(SALU_CYCLE_1) | instskip(SKIP_3) | instid1(VALU_DEP_1)
	s_cmp_lg_u32 s9, 0
	s_add_co_ci_u32 s8, s8, 0
	s_wait_loadcnt 0x0
	v_and_b32_e32 v2, 0xff, v4
	v_cmp_ne_u64_e32 vcc_lo, 0, v[1:2]
	s_cbranch_vccz .LBB26_4
.LBB26_7:
	v_mov_b32_e32 v1, 0
	global_store_b32 v1, v3, s[2:3]
.LBB26_8:
	s_wait_alu 0xfffe
	s_or_b32 exec_lo, exec_lo, s7
.LBB26_9:
	s_delay_alu instid0(SALU_CYCLE_1)
	s_mov_b32 s0, exec_lo
	v_cmpx_gt_u32_e64 s6, v0
	s_cbranch_execz .LBB26_11
; %bb.10:
	v_dual_mov_b32 v2, 0 :: v_dual_add_nc_u32 v1, 32, v0
	s_delay_alu instid0(VALU_DEP_1) | instskip(SKIP_1) | instid1(VALU_DEP_2)
	v_lshlrev_b64_e32 v[3:4], 3, v[1:2]
	v_mov_b32_e32 v1, v2
	v_add_co_u32 v3, vcc_lo, s4, v3
	s_delay_alu instid0(VALU_DEP_1)
	v_add_co_ci_u32_e64 v4, null, s5, v4, vcc_lo
	global_store_b64 v[3:4], v[1:2], off
.LBB26_11:
	s_wait_alu 0xfffe
	s_or_b32 exec_lo, exec_lo, s0
	s_delay_alu instid0(SALU_CYCLE_1)
	s_mov_b32 s0, exec_lo
	v_cmpx_gt_u32_e32 32, v0
	s_cbranch_execz .LBB26_13
; %bb.12:
	v_dual_mov_b32 v1, 0 :: v_dual_mov_b32 v4, 0xff
	s_delay_alu instid0(VALU_DEP_1) | instskip(NEXT) | instid1(VALU_DEP_1)
	v_lshlrev_b64_e32 v[2:3], 3, v[0:1]
	v_add_co_u32 v5, vcc_lo, s4, v2
	s_wait_alu 0xfffd
	s_delay_alu instid0(VALU_DEP_2)
	v_add_co_ci_u32_e64 v6, null, s5, v3, vcc_lo
	v_mov_b32_e32 v3, v1
	global_store_b64 v[5:6], v[3:4], off
.LBB26_13:
	s_endpgm
	.section	.rodata,"a",@progbits
	.p2align	6, 0x0
	.amdhsa_kernel _ZN7rocprim17ROCPRIM_400000_NS6detail31init_lookback_scan_state_kernelINS1_19lookback_scan_stateIjLb1ELb1EEENS1_16block_id_wrapperIjLb0EEEEEvT_jT0_jPNS7_10value_typeE
		.amdhsa_group_segment_fixed_size 0
		.amdhsa_private_segment_fixed_size 0
		.amdhsa_kernarg_size 288
		.amdhsa_user_sgpr_count 2
		.amdhsa_user_sgpr_dispatch_ptr 0
		.amdhsa_user_sgpr_queue_ptr 0
		.amdhsa_user_sgpr_kernarg_segment_ptr 1
		.amdhsa_user_sgpr_dispatch_id 0
		.amdhsa_user_sgpr_private_segment_size 0
		.amdhsa_wavefront_size32 1
		.amdhsa_uses_dynamic_stack 0
		.amdhsa_enable_private_segment 0
		.amdhsa_system_sgpr_workgroup_id_x 1
		.amdhsa_system_sgpr_workgroup_id_y 0
		.amdhsa_system_sgpr_workgroup_id_z 0
		.amdhsa_system_sgpr_workgroup_info 0
		.amdhsa_system_vgpr_workitem_id 0
		.amdhsa_next_free_vgpr 7
		.amdhsa_next_free_sgpr 10
		.amdhsa_reserve_vcc 1
		.amdhsa_float_round_mode_32 0
		.amdhsa_float_round_mode_16_64 0
		.amdhsa_float_denorm_mode_32 3
		.amdhsa_float_denorm_mode_16_64 3
		.amdhsa_fp16_overflow 0
		.amdhsa_workgroup_processor_mode 1
		.amdhsa_memory_ordered 1
		.amdhsa_forward_progress 1
		.amdhsa_inst_pref_size 4
		.amdhsa_round_robin_scheduling 0
		.amdhsa_exception_fp_ieee_invalid_op 0
		.amdhsa_exception_fp_denorm_src 0
		.amdhsa_exception_fp_ieee_div_zero 0
		.amdhsa_exception_fp_ieee_overflow 0
		.amdhsa_exception_fp_ieee_underflow 0
		.amdhsa_exception_fp_ieee_inexact 0
		.amdhsa_exception_int_div_zero 0
	.end_amdhsa_kernel
	.section	.text._ZN7rocprim17ROCPRIM_400000_NS6detail31init_lookback_scan_state_kernelINS1_19lookback_scan_stateIjLb1ELb1EEENS1_16block_id_wrapperIjLb0EEEEEvT_jT0_jPNS7_10value_typeE,"axG",@progbits,_ZN7rocprim17ROCPRIM_400000_NS6detail31init_lookback_scan_state_kernelINS1_19lookback_scan_stateIjLb1ELb1EEENS1_16block_id_wrapperIjLb0EEEEEvT_jT0_jPNS7_10value_typeE,comdat
.Lfunc_end26:
	.size	_ZN7rocprim17ROCPRIM_400000_NS6detail31init_lookback_scan_state_kernelINS1_19lookback_scan_stateIjLb1ELb1EEENS1_16block_id_wrapperIjLb0EEEEEvT_jT0_jPNS7_10value_typeE, .Lfunc_end26-_ZN7rocprim17ROCPRIM_400000_NS6detail31init_lookback_scan_state_kernelINS1_19lookback_scan_stateIjLb1ELb1EEENS1_16block_id_wrapperIjLb0EEEEEvT_jT0_jPNS7_10value_typeE
                                        ; -- End function
	.set _ZN7rocprim17ROCPRIM_400000_NS6detail31init_lookback_scan_state_kernelINS1_19lookback_scan_stateIjLb1ELb1EEENS1_16block_id_wrapperIjLb0EEEEEvT_jT0_jPNS7_10value_typeE.num_vgpr, 7
	.set _ZN7rocprim17ROCPRIM_400000_NS6detail31init_lookback_scan_state_kernelINS1_19lookback_scan_stateIjLb1ELb1EEENS1_16block_id_wrapperIjLb0EEEEEvT_jT0_jPNS7_10value_typeE.num_agpr, 0
	.set _ZN7rocprim17ROCPRIM_400000_NS6detail31init_lookback_scan_state_kernelINS1_19lookback_scan_stateIjLb1ELb1EEENS1_16block_id_wrapperIjLb0EEEEEvT_jT0_jPNS7_10value_typeE.numbered_sgpr, 10
	.set _ZN7rocprim17ROCPRIM_400000_NS6detail31init_lookback_scan_state_kernelINS1_19lookback_scan_stateIjLb1ELb1EEENS1_16block_id_wrapperIjLb0EEEEEvT_jT0_jPNS7_10value_typeE.num_named_barrier, 0
	.set _ZN7rocprim17ROCPRIM_400000_NS6detail31init_lookback_scan_state_kernelINS1_19lookback_scan_stateIjLb1ELb1EEENS1_16block_id_wrapperIjLb0EEEEEvT_jT0_jPNS7_10value_typeE.private_seg_size, 0
	.set _ZN7rocprim17ROCPRIM_400000_NS6detail31init_lookback_scan_state_kernelINS1_19lookback_scan_stateIjLb1ELb1EEENS1_16block_id_wrapperIjLb0EEEEEvT_jT0_jPNS7_10value_typeE.uses_vcc, 1
	.set _ZN7rocprim17ROCPRIM_400000_NS6detail31init_lookback_scan_state_kernelINS1_19lookback_scan_stateIjLb1ELb1EEENS1_16block_id_wrapperIjLb0EEEEEvT_jT0_jPNS7_10value_typeE.uses_flat_scratch, 0
	.set _ZN7rocprim17ROCPRIM_400000_NS6detail31init_lookback_scan_state_kernelINS1_19lookback_scan_stateIjLb1ELb1EEENS1_16block_id_wrapperIjLb0EEEEEvT_jT0_jPNS7_10value_typeE.has_dyn_sized_stack, 0
	.set _ZN7rocprim17ROCPRIM_400000_NS6detail31init_lookback_scan_state_kernelINS1_19lookback_scan_stateIjLb1ELb1EEENS1_16block_id_wrapperIjLb0EEEEEvT_jT0_jPNS7_10value_typeE.has_recursion, 0
	.set _ZN7rocprim17ROCPRIM_400000_NS6detail31init_lookback_scan_state_kernelINS1_19lookback_scan_stateIjLb1ELb1EEENS1_16block_id_wrapperIjLb0EEEEEvT_jT0_jPNS7_10value_typeE.has_indirect_call, 0
	.section	.AMDGPU.csdata,"",@progbits
; Kernel info:
; codeLenInByte = 424
; TotalNumSgprs: 12
; NumVgprs: 7
; ScratchSize: 0
; MemoryBound: 0
; FloatMode: 240
; IeeeMode: 1
; LDSByteSize: 0 bytes/workgroup (compile time only)
; SGPRBlocks: 0
; VGPRBlocks: 0
; NumSGPRsForWavesPerEU: 12
; NumVGPRsForWavesPerEU: 7
; Occupancy: 16
; WaveLimiterHint : 0
; COMPUTE_PGM_RSRC2:SCRATCH_EN: 0
; COMPUTE_PGM_RSRC2:USER_SGPR: 2
; COMPUTE_PGM_RSRC2:TRAP_HANDLER: 0
; COMPUTE_PGM_RSRC2:TGID_X_EN: 1
; COMPUTE_PGM_RSRC2:TGID_Y_EN: 0
; COMPUTE_PGM_RSRC2:TGID_Z_EN: 0
; COMPUTE_PGM_RSRC2:TIDIG_COMP_CNT: 0
	.section	.text._ZN7rocprim17ROCPRIM_400000_NS6detail17trampoline_kernelINS0_14default_configENS1_25partition_config_selectorILNS1_17partition_subalgoE9EiibEEZZNS1_14partition_implILS5_9ELb0ES3_jPKiN6thrust23THRUST_200600_302600_NS17counting_iteratorIiNSB_11use_defaultESD_SD_EEPNS0_10empty_typeENS0_5tupleIJPiSF_EEENSH_IJSI_SG_EEENS0_18inequality_wrapperIN6hipcub16HIPCUB_304000_NS8EqualityEEEPlJSF_EEE10hipError_tPvRmT3_T4_T5_T6_T7_T9_mT8_P12ihipStream_tbDpT10_ENKUlT_T0_E_clISt17integral_constantIbLb1EES19_IbLb0EEEEDaS15_S16_EUlS15_E_NS1_11comp_targetILNS1_3genE0ELNS1_11target_archE4294967295ELNS1_3gpuE0ELNS1_3repE0EEENS1_30default_config_static_selectorELNS0_4arch9wavefront6targetE0EEEvT1_,"axG",@progbits,_ZN7rocprim17ROCPRIM_400000_NS6detail17trampoline_kernelINS0_14default_configENS1_25partition_config_selectorILNS1_17partition_subalgoE9EiibEEZZNS1_14partition_implILS5_9ELb0ES3_jPKiN6thrust23THRUST_200600_302600_NS17counting_iteratorIiNSB_11use_defaultESD_SD_EEPNS0_10empty_typeENS0_5tupleIJPiSF_EEENSH_IJSI_SG_EEENS0_18inequality_wrapperIN6hipcub16HIPCUB_304000_NS8EqualityEEEPlJSF_EEE10hipError_tPvRmT3_T4_T5_T6_T7_T9_mT8_P12ihipStream_tbDpT10_ENKUlT_T0_E_clISt17integral_constantIbLb1EES19_IbLb0EEEEDaS15_S16_EUlS15_E_NS1_11comp_targetILNS1_3genE0ELNS1_11target_archE4294967295ELNS1_3gpuE0ELNS1_3repE0EEENS1_30default_config_static_selectorELNS0_4arch9wavefront6targetE0EEEvT1_,comdat
	.protected	_ZN7rocprim17ROCPRIM_400000_NS6detail17trampoline_kernelINS0_14default_configENS1_25partition_config_selectorILNS1_17partition_subalgoE9EiibEEZZNS1_14partition_implILS5_9ELb0ES3_jPKiN6thrust23THRUST_200600_302600_NS17counting_iteratorIiNSB_11use_defaultESD_SD_EEPNS0_10empty_typeENS0_5tupleIJPiSF_EEENSH_IJSI_SG_EEENS0_18inequality_wrapperIN6hipcub16HIPCUB_304000_NS8EqualityEEEPlJSF_EEE10hipError_tPvRmT3_T4_T5_T6_T7_T9_mT8_P12ihipStream_tbDpT10_ENKUlT_T0_E_clISt17integral_constantIbLb1EES19_IbLb0EEEEDaS15_S16_EUlS15_E_NS1_11comp_targetILNS1_3genE0ELNS1_11target_archE4294967295ELNS1_3gpuE0ELNS1_3repE0EEENS1_30default_config_static_selectorELNS0_4arch9wavefront6targetE0EEEvT1_ ; -- Begin function _ZN7rocprim17ROCPRIM_400000_NS6detail17trampoline_kernelINS0_14default_configENS1_25partition_config_selectorILNS1_17partition_subalgoE9EiibEEZZNS1_14partition_implILS5_9ELb0ES3_jPKiN6thrust23THRUST_200600_302600_NS17counting_iteratorIiNSB_11use_defaultESD_SD_EEPNS0_10empty_typeENS0_5tupleIJPiSF_EEENSH_IJSI_SG_EEENS0_18inequality_wrapperIN6hipcub16HIPCUB_304000_NS8EqualityEEEPlJSF_EEE10hipError_tPvRmT3_T4_T5_T6_T7_T9_mT8_P12ihipStream_tbDpT10_ENKUlT_T0_E_clISt17integral_constantIbLb1EES19_IbLb0EEEEDaS15_S16_EUlS15_E_NS1_11comp_targetILNS1_3genE0ELNS1_11target_archE4294967295ELNS1_3gpuE0ELNS1_3repE0EEENS1_30default_config_static_selectorELNS0_4arch9wavefront6targetE0EEEvT1_
	.globl	_ZN7rocprim17ROCPRIM_400000_NS6detail17trampoline_kernelINS0_14default_configENS1_25partition_config_selectorILNS1_17partition_subalgoE9EiibEEZZNS1_14partition_implILS5_9ELb0ES3_jPKiN6thrust23THRUST_200600_302600_NS17counting_iteratorIiNSB_11use_defaultESD_SD_EEPNS0_10empty_typeENS0_5tupleIJPiSF_EEENSH_IJSI_SG_EEENS0_18inequality_wrapperIN6hipcub16HIPCUB_304000_NS8EqualityEEEPlJSF_EEE10hipError_tPvRmT3_T4_T5_T6_T7_T9_mT8_P12ihipStream_tbDpT10_ENKUlT_T0_E_clISt17integral_constantIbLb1EES19_IbLb0EEEEDaS15_S16_EUlS15_E_NS1_11comp_targetILNS1_3genE0ELNS1_11target_archE4294967295ELNS1_3gpuE0ELNS1_3repE0EEENS1_30default_config_static_selectorELNS0_4arch9wavefront6targetE0EEEvT1_
	.p2align	8
	.type	_ZN7rocprim17ROCPRIM_400000_NS6detail17trampoline_kernelINS0_14default_configENS1_25partition_config_selectorILNS1_17partition_subalgoE9EiibEEZZNS1_14partition_implILS5_9ELb0ES3_jPKiN6thrust23THRUST_200600_302600_NS17counting_iteratorIiNSB_11use_defaultESD_SD_EEPNS0_10empty_typeENS0_5tupleIJPiSF_EEENSH_IJSI_SG_EEENS0_18inequality_wrapperIN6hipcub16HIPCUB_304000_NS8EqualityEEEPlJSF_EEE10hipError_tPvRmT3_T4_T5_T6_T7_T9_mT8_P12ihipStream_tbDpT10_ENKUlT_T0_E_clISt17integral_constantIbLb1EES19_IbLb0EEEEDaS15_S16_EUlS15_E_NS1_11comp_targetILNS1_3genE0ELNS1_11target_archE4294967295ELNS1_3gpuE0ELNS1_3repE0EEENS1_30default_config_static_selectorELNS0_4arch9wavefront6targetE0EEEvT1_,@function
_ZN7rocprim17ROCPRIM_400000_NS6detail17trampoline_kernelINS0_14default_configENS1_25partition_config_selectorILNS1_17partition_subalgoE9EiibEEZZNS1_14partition_implILS5_9ELb0ES3_jPKiN6thrust23THRUST_200600_302600_NS17counting_iteratorIiNSB_11use_defaultESD_SD_EEPNS0_10empty_typeENS0_5tupleIJPiSF_EEENSH_IJSI_SG_EEENS0_18inequality_wrapperIN6hipcub16HIPCUB_304000_NS8EqualityEEEPlJSF_EEE10hipError_tPvRmT3_T4_T5_T6_T7_T9_mT8_P12ihipStream_tbDpT10_ENKUlT_T0_E_clISt17integral_constantIbLb1EES19_IbLb0EEEEDaS15_S16_EUlS15_E_NS1_11comp_targetILNS1_3genE0ELNS1_11target_archE4294967295ELNS1_3gpuE0ELNS1_3repE0EEENS1_30default_config_static_selectorELNS0_4arch9wavefront6targetE0EEEvT1_: ; @_ZN7rocprim17ROCPRIM_400000_NS6detail17trampoline_kernelINS0_14default_configENS1_25partition_config_selectorILNS1_17partition_subalgoE9EiibEEZZNS1_14partition_implILS5_9ELb0ES3_jPKiN6thrust23THRUST_200600_302600_NS17counting_iteratorIiNSB_11use_defaultESD_SD_EEPNS0_10empty_typeENS0_5tupleIJPiSF_EEENSH_IJSI_SG_EEENS0_18inequality_wrapperIN6hipcub16HIPCUB_304000_NS8EqualityEEEPlJSF_EEE10hipError_tPvRmT3_T4_T5_T6_T7_T9_mT8_P12ihipStream_tbDpT10_ENKUlT_T0_E_clISt17integral_constantIbLb1EES19_IbLb0EEEEDaS15_S16_EUlS15_E_NS1_11comp_targetILNS1_3genE0ELNS1_11target_archE4294967295ELNS1_3gpuE0ELNS1_3repE0EEENS1_30default_config_static_selectorELNS0_4arch9wavefront6targetE0EEEvT1_
; %bb.0:
	.section	.rodata,"a",@progbits
	.p2align	6, 0x0
	.amdhsa_kernel _ZN7rocprim17ROCPRIM_400000_NS6detail17trampoline_kernelINS0_14default_configENS1_25partition_config_selectorILNS1_17partition_subalgoE9EiibEEZZNS1_14partition_implILS5_9ELb0ES3_jPKiN6thrust23THRUST_200600_302600_NS17counting_iteratorIiNSB_11use_defaultESD_SD_EEPNS0_10empty_typeENS0_5tupleIJPiSF_EEENSH_IJSI_SG_EEENS0_18inequality_wrapperIN6hipcub16HIPCUB_304000_NS8EqualityEEEPlJSF_EEE10hipError_tPvRmT3_T4_T5_T6_T7_T9_mT8_P12ihipStream_tbDpT10_ENKUlT_T0_E_clISt17integral_constantIbLb1EES19_IbLb0EEEEDaS15_S16_EUlS15_E_NS1_11comp_targetILNS1_3genE0ELNS1_11target_archE4294967295ELNS1_3gpuE0ELNS1_3repE0EEENS1_30default_config_static_selectorELNS0_4arch9wavefront6targetE0EEEvT1_
		.amdhsa_group_segment_fixed_size 0
		.amdhsa_private_segment_fixed_size 0
		.amdhsa_kernarg_size 112
		.amdhsa_user_sgpr_count 2
		.amdhsa_user_sgpr_dispatch_ptr 0
		.amdhsa_user_sgpr_queue_ptr 0
		.amdhsa_user_sgpr_kernarg_segment_ptr 1
		.amdhsa_user_sgpr_dispatch_id 0
		.amdhsa_user_sgpr_private_segment_size 0
		.amdhsa_wavefront_size32 1
		.amdhsa_uses_dynamic_stack 0
		.amdhsa_enable_private_segment 0
		.amdhsa_system_sgpr_workgroup_id_x 1
		.amdhsa_system_sgpr_workgroup_id_y 0
		.amdhsa_system_sgpr_workgroup_id_z 0
		.amdhsa_system_sgpr_workgroup_info 0
		.amdhsa_system_vgpr_workitem_id 0
		.amdhsa_next_free_vgpr 1
		.amdhsa_next_free_sgpr 1
		.amdhsa_reserve_vcc 0
		.amdhsa_float_round_mode_32 0
		.amdhsa_float_round_mode_16_64 0
		.amdhsa_float_denorm_mode_32 3
		.amdhsa_float_denorm_mode_16_64 3
		.amdhsa_fp16_overflow 0
		.amdhsa_workgroup_processor_mode 1
		.amdhsa_memory_ordered 1
		.amdhsa_forward_progress 1
		.amdhsa_inst_pref_size 0
		.amdhsa_round_robin_scheduling 0
		.amdhsa_exception_fp_ieee_invalid_op 0
		.amdhsa_exception_fp_denorm_src 0
		.amdhsa_exception_fp_ieee_div_zero 0
		.amdhsa_exception_fp_ieee_overflow 0
		.amdhsa_exception_fp_ieee_underflow 0
		.amdhsa_exception_fp_ieee_inexact 0
		.amdhsa_exception_int_div_zero 0
	.end_amdhsa_kernel
	.section	.text._ZN7rocprim17ROCPRIM_400000_NS6detail17trampoline_kernelINS0_14default_configENS1_25partition_config_selectorILNS1_17partition_subalgoE9EiibEEZZNS1_14partition_implILS5_9ELb0ES3_jPKiN6thrust23THRUST_200600_302600_NS17counting_iteratorIiNSB_11use_defaultESD_SD_EEPNS0_10empty_typeENS0_5tupleIJPiSF_EEENSH_IJSI_SG_EEENS0_18inequality_wrapperIN6hipcub16HIPCUB_304000_NS8EqualityEEEPlJSF_EEE10hipError_tPvRmT3_T4_T5_T6_T7_T9_mT8_P12ihipStream_tbDpT10_ENKUlT_T0_E_clISt17integral_constantIbLb1EES19_IbLb0EEEEDaS15_S16_EUlS15_E_NS1_11comp_targetILNS1_3genE0ELNS1_11target_archE4294967295ELNS1_3gpuE0ELNS1_3repE0EEENS1_30default_config_static_selectorELNS0_4arch9wavefront6targetE0EEEvT1_,"axG",@progbits,_ZN7rocprim17ROCPRIM_400000_NS6detail17trampoline_kernelINS0_14default_configENS1_25partition_config_selectorILNS1_17partition_subalgoE9EiibEEZZNS1_14partition_implILS5_9ELb0ES3_jPKiN6thrust23THRUST_200600_302600_NS17counting_iteratorIiNSB_11use_defaultESD_SD_EEPNS0_10empty_typeENS0_5tupleIJPiSF_EEENSH_IJSI_SG_EEENS0_18inequality_wrapperIN6hipcub16HIPCUB_304000_NS8EqualityEEEPlJSF_EEE10hipError_tPvRmT3_T4_T5_T6_T7_T9_mT8_P12ihipStream_tbDpT10_ENKUlT_T0_E_clISt17integral_constantIbLb1EES19_IbLb0EEEEDaS15_S16_EUlS15_E_NS1_11comp_targetILNS1_3genE0ELNS1_11target_archE4294967295ELNS1_3gpuE0ELNS1_3repE0EEENS1_30default_config_static_selectorELNS0_4arch9wavefront6targetE0EEEvT1_,comdat
.Lfunc_end27:
	.size	_ZN7rocprim17ROCPRIM_400000_NS6detail17trampoline_kernelINS0_14default_configENS1_25partition_config_selectorILNS1_17partition_subalgoE9EiibEEZZNS1_14partition_implILS5_9ELb0ES3_jPKiN6thrust23THRUST_200600_302600_NS17counting_iteratorIiNSB_11use_defaultESD_SD_EEPNS0_10empty_typeENS0_5tupleIJPiSF_EEENSH_IJSI_SG_EEENS0_18inequality_wrapperIN6hipcub16HIPCUB_304000_NS8EqualityEEEPlJSF_EEE10hipError_tPvRmT3_T4_T5_T6_T7_T9_mT8_P12ihipStream_tbDpT10_ENKUlT_T0_E_clISt17integral_constantIbLb1EES19_IbLb0EEEEDaS15_S16_EUlS15_E_NS1_11comp_targetILNS1_3genE0ELNS1_11target_archE4294967295ELNS1_3gpuE0ELNS1_3repE0EEENS1_30default_config_static_selectorELNS0_4arch9wavefront6targetE0EEEvT1_, .Lfunc_end27-_ZN7rocprim17ROCPRIM_400000_NS6detail17trampoline_kernelINS0_14default_configENS1_25partition_config_selectorILNS1_17partition_subalgoE9EiibEEZZNS1_14partition_implILS5_9ELb0ES3_jPKiN6thrust23THRUST_200600_302600_NS17counting_iteratorIiNSB_11use_defaultESD_SD_EEPNS0_10empty_typeENS0_5tupleIJPiSF_EEENSH_IJSI_SG_EEENS0_18inequality_wrapperIN6hipcub16HIPCUB_304000_NS8EqualityEEEPlJSF_EEE10hipError_tPvRmT3_T4_T5_T6_T7_T9_mT8_P12ihipStream_tbDpT10_ENKUlT_T0_E_clISt17integral_constantIbLb1EES19_IbLb0EEEEDaS15_S16_EUlS15_E_NS1_11comp_targetILNS1_3genE0ELNS1_11target_archE4294967295ELNS1_3gpuE0ELNS1_3repE0EEENS1_30default_config_static_selectorELNS0_4arch9wavefront6targetE0EEEvT1_
                                        ; -- End function
	.set _ZN7rocprim17ROCPRIM_400000_NS6detail17trampoline_kernelINS0_14default_configENS1_25partition_config_selectorILNS1_17partition_subalgoE9EiibEEZZNS1_14partition_implILS5_9ELb0ES3_jPKiN6thrust23THRUST_200600_302600_NS17counting_iteratorIiNSB_11use_defaultESD_SD_EEPNS0_10empty_typeENS0_5tupleIJPiSF_EEENSH_IJSI_SG_EEENS0_18inequality_wrapperIN6hipcub16HIPCUB_304000_NS8EqualityEEEPlJSF_EEE10hipError_tPvRmT3_T4_T5_T6_T7_T9_mT8_P12ihipStream_tbDpT10_ENKUlT_T0_E_clISt17integral_constantIbLb1EES19_IbLb0EEEEDaS15_S16_EUlS15_E_NS1_11comp_targetILNS1_3genE0ELNS1_11target_archE4294967295ELNS1_3gpuE0ELNS1_3repE0EEENS1_30default_config_static_selectorELNS0_4arch9wavefront6targetE0EEEvT1_.num_vgpr, 0
	.set _ZN7rocprim17ROCPRIM_400000_NS6detail17trampoline_kernelINS0_14default_configENS1_25partition_config_selectorILNS1_17partition_subalgoE9EiibEEZZNS1_14partition_implILS5_9ELb0ES3_jPKiN6thrust23THRUST_200600_302600_NS17counting_iteratorIiNSB_11use_defaultESD_SD_EEPNS0_10empty_typeENS0_5tupleIJPiSF_EEENSH_IJSI_SG_EEENS0_18inequality_wrapperIN6hipcub16HIPCUB_304000_NS8EqualityEEEPlJSF_EEE10hipError_tPvRmT3_T4_T5_T6_T7_T9_mT8_P12ihipStream_tbDpT10_ENKUlT_T0_E_clISt17integral_constantIbLb1EES19_IbLb0EEEEDaS15_S16_EUlS15_E_NS1_11comp_targetILNS1_3genE0ELNS1_11target_archE4294967295ELNS1_3gpuE0ELNS1_3repE0EEENS1_30default_config_static_selectorELNS0_4arch9wavefront6targetE0EEEvT1_.num_agpr, 0
	.set _ZN7rocprim17ROCPRIM_400000_NS6detail17trampoline_kernelINS0_14default_configENS1_25partition_config_selectorILNS1_17partition_subalgoE9EiibEEZZNS1_14partition_implILS5_9ELb0ES3_jPKiN6thrust23THRUST_200600_302600_NS17counting_iteratorIiNSB_11use_defaultESD_SD_EEPNS0_10empty_typeENS0_5tupleIJPiSF_EEENSH_IJSI_SG_EEENS0_18inequality_wrapperIN6hipcub16HIPCUB_304000_NS8EqualityEEEPlJSF_EEE10hipError_tPvRmT3_T4_T5_T6_T7_T9_mT8_P12ihipStream_tbDpT10_ENKUlT_T0_E_clISt17integral_constantIbLb1EES19_IbLb0EEEEDaS15_S16_EUlS15_E_NS1_11comp_targetILNS1_3genE0ELNS1_11target_archE4294967295ELNS1_3gpuE0ELNS1_3repE0EEENS1_30default_config_static_selectorELNS0_4arch9wavefront6targetE0EEEvT1_.numbered_sgpr, 0
	.set _ZN7rocprim17ROCPRIM_400000_NS6detail17trampoline_kernelINS0_14default_configENS1_25partition_config_selectorILNS1_17partition_subalgoE9EiibEEZZNS1_14partition_implILS5_9ELb0ES3_jPKiN6thrust23THRUST_200600_302600_NS17counting_iteratorIiNSB_11use_defaultESD_SD_EEPNS0_10empty_typeENS0_5tupleIJPiSF_EEENSH_IJSI_SG_EEENS0_18inequality_wrapperIN6hipcub16HIPCUB_304000_NS8EqualityEEEPlJSF_EEE10hipError_tPvRmT3_T4_T5_T6_T7_T9_mT8_P12ihipStream_tbDpT10_ENKUlT_T0_E_clISt17integral_constantIbLb1EES19_IbLb0EEEEDaS15_S16_EUlS15_E_NS1_11comp_targetILNS1_3genE0ELNS1_11target_archE4294967295ELNS1_3gpuE0ELNS1_3repE0EEENS1_30default_config_static_selectorELNS0_4arch9wavefront6targetE0EEEvT1_.num_named_barrier, 0
	.set _ZN7rocprim17ROCPRIM_400000_NS6detail17trampoline_kernelINS0_14default_configENS1_25partition_config_selectorILNS1_17partition_subalgoE9EiibEEZZNS1_14partition_implILS5_9ELb0ES3_jPKiN6thrust23THRUST_200600_302600_NS17counting_iteratorIiNSB_11use_defaultESD_SD_EEPNS0_10empty_typeENS0_5tupleIJPiSF_EEENSH_IJSI_SG_EEENS0_18inequality_wrapperIN6hipcub16HIPCUB_304000_NS8EqualityEEEPlJSF_EEE10hipError_tPvRmT3_T4_T5_T6_T7_T9_mT8_P12ihipStream_tbDpT10_ENKUlT_T0_E_clISt17integral_constantIbLb1EES19_IbLb0EEEEDaS15_S16_EUlS15_E_NS1_11comp_targetILNS1_3genE0ELNS1_11target_archE4294967295ELNS1_3gpuE0ELNS1_3repE0EEENS1_30default_config_static_selectorELNS0_4arch9wavefront6targetE0EEEvT1_.private_seg_size, 0
	.set _ZN7rocprim17ROCPRIM_400000_NS6detail17trampoline_kernelINS0_14default_configENS1_25partition_config_selectorILNS1_17partition_subalgoE9EiibEEZZNS1_14partition_implILS5_9ELb0ES3_jPKiN6thrust23THRUST_200600_302600_NS17counting_iteratorIiNSB_11use_defaultESD_SD_EEPNS0_10empty_typeENS0_5tupleIJPiSF_EEENSH_IJSI_SG_EEENS0_18inequality_wrapperIN6hipcub16HIPCUB_304000_NS8EqualityEEEPlJSF_EEE10hipError_tPvRmT3_T4_T5_T6_T7_T9_mT8_P12ihipStream_tbDpT10_ENKUlT_T0_E_clISt17integral_constantIbLb1EES19_IbLb0EEEEDaS15_S16_EUlS15_E_NS1_11comp_targetILNS1_3genE0ELNS1_11target_archE4294967295ELNS1_3gpuE0ELNS1_3repE0EEENS1_30default_config_static_selectorELNS0_4arch9wavefront6targetE0EEEvT1_.uses_vcc, 0
	.set _ZN7rocprim17ROCPRIM_400000_NS6detail17trampoline_kernelINS0_14default_configENS1_25partition_config_selectorILNS1_17partition_subalgoE9EiibEEZZNS1_14partition_implILS5_9ELb0ES3_jPKiN6thrust23THRUST_200600_302600_NS17counting_iteratorIiNSB_11use_defaultESD_SD_EEPNS0_10empty_typeENS0_5tupleIJPiSF_EEENSH_IJSI_SG_EEENS0_18inequality_wrapperIN6hipcub16HIPCUB_304000_NS8EqualityEEEPlJSF_EEE10hipError_tPvRmT3_T4_T5_T6_T7_T9_mT8_P12ihipStream_tbDpT10_ENKUlT_T0_E_clISt17integral_constantIbLb1EES19_IbLb0EEEEDaS15_S16_EUlS15_E_NS1_11comp_targetILNS1_3genE0ELNS1_11target_archE4294967295ELNS1_3gpuE0ELNS1_3repE0EEENS1_30default_config_static_selectorELNS0_4arch9wavefront6targetE0EEEvT1_.uses_flat_scratch, 0
	.set _ZN7rocprim17ROCPRIM_400000_NS6detail17trampoline_kernelINS0_14default_configENS1_25partition_config_selectorILNS1_17partition_subalgoE9EiibEEZZNS1_14partition_implILS5_9ELb0ES3_jPKiN6thrust23THRUST_200600_302600_NS17counting_iteratorIiNSB_11use_defaultESD_SD_EEPNS0_10empty_typeENS0_5tupleIJPiSF_EEENSH_IJSI_SG_EEENS0_18inequality_wrapperIN6hipcub16HIPCUB_304000_NS8EqualityEEEPlJSF_EEE10hipError_tPvRmT3_T4_T5_T6_T7_T9_mT8_P12ihipStream_tbDpT10_ENKUlT_T0_E_clISt17integral_constantIbLb1EES19_IbLb0EEEEDaS15_S16_EUlS15_E_NS1_11comp_targetILNS1_3genE0ELNS1_11target_archE4294967295ELNS1_3gpuE0ELNS1_3repE0EEENS1_30default_config_static_selectorELNS0_4arch9wavefront6targetE0EEEvT1_.has_dyn_sized_stack, 0
	.set _ZN7rocprim17ROCPRIM_400000_NS6detail17trampoline_kernelINS0_14default_configENS1_25partition_config_selectorILNS1_17partition_subalgoE9EiibEEZZNS1_14partition_implILS5_9ELb0ES3_jPKiN6thrust23THRUST_200600_302600_NS17counting_iteratorIiNSB_11use_defaultESD_SD_EEPNS0_10empty_typeENS0_5tupleIJPiSF_EEENSH_IJSI_SG_EEENS0_18inequality_wrapperIN6hipcub16HIPCUB_304000_NS8EqualityEEEPlJSF_EEE10hipError_tPvRmT3_T4_T5_T6_T7_T9_mT8_P12ihipStream_tbDpT10_ENKUlT_T0_E_clISt17integral_constantIbLb1EES19_IbLb0EEEEDaS15_S16_EUlS15_E_NS1_11comp_targetILNS1_3genE0ELNS1_11target_archE4294967295ELNS1_3gpuE0ELNS1_3repE0EEENS1_30default_config_static_selectorELNS0_4arch9wavefront6targetE0EEEvT1_.has_recursion, 0
	.set _ZN7rocprim17ROCPRIM_400000_NS6detail17trampoline_kernelINS0_14default_configENS1_25partition_config_selectorILNS1_17partition_subalgoE9EiibEEZZNS1_14partition_implILS5_9ELb0ES3_jPKiN6thrust23THRUST_200600_302600_NS17counting_iteratorIiNSB_11use_defaultESD_SD_EEPNS0_10empty_typeENS0_5tupleIJPiSF_EEENSH_IJSI_SG_EEENS0_18inequality_wrapperIN6hipcub16HIPCUB_304000_NS8EqualityEEEPlJSF_EEE10hipError_tPvRmT3_T4_T5_T6_T7_T9_mT8_P12ihipStream_tbDpT10_ENKUlT_T0_E_clISt17integral_constantIbLb1EES19_IbLb0EEEEDaS15_S16_EUlS15_E_NS1_11comp_targetILNS1_3genE0ELNS1_11target_archE4294967295ELNS1_3gpuE0ELNS1_3repE0EEENS1_30default_config_static_selectorELNS0_4arch9wavefront6targetE0EEEvT1_.has_indirect_call, 0
	.section	.AMDGPU.csdata,"",@progbits
; Kernel info:
; codeLenInByte = 0
; TotalNumSgprs: 0
; NumVgprs: 0
; ScratchSize: 0
; MemoryBound: 0
; FloatMode: 240
; IeeeMode: 1
; LDSByteSize: 0 bytes/workgroup (compile time only)
; SGPRBlocks: 0
; VGPRBlocks: 0
; NumSGPRsForWavesPerEU: 1
; NumVGPRsForWavesPerEU: 1
; Occupancy: 16
; WaveLimiterHint : 0
; COMPUTE_PGM_RSRC2:SCRATCH_EN: 0
; COMPUTE_PGM_RSRC2:USER_SGPR: 2
; COMPUTE_PGM_RSRC2:TRAP_HANDLER: 0
; COMPUTE_PGM_RSRC2:TGID_X_EN: 1
; COMPUTE_PGM_RSRC2:TGID_Y_EN: 0
; COMPUTE_PGM_RSRC2:TGID_Z_EN: 0
; COMPUTE_PGM_RSRC2:TIDIG_COMP_CNT: 0
	.section	.text._ZN7rocprim17ROCPRIM_400000_NS6detail17trampoline_kernelINS0_14default_configENS1_25partition_config_selectorILNS1_17partition_subalgoE9EiibEEZZNS1_14partition_implILS5_9ELb0ES3_jPKiN6thrust23THRUST_200600_302600_NS17counting_iteratorIiNSB_11use_defaultESD_SD_EEPNS0_10empty_typeENS0_5tupleIJPiSF_EEENSH_IJSI_SG_EEENS0_18inequality_wrapperIN6hipcub16HIPCUB_304000_NS8EqualityEEEPlJSF_EEE10hipError_tPvRmT3_T4_T5_T6_T7_T9_mT8_P12ihipStream_tbDpT10_ENKUlT_T0_E_clISt17integral_constantIbLb1EES19_IbLb0EEEEDaS15_S16_EUlS15_E_NS1_11comp_targetILNS1_3genE5ELNS1_11target_archE942ELNS1_3gpuE9ELNS1_3repE0EEENS1_30default_config_static_selectorELNS0_4arch9wavefront6targetE0EEEvT1_,"axG",@progbits,_ZN7rocprim17ROCPRIM_400000_NS6detail17trampoline_kernelINS0_14default_configENS1_25partition_config_selectorILNS1_17partition_subalgoE9EiibEEZZNS1_14partition_implILS5_9ELb0ES3_jPKiN6thrust23THRUST_200600_302600_NS17counting_iteratorIiNSB_11use_defaultESD_SD_EEPNS0_10empty_typeENS0_5tupleIJPiSF_EEENSH_IJSI_SG_EEENS0_18inequality_wrapperIN6hipcub16HIPCUB_304000_NS8EqualityEEEPlJSF_EEE10hipError_tPvRmT3_T4_T5_T6_T7_T9_mT8_P12ihipStream_tbDpT10_ENKUlT_T0_E_clISt17integral_constantIbLb1EES19_IbLb0EEEEDaS15_S16_EUlS15_E_NS1_11comp_targetILNS1_3genE5ELNS1_11target_archE942ELNS1_3gpuE9ELNS1_3repE0EEENS1_30default_config_static_selectorELNS0_4arch9wavefront6targetE0EEEvT1_,comdat
	.protected	_ZN7rocprim17ROCPRIM_400000_NS6detail17trampoline_kernelINS0_14default_configENS1_25partition_config_selectorILNS1_17partition_subalgoE9EiibEEZZNS1_14partition_implILS5_9ELb0ES3_jPKiN6thrust23THRUST_200600_302600_NS17counting_iteratorIiNSB_11use_defaultESD_SD_EEPNS0_10empty_typeENS0_5tupleIJPiSF_EEENSH_IJSI_SG_EEENS0_18inequality_wrapperIN6hipcub16HIPCUB_304000_NS8EqualityEEEPlJSF_EEE10hipError_tPvRmT3_T4_T5_T6_T7_T9_mT8_P12ihipStream_tbDpT10_ENKUlT_T0_E_clISt17integral_constantIbLb1EES19_IbLb0EEEEDaS15_S16_EUlS15_E_NS1_11comp_targetILNS1_3genE5ELNS1_11target_archE942ELNS1_3gpuE9ELNS1_3repE0EEENS1_30default_config_static_selectorELNS0_4arch9wavefront6targetE0EEEvT1_ ; -- Begin function _ZN7rocprim17ROCPRIM_400000_NS6detail17trampoline_kernelINS0_14default_configENS1_25partition_config_selectorILNS1_17partition_subalgoE9EiibEEZZNS1_14partition_implILS5_9ELb0ES3_jPKiN6thrust23THRUST_200600_302600_NS17counting_iteratorIiNSB_11use_defaultESD_SD_EEPNS0_10empty_typeENS0_5tupleIJPiSF_EEENSH_IJSI_SG_EEENS0_18inequality_wrapperIN6hipcub16HIPCUB_304000_NS8EqualityEEEPlJSF_EEE10hipError_tPvRmT3_T4_T5_T6_T7_T9_mT8_P12ihipStream_tbDpT10_ENKUlT_T0_E_clISt17integral_constantIbLb1EES19_IbLb0EEEEDaS15_S16_EUlS15_E_NS1_11comp_targetILNS1_3genE5ELNS1_11target_archE942ELNS1_3gpuE9ELNS1_3repE0EEENS1_30default_config_static_selectorELNS0_4arch9wavefront6targetE0EEEvT1_
	.globl	_ZN7rocprim17ROCPRIM_400000_NS6detail17trampoline_kernelINS0_14default_configENS1_25partition_config_selectorILNS1_17partition_subalgoE9EiibEEZZNS1_14partition_implILS5_9ELb0ES3_jPKiN6thrust23THRUST_200600_302600_NS17counting_iteratorIiNSB_11use_defaultESD_SD_EEPNS0_10empty_typeENS0_5tupleIJPiSF_EEENSH_IJSI_SG_EEENS0_18inequality_wrapperIN6hipcub16HIPCUB_304000_NS8EqualityEEEPlJSF_EEE10hipError_tPvRmT3_T4_T5_T6_T7_T9_mT8_P12ihipStream_tbDpT10_ENKUlT_T0_E_clISt17integral_constantIbLb1EES19_IbLb0EEEEDaS15_S16_EUlS15_E_NS1_11comp_targetILNS1_3genE5ELNS1_11target_archE942ELNS1_3gpuE9ELNS1_3repE0EEENS1_30default_config_static_selectorELNS0_4arch9wavefront6targetE0EEEvT1_
	.p2align	8
	.type	_ZN7rocprim17ROCPRIM_400000_NS6detail17trampoline_kernelINS0_14default_configENS1_25partition_config_selectorILNS1_17partition_subalgoE9EiibEEZZNS1_14partition_implILS5_9ELb0ES3_jPKiN6thrust23THRUST_200600_302600_NS17counting_iteratorIiNSB_11use_defaultESD_SD_EEPNS0_10empty_typeENS0_5tupleIJPiSF_EEENSH_IJSI_SG_EEENS0_18inequality_wrapperIN6hipcub16HIPCUB_304000_NS8EqualityEEEPlJSF_EEE10hipError_tPvRmT3_T4_T5_T6_T7_T9_mT8_P12ihipStream_tbDpT10_ENKUlT_T0_E_clISt17integral_constantIbLb1EES19_IbLb0EEEEDaS15_S16_EUlS15_E_NS1_11comp_targetILNS1_3genE5ELNS1_11target_archE942ELNS1_3gpuE9ELNS1_3repE0EEENS1_30default_config_static_selectorELNS0_4arch9wavefront6targetE0EEEvT1_,@function
_ZN7rocprim17ROCPRIM_400000_NS6detail17trampoline_kernelINS0_14default_configENS1_25partition_config_selectorILNS1_17partition_subalgoE9EiibEEZZNS1_14partition_implILS5_9ELb0ES3_jPKiN6thrust23THRUST_200600_302600_NS17counting_iteratorIiNSB_11use_defaultESD_SD_EEPNS0_10empty_typeENS0_5tupleIJPiSF_EEENSH_IJSI_SG_EEENS0_18inequality_wrapperIN6hipcub16HIPCUB_304000_NS8EqualityEEEPlJSF_EEE10hipError_tPvRmT3_T4_T5_T6_T7_T9_mT8_P12ihipStream_tbDpT10_ENKUlT_T0_E_clISt17integral_constantIbLb1EES19_IbLb0EEEEDaS15_S16_EUlS15_E_NS1_11comp_targetILNS1_3genE5ELNS1_11target_archE942ELNS1_3gpuE9ELNS1_3repE0EEENS1_30default_config_static_selectorELNS0_4arch9wavefront6targetE0EEEvT1_: ; @_ZN7rocprim17ROCPRIM_400000_NS6detail17trampoline_kernelINS0_14default_configENS1_25partition_config_selectorILNS1_17partition_subalgoE9EiibEEZZNS1_14partition_implILS5_9ELb0ES3_jPKiN6thrust23THRUST_200600_302600_NS17counting_iteratorIiNSB_11use_defaultESD_SD_EEPNS0_10empty_typeENS0_5tupleIJPiSF_EEENSH_IJSI_SG_EEENS0_18inequality_wrapperIN6hipcub16HIPCUB_304000_NS8EqualityEEEPlJSF_EEE10hipError_tPvRmT3_T4_T5_T6_T7_T9_mT8_P12ihipStream_tbDpT10_ENKUlT_T0_E_clISt17integral_constantIbLb1EES19_IbLb0EEEEDaS15_S16_EUlS15_E_NS1_11comp_targetILNS1_3genE5ELNS1_11target_archE942ELNS1_3gpuE9ELNS1_3repE0EEENS1_30default_config_static_selectorELNS0_4arch9wavefront6targetE0EEEvT1_
; %bb.0:
	.section	.rodata,"a",@progbits
	.p2align	6, 0x0
	.amdhsa_kernel _ZN7rocprim17ROCPRIM_400000_NS6detail17trampoline_kernelINS0_14default_configENS1_25partition_config_selectorILNS1_17partition_subalgoE9EiibEEZZNS1_14partition_implILS5_9ELb0ES3_jPKiN6thrust23THRUST_200600_302600_NS17counting_iteratorIiNSB_11use_defaultESD_SD_EEPNS0_10empty_typeENS0_5tupleIJPiSF_EEENSH_IJSI_SG_EEENS0_18inequality_wrapperIN6hipcub16HIPCUB_304000_NS8EqualityEEEPlJSF_EEE10hipError_tPvRmT3_T4_T5_T6_T7_T9_mT8_P12ihipStream_tbDpT10_ENKUlT_T0_E_clISt17integral_constantIbLb1EES19_IbLb0EEEEDaS15_S16_EUlS15_E_NS1_11comp_targetILNS1_3genE5ELNS1_11target_archE942ELNS1_3gpuE9ELNS1_3repE0EEENS1_30default_config_static_selectorELNS0_4arch9wavefront6targetE0EEEvT1_
		.amdhsa_group_segment_fixed_size 0
		.amdhsa_private_segment_fixed_size 0
		.amdhsa_kernarg_size 112
		.amdhsa_user_sgpr_count 2
		.amdhsa_user_sgpr_dispatch_ptr 0
		.amdhsa_user_sgpr_queue_ptr 0
		.amdhsa_user_sgpr_kernarg_segment_ptr 1
		.amdhsa_user_sgpr_dispatch_id 0
		.amdhsa_user_sgpr_private_segment_size 0
		.amdhsa_wavefront_size32 1
		.amdhsa_uses_dynamic_stack 0
		.amdhsa_enable_private_segment 0
		.amdhsa_system_sgpr_workgroup_id_x 1
		.amdhsa_system_sgpr_workgroup_id_y 0
		.amdhsa_system_sgpr_workgroup_id_z 0
		.amdhsa_system_sgpr_workgroup_info 0
		.amdhsa_system_vgpr_workitem_id 0
		.amdhsa_next_free_vgpr 1
		.amdhsa_next_free_sgpr 1
		.amdhsa_reserve_vcc 0
		.amdhsa_float_round_mode_32 0
		.amdhsa_float_round_mode_16_64 0
		.amdhsa_float_denorm_mode_32 3
		.amdhsa_float_denorm_mode_16_64 3
		.amdhsa_fp16_overflow 0
		.amdhsa_workgroup_processor_mode 1
		.amdhsa_memory_ordered 1
		.amdhsa_forward_progress 1
		.amdhsa_inst_pref_size 0
		.amdhsa_round_robin_scheduling 0
		.amdhsa_exception_fp_ieee_invalid_op 0
		.amdhsa_exception_fp_denorm_src 0
		.amdhsa_exception_fp_ieee_div_zero 0
		.amdhsa_exception_fp_ieee_overflow 0
		.amdhsa_exception_fp_ieee_underflow 0
		.amdhsa_exception_fp_ieee_inexact 0
		.amdhsa_exception_int_div_zero 0
	.end_amdhsa_kernel
	.section	.text._ZN7rocprim17ROCPRIM_400000_NS6detail17trampoline_kernelINS0_14default_configENS1_25partition_config_selectorILNS1_17partition_subalgoE9EiibEEZZNS1_14partition_implILS5_9ELb0ES3_jPKiN6thrust23THRUST_200600_302600_NS17counting_iteratorIiNSB_11use_defaultESD_SD_EEPNS0_10empty_typeENS0_5tupleIJPiSF_EEENSH_IJSI_SG_EEENS0_18inequality_wrapperIN6hipcub16HIPCUB_304000_NS8EqualityEEEPlJSF_EEE10hipError_tPvRmT3_T4_T5_T6_T7_T9_mT8_P12ihipStream_tbDpT10_ENKUlT_T0_E_clISt17integral_constantIbLb1EES19_IbLb0EEEEDaS15_S16_EUlS15_E_NS1_11comp_targetILNS1_3genE5ELNS1_11target_archE942ELNS1_3gpuE9ELNS1_3repE0EEENS1_30default_config_static_selectorELNS0_4arch9wavefront6targetE0EEEvT1_,"axG",@progbits,_ZN7rocprim17ROCPRIM_400000_NS6detail17trampoline_kernelINS0_14default_configENS1_25partition_config_selectorILNS1_17partition_subalgoE9EiibEEZZNS1_14partition_implILS5_9ELb0ES3_jPKiN6thrust23THRUST_200600_302600_NS17counting_iteratorIiNSB_11use_defaultESD_SD_EEPNS0_10empty_typeENS0_5tupleIJPiSF_EEENSH_IJSI_SG_EEENS0_18inequality_wrapperIN6hipcub16HIPCUB_304000_NS8EqualityEEEPlJSF_EEE10hipError_tPvRmT3_T4_T5_T6_T7_T9_mT8_P12ihipStream_tbDpT10_ENKUlT_T0_E_clISt17integral_constantIbLb1EES19_IbLb0EEEEDaS15_S16_EUlS15_E_NS1_11comp_targetILNS1_3genE5ELNS1_11target_archE942ELNS1_3gpuE9ELNS1_3repE0EEENS1_30default_config_static_selectorELNS0_4arch9wavefront6targetE0EEEvT1_,comdat
.Lfunc_end28:
	.size	_ZN7rocprim17ROCPRIM_400000_NS6detail17trampoline_kernelINS0_14default_configENS1_25partition_config_selectorILNS1_17partition_subalgoE9EiibEEZZNS1_14partition_implILS5_9ELb0ES3_jPKiN6thrust23THRUST_200600_302600_NS17counting_iteratorIiNSB_11use_defaultESD_SD_EEPNS0_10empty_typeENS0_5tupleIJPiSF_EEENSH_IJSI_SG_EEENS0_18inequality_wrapperIN6hipcub16HIPCUB_304000_NS8EqualityEEEPlJSF_EEE10hipError_tPvRmT3_T4_T5_T6_T7_T9_mT8_P12ihipStream_tbDpT10_ENKUlT_T0_E_clISt17integral_constantIbLb1EES19_IbLb0EEEEDaS15_S16_EUlS15_E_NS1_11comp_targetILNS1_3genE5ELNS1_11target_archE942ELNS1_3gpuE9ELNS1_3repE0EEENS1_30default_config_static_selectorELNS0_4arch9wavefront6targetE0EEEvT1_, .Lfunc_end28-_ZN7rocprim17ROCPRIM_400000_NS6detail17trampoline_kernelINS0_14default_configENS1_25partition_config_selectorILNS1_17partition_subalgoE9EiibEEZZNS1_14partition_implILS5_9ELb0ES3_jPKiN6thrust23THRUST_200600_302600_NS17counting_iteratorIiNSB_11use_defaultESD_SD_EEPNS0_10empty_typeENS0_5tupleIJPiSF_EEENSH_IJSI_SG_EEENS0_18inequality_wrapperIN6hipcub16HIPCUB_304000_NS8EqualityEEEPlJSF_EEE10hipError_tPvRmT3_T4_T5_T6_T7_T9_mT8_P12ihipStream_tbDpT10_ENKUlT_T0_E_clISt17integral_constantIbLb1EES19_IbLb0EEEEDaS15_S16_EUlS15_E_NS1_11comp_targetILNS1_3genE5ELNS1_11target_archE942ELNS1_3gpuE9ELNS1_3repE0EEENS1_30default_config_static_selectorELNS0_4arch9wavefront6targetE0EEEvT1_
                                        ; -- End function
	.set _ZN7rocprim17ROCPRIM_400000_NS6detail17trampoline_kernelINS0_14default_configENS1_25partition_config_selectorILNS1_17partition_subalgoE9EiibEEZZNS1_14partition_implILS5_9ELb0ES3_jPKiN6thrust23THRUST_200600_302600_NS17counting_iteratorIiNSB_11use_defaultESD_SD_EEPNS0_10empty_typeENS0_5tupleIJPiSF_EEENSH_IJSI_SG_EEENS0_18inequality_wrapperIN6hipcub16HIPCUB_304000_NS8EqualityEEEPlJSF_EEE10hipError_tPvRmT3_T4_T5_T6_T7_T9_mT8_P12ihipStream_tbDpT10_ENKUlT_T0_E_clISt17integral_constantIbLb1EES19_IbLb0EEEEDaS15_S16_EUlS15_E_NS1_11comp_targetILNS1_3genE5ELNS1_11target_archE942ELNS1_3gpuE9ELNS1_3repE0EEENS1_30default_config_static_selectorELNS0_4arch9wavefront6targetE0EEEvT1_.num_vgpr, 0
	.set _ZN7rocprim17ROCPRIM_400000_NS6detail17trampoline_kernelINS0_14default_configENS1_25partition_config_selectorILNS1_17partition_subalgoE9EiibEEZZNS1_14partition_implILS5_9ELb0ES3_jPKiN6thrust23THRUST_200600_302600_NS17counting_iteratorIiNSB_11use_defaultESD_SD_EEPNS0_10empty_typeENS0_5tupleIJPiSF_EEENSH_IJSI_SG_EEENS0_18inequality_wrapperIN6hipcub16HIPCUB_304000_NS8EqualityEEEPlJSF_EEE10hipError_tPvRmT3_T4_T5_T6_T7_T9_mT8_P12ihipStream_tbDpT10_ENKUlT_T0_E_clISt17integral_constantIbLb1EES19_IbLb0EEEEDaS15_S16_EUlS15_E_NS1_11comp_targetILNS1_3genE5ELNS1_11target_archE942ELNS1_3gpuE9ELNS1_3repE0EEENS1_30default_config_static_selectorELNS0_4arch9wavefront6targetE0EEEvT1_.num_agpr, 0
	.set _ZN7rocprim17ROCPRIM_400000_NS6detail17trampoline_kernelINS0_14default_configENS1_25partition_config_selectorILNS1_17partition_subalgoE9EiibEEZZNS1_14partition_implILS5_9ELb0ES3_jPKiN6thrust23THRUST_200600_302600_NS17counting_iteratorIiNSB_11use_defaultESD_SD_EEPNS0_10empty_typeENS0_5tupleIJPiSF_EEENSH_IJSI_SG_EEENS0_18inequality_wrapperIN6hipcub16HIPCUB_304000_NS8EqualityEEEPlJSF_EEE10hipError_tPvRmT3_T4_T5_T6_T7_T9_mT8_P12ihipStream_tbDpT10_ENKUlT_T0_E_clISt17integral_constantIbLb1EES19_IbLb0EEEEDaS15_S16_EUlS15_E_NS1_11comp_targetILNS1_3genE5ELNS1_11target_archE942ELNS1_3gpuE9ELNS1_3repE0EEENS1_30default_config_static_selectorELNS0_4arch9wavefront6targetE0EEEvT1_.numbered_sgpr, 0
	.set _ZN7rocprim17ROCPRIM_400000_NS6detail17trampoline_kernelINS0_14default_configENS1_25partition_config_selectorILNS1_17partition_subalgoE9EiibEEZZNS1_14partition_implILS5_9ELb0ES3_jPKiN6thrust23THRUST_200600_302600_NS17counting_iteratorIiNSB_11use_defaultESD_SD_EEPNS0_10empty_typeENS0_5tupleIJPiSF_EEENSH_IJSI_SG_EEENS0_18inequality_wrapperIN6hipcub16HIPCUB_304000_NS8EqualityEEEPlJSF_EEE10hipError_tPvRmT3_T4_T5_T6_T7_T9_mT8_P12ihipStream_tbDpT10_ENKUlT_T0_E_clISt17integral_constantIbLb1EES19_IbLb0EEEEDaS15_S16_EUlS15_E_NS1_11comp_targetILNS1_3genE5ELNS1_11target_archE942ELNS1_3gpuE9ELNS1_3repE0EEENS1_30default_config_static_selectorELNS0_4arch9wavefront6targetE0EEEvT1_.num_named_barrier, 0
	.set _ZN7rocprim17ROCPRIM_400000_NS6detail17trampoline_kernelINS0_14default_configENS1_25partition_config_selectorILNS1_17partition_subalgoE9EiibEEZZNS1_14partition_implILS5_9ELb0ES3_jPKiN6thrust23THRUST_200600_302600_NS17counting_iteratorIiNSB_11use_defaultESD_SD_EEPNS0_10empty_typeENS0_5tupleIJPiSF_EEENSH_IJSI_SG_EEENS0_18inequality_wrapperIN6hipcub16HIPCUB_304000_NS8EqualityEEEPlJSF_EEE10hipError_tPvRmT3_T4_T5_T6_T7_T9_mT8_P12ihipStream_tbDpT10_ENKUlT_T0_E_clISt17integral_constantIbLb1EES19_IbLb0EEEEDaS15_S16_EUlS15_E_NS1_11comp_targetILNS1_3genE5ELNS1_11target_archE942ELNS1_3gpuE9ELNS1_3repE0EEENS1_30default_config_static_selectorELNS0_4arch9wavefront6targetE0EEEvT1_.private_seg_size, 0
	.set _ZN7rocprim17ROCPRIM_400000_NS6detail17trampoline_kernelINS0_14default_configENS1_25partition_config_selectorILNS1_17partition_subalgoE9EiibEEZZNS1_14partition_implILS5_9ELb0ES3_jPKiN6thrust23THRUST_200600_302600_NS17counting_iteratorIiNSB_11use_defaultESD_SD_EEPNS0_10empty_typeENS0_5tupleIJPiSF_EEENSH_IJSI_SG_EEENS0_18inequality_wrapperIN6hipcub16HIPCUB_304000_NS8EqualityEEEPlJSF_EEE10hipError_tPvRmT3_T4_T5_T6_T7_T9_mT8_P12ihipStream_tbDpT10_ENKUlT_T0_E_clISt17integral_constantIbLb1EES19_IbLb0EEEEDaS15_S16_EUlS15_E_NS1_11comp_targetILNS1_3genE5ELNS1_11target_archE942ELNS1_3gpuE9ELNS1_3repE0EEENS1_30default_config_static_selectorELNS0_4arch9wavefront6targetE0EEEvT1_.uses_vcc, 0
	.set _ZN7rocprim17ROCPRIM_400000_NS6detail17trampoline_kernelINS0_14default_configENS1_25partition_config_selectorILNS1_17partition_subalgoE9EiibEEZZNS1_14partition_implILS5_9ELb0ES3_jPKiN6thrust23THRUST_200600_302600_NS17counting_iteratorIiNSB_11use_defaultESD_SD_EEPNS0_10empty_typeENS0_5tupleIJPiSF_EEENSH_IJSI_SG_EEENS0_18inequality_wrapperIN6hipcub16HIPCUB_304000_NS8EqualityEEEPlJSF_EEE10hipError_tPvRmT3_T4_T5_T6_T7_T9_mT8_P12ihipStream_tbDpT10_ENKUlT_T0_E_clISt17integral_constantIbLb1EES19_IbLb0EEEEDaS15_S16_EUlS15_E_NS1_11comp_targetILNS1_3genE5ELNS1_11target_archE942ELNS1_3gpuE9ELNS1_3repE0EEENS1_30default_config_static_selectorELNS0_4arch9wavefront6targetE0EEEvT1_.uses_flat_scratch, 0
	.set _ZN7rocprim17ROCPRIM_400000_NS6detail17trampoline_kernelINS0_14default_configENS1_25partition_config_selectorILNS1_17partition_subalgoE9EiibEEZZNS1_14partition_implILS5_9ELb0ES3_jPKiN6thrust23THRUST_200600_302600_NS17counting_iteratorIiNSB_11use_defaultESD_SD_EEPNS0_10empty_typeENS0_5tupleIJPiSF_EEENSH_IJSI_SG_EEENS0_18inequality_wrapperIN6hipcub16HIPCUB_304000_NS8EqualityEEEPlJSF_EEE10hipError_tPvRmT3_T4_T5_T6_T7_T9_mT8_P12ihipStream_tbDpT10_ENKUlT_T0_E_clISt17integral_constantIbLb1EES19_IbLb0EEEEDaS15_S16_EUlS15_E_NS1_11comp_targetILNS1_3genE5ELNS1_11target_archE942ELNS1_3gpuE9ELNS1_3repE0EEENS1_30default_config_static_selectorELNS0_4arch9wavefront6targetE0EEEvT1_.has_dyn_sized_stack, 0
	.set _ZN7rocprim17ROCPRIM_400000_NS6detail17trampoline_kernelINS0_14default_configENS1_25partition_config_selectorILNS1_17partition_subalgoE9EiibEEZZNS1_14partition_implILS5_9ELb0ES3_jPKiN6thrust23THRUST_200600_302600_NS17counting_iteratorIiNSB_11use_defaultESD_SD_EEPNS0_10empty_typeENS0_5tupleIJPiSF_EEENSH_IJSI_SG_EEENS0_18inequality_wrapperIN6hipcub16HIPCUB_304000_NS8EqualityEEEPlJSF_EEE10hipError_tPvRmT3_T4_T5_T6_T7_T9_mT8_P12ihipStream_tbDpT10_ENKUlT_T0_E_clISt17integral_constantIbLb1EES19_IbLb0EEEEDaS15_S16_EUlS15_E_NS1_11comp_targetILNS1_3genE5ELNS1_11target_archE942ELNS1_3gpuE9ELNS1_3repE0EEENS1_30default_config_static_selectorELNS0_4arch9wavefront6targetE0EEEvT1_.has_recursion, 0
	.set _ZN7rocprim17ROCPRIM_400000_NS6detail17trampoline_kernelINS0_14default_configENS1_25partition_config_selectorILNS1_17partition_subalgoE9EiibEEZZNS1_14partition_implILS5_9ELb0ES3_jPKiN6thrust23THRUST_200600_302600_NS17counting_iteratorIiNSB_11use_defaultESD_SD_EEPNS0_10empty_typeENS0_5tupleIJPiSF_EEENSH_IJSI_SG_EEENS0_18inequality_wrapperIN6hipcub16HIPCUB_304000_NS8EqualityEEEPlJSF_EEE10hipError_tPvRmT3_T4_T5_T6_T7_T9_mT8_P12ihipStream_tbDpT10_ENKUlT_T0_E_clISt17integral_constantIbLb1EES19_IbLb0EEEEDaS15_S16_EUlS15_E_NS1_11comp_targetILNS1_3genE5ELNS1_11target_archE942ELNS1_3gpuE9ELNS1_3repE0EEENS1_30default_config_static_selectorELNS0_4arch9wavefront6targetE0EEEvT1_.has_indirect_call, 0
	.section	.AMDGPU.csdata,"",@progbits
; Kernel info:
; codeLenInByte = 0
; TotalNumSgprs: 0
; NumVgprs: 0
; ScratchSize: 0
; MemoryBound: 0
; FloatMode: 240
; IeeeMode: 1
; LDSByteSize: 0 bytes/workgroup (compile time only)
; SGPRBlocks: 0
; VGPRBlocks: 0
; NumSGPRsForWavesPerEU: 1
; NumVGPRsForWavesPerEU: 1
; Occupancy: 16
; WaveLimiterHint : 0
; COMPUTE_PGM_RSRC2:SCRATCH_EN: 0
; COMPUTE_PGM_RSRC2:USER_SGPR: 2
; COMPUTE_PGM_RSRC2:TRAP_HANDLER: 0
; COMPUTE_PGM_RSRC2:TGID_X_EN: 1
; COMPUTE_PGM_RSRC2:TGID_Y_EN: 0
; COMPUTE_PGM_RSRC2:TGID_Z_EN: 0
; COMPUTE_PGM_RSRC2:TIDIG_COMP_CNT: 0
	.section	.text._ZN7rocprim17ROCPRIM_400000_NS6detail17trampoline_kernelINS0_14default_configENS1_25partition_config_selectorILNS1_17partition_subalgoE9EiibEEZZNS1_14partition_implILS5_9ELb0ES3_jPKiN6thrust23THRUST_200600_302600_NS17counting_iteratorIiNSB_11use_defaultESD_SD_EEPNS0_10empty_typeENS0_5tupleIJPiSF_EEENSH_IJSI_SG_EEENS0_18inequality_wrapperIN6hipcub16HIPCUB_304000_NS8EqualityEEEPlJSF_EEE10hipError_tPvRmT3_T4_T5_T6_T7_T9_mT8_P12ihipStream_tbDpT10_ENKUlT_T0_E_clISt17integral_constantIbLb1EES19_IbLb0EEEEDaS15_S16_EUlS15_E_NS1_11comp_targetILNS1_3genE4ELNS1_11target_archE910ELNS1_3gpuE8ELNS1_3repE0EEENS1_30default_config_static_selectorELNS0_4arch9wavefront6targetE0EEEvT1_,"axG",@progbits,_ZN7rocprim17ROCPRIM_400000_NS6detail17trampoline_kernelINS0_14default_configENS1_25partition_config_selectorILNS1_17partition_subalgoE9EiibEEZZNS1_14partition_implILS5_9ELb0ES3_jPKiN6thrust23THRUST_200600_302600_NS17counting_iteratorIiNSB_11use_defaultESD_SD_EEPNS0_10empty_typeENS0_5tupleIJPiSF_EEENSH_IJSI_SG_EEENS0_18inequality_wrapperIN6hipcub16HIPCUB_304000_NS8EqualityEEEPlJSF_EEE10hipError_tPvRmT3_T4_T5_T6_T7_T9_mT8_P12ihipStream_tbDpT10_ENKUlT_T0_E_clISt17integral_constantIbLb1EES19_IbLb0EEEEDaS15_S16_EUlS15_E_NS1_11comp_targetILNS1_3genE4ELNS1_11target_archE910ELNS1_3gpuE8ELNS1_3repE0EEENS1_30default_config_static_selectorELNS0_4arch9wavefront6targetE0EEEvT1_,comdat
	.protected	_ZN7rocprim17ROCPRIM_400000_NS6detail17trampoline_kernelINS0_14default_configENS1_25partition_config_selectorILNS1_17partition_subalgoE9EiibEEZZNS1_14partition_implILS5_9ELb0ES3_jPKiN6thrust23THRUST_200600_302600_NS17counting_iteratorIiNSB_11use_defaultESD_SD_EEPNS0_10empty_typeENS0_5tupleIJPiSF_EEENSH_IJSI_SG_EEENS0_18inequality_wrapperIN6hipcub16HIPCUB_304000_NS8EqualityEEEPlJSF_EEE10hipError_tPvRmT3_T4_T5_T6_T7_T9_mT8_P12ihipStream_tbDpT10_ENKUlT_T0_E_clISt17integral_constantIbLb1EES19_IbLb0EEEEDaS15_S16_EUlS15_E_NS1_11comp_targetILNS1_3genE4ELNS1_11target_archE910ELNS1_3gpuE8ELNS1_3repE0EEENS1_30default_config_static_selectorELNS0_4arch9wavefront6targetE0EEEvT1_ ; -- Begin function _ZN7rocprim17ROCPRIM_400000_NS6detail17trampoline_kernelINS0_14default_configENS1_25partition_config_selectorILNS1_17partition_subalgoE9EiibEEZZNS1_14partition_implILS5_9ELb0ES3_jPKiN6thrust23THRUST_200600_302600_NS17counting_iteratorIiNSB_11use_defaultESD_SD_EEPNS0_10empty_typeENS0_5tupleIJPiSF_EEENSH_IJSI_SG_EEENS0_18inequality_wrapperIN6hipcub16HIPCUB_304000_NS8EqualityEEEPlJSF_EEE10hipError_tPvRmT3_T4_T5_T6_T7_T9_mT8_P12ihipStream_tbDpT10_ENKUlT_T0_E_clISt17integral_constantIbLb1EES19_IbLb0EEEEDaS15_S16_EUlS15_E_NS1_11comp_targetILNS1_3genE4ELNS1_11target_archE910ELNS1_3gpuE8ELNS1_3repE0EEENS1_30default_config_static_selectorELNS0_4arch9wavefront6targetE0EEEvT1_
	.globl	_ZN7rocprim17ROCPRIM_400000_NS6detail17trampoline_kernelINS0_14default_configENS1_25partition_config_selectorILNS1_17partition_subalgoE9EiibEEZZNS1_14partition_implILS5_9ELb0ES3_jPKiN6thrust23THRUST_200600_302600_NS17counting_iteratorIiNSB_11use_defaultESD_SD_EEPNS0_10empty_typeENS0_5tupleIJPiSF_EEENSH_IJSI_SG_EEENS0_18inequality_wrapperIN6hipcub16HIPCUB_304000_NS8EqualityEEEPlJSF_EEE10hipError_tPvRmT3_T4_T5_T6_T7_T9_mT8_P12ihipStream_tbDpT10_ENKUlT_T0_E_clISt17integral_constantIbLb1EES19_IbLb0EEEEDaS15_S16_EUlS15_E_NS1_11comp_targetILNS1_3genE4ELNS1_11target_archE910ELNS1_3gpuE8ELNS1_3repE0EEENS1_30default_config_static_selectorELNS0_4arch9wavefront6targetE0EEEvT1_
	.p2align	8
	.type	_ZN7rocprim17ROCPRIM_400000_NS6detail17trampoline_kernelINS0_14default_configENS1_25partition_config_selectorILNS1_17partition_subalgoE9EiibEEZZNS1_14partition_implILS5_9ELb0ES3_jPKiN6thrust23THRUST_200600_302600_NS17counting_iteratorIiNSB_11use_defaultESD_SD_EEPNS0_10empty_typeENS0_5tupleIJPiSF_EEENSH_IJSI_SG_EEENS0_18inequality_wrapperIN6hipcub16HIPCUB_304000_NS8EqualityEEEPlJSF_EEE10hipError_tPvRmT3_T4_T5_T6_T7_T9_mT8_P12ihipStream_tbDpT10_ENKUlT_T0_E_clISt17integral_constantIbLb1EES19_IbLb0EEEEDaS15_S16_EUlS15_E_NS1_11comp_targetILNS1_3genE4ELNS1_11target_archE910ELNS1_3gpuE8ELNS1_3repE0EEENS1_30default_config_static_selectorELNS0_4arch9wavefront6targetE0EEEvT1_,@function
_ZN7rocprim17ROCPRIM_400000_NS6detail17trampoline_kernelINS0_14default_configENS1_25partition_config_selectorILNS1_17partition_subalgoE9EiibEEZZNS1_14partition_implILS5_9ELb0ES3_jPKiN6thrust23THRUST_200600_302600_NS17counting_iteratorIiNSB_11use_defaultESD_SD_EEPNS0_10empty_typeENS0_5tupleIJPiSF_EEENSH_IJSI_SG_EEENS0_18inequality_wrapperIN6hipcub16HIPCUB_304000_NS8EqualityEEEPlJSF_EEE10hipError_tPvRmT3_T4_T5_T6_T7_T9_mT8_P12ihipStream_tbDpT10_ENKUlT_T0_E_clISt17integral_constantIbLb1EES19_IbLb0EEEEDaS15_S16_EUlS15_E_NS1_11comp_targetILNS1_3genE4ELNS1_11target_archE910ELNS1_3gpuE8ELNS1_3repE0EEENS1_30default_config_static_selectorELNS0_4arch9wavefront6targetE0EEEvT1_: ; @_ZN7rocprim17ROCPRIM_400000_NS6detail17trampoline_kernelINS0_14default_configENS1_25partition_config_selectorILNS1_17partition_subalgoE9EiibEEZZNS1_14partition_implILS5_9ELb0ES3_jPKiN6thrust23THRUST_200600_302600_NS17counting_iteratorIiNSB_11use_defaultESD_SD_EEPNS0_10empty_typeENS0_5tupleIJPiSF_EEENSH_IJSI_SG_EEENS0_18inequality_wrapperIN6hipcub16HIPCUB_304000_NS8EqualityEEEPlJSF_EEE10hipError_tPvRmT3_T4_T5_T6_T7_T9_mT8_P12ihipStream_tbDpT10_ENKUlT_T0_E_clISt17integral_constantIbLb1EES19_IbLb0EEEEDaS15_S16_EUlS15_E_NS1_11comp_targetILNS1_3genE4ELNS1_11target_archE910ELNS1_3gpuE8ELNS1_3repE0EEENS1_30default_config_static_selectorELNS0_4arch9wavefront6targetE0EEEvT1_
; %bb.0:
	.section	.rodata,"a",@progbits
	.p2align	6, 0x0
	.amdhsa_kernel _ZN7rocprim17ROCPRIM_400000_NS6detail17trampoline_kernelINS0_14default_configENS1_25partition_config_selectorILNS1_17partition_subalgoE9EiibEEZZNS1_14partition_implILS5_9ELb0ES3_jPKiN6thrust23THRUST_200600_302600_NS17counting_iteratorIiNSB_11use_defaultESD_SD_EEPNS0_10empty_typeENS0_5tupleIJPiSF_EEENSH_IJSI_SG_EEENS0_18inequality_wrapperIN6hipcub16HIPCUB_304000_NS8EqualityEEEPlJSF_EEE10hipError_tPvRmT3_T4_T5_T6_T7_T9_mT8_P12ihipStream_tbDpT10_ENKUlT_T0_E_clISt17integral_constantIbLb1EES19_IbLb0EEEEDaS15_S16_EUlS15_E_NS1_11comp_targetILNS1_3genE4ELNS1_11target_archE910ELNS1_3gpuE8ELNS1_3repE0EEENS1_30default_config_static_selectorELNS0_4arch9wavefront6targetE0EEEvT1_
		.amdhsa_group_segment_fixed_size 0
		.amdhsa_private_segment_fixed_size 0
		.amdhsa_kernarg_size 112
		.amdhsa_user_sgpr_count 2
		.amdhsa_user_sgpr_dispatch_ptr 0
		.amdhsa_user_sgpr_queue_ptr 0
		.amdhsa_user_sgpr_kernarg_segment_ptr 1
		.amdhsa_user_sgpr_dispatch_id 0
		.amdhsa_user_sgpr_private_segment_size 0
		.amdhsa_wavefront_size32 1
		.amdhsa_uses_dynamic_stack 0
		.amdhsa_enable_private_segment 0
		.amdhsa_system_sgpr_workgroup_id_x 1
		.amdhsa_system_sgpr_workgroup_id_y 0
		.amdhsa_system_sgpr_workgroup_id_z 0
		.amdhsa_system_sgpr_workgroup_info 0
		.amdhsa_system_vgpr_workitem_id 0
		.amdhsa_next_free_vgpr 1
		.amdhsa_next_free_sgpr 1
		.amdhsa_reserve_vcc 0
		.amdhsa_float_round_mode_32 0
		.amdhsa_float_round_mode_16_64 0
		.amdhsa_float_denorm_mode_32 3
		.amdhsa_float_denorm_mode_16_64 3
		.amdhsa_fp16_overflow 0
		.amdhsa_workgroup_processor_mode 1
		.amdhsa_memory_ordered 1
		.amdhsa_forward_progress 1
		.amdhsa_inst_pref_size 0
		.amdhsa_round_robin_scheduling 0
		.amdhsa_exception_fp_ieee_invalid_op 0
		.amdhsa_exception_fp_denorm_src 0
		.amdhsa_exception_fp_ieee_div_zero 0
		.amdhsa_exception_fp_ieee_overflow 0
		.amdhsa_exception_fp_ieee_underflow 0
		.amdhsa_exception_fp_ieee_inexact 0
		.amdhsa_exception_int_div_zero 0
	.end_amdhsa_kernel
	.section	.text._ZN7rocprim17ROCPRIM_400000_NS6detail17trampoline_kernelINS0_14default_configENS1_25partition_config_selectorILNS1_17partition_subalgoE9EiibEEZZNS1_14partition_implILS5_9ELb0ES3_jPKiN6thrust23THRUST_200600_302600_NS17counting_iteratorIiNSB_11use_defaultESD_SD_EEPNS0_10empty_typeENS0_5tupleIJPiSF_EEENSH_IJSI_SG_EEENS0_18inequality_wrapperIN6hipcub16HIPCUB_304000_NS8EqualityEEEPlJSF_EEE10hipError_tPvRmT3_T4_T5_T6_T7_T9_mT8_P12ihipStream_tbDpT10_ENKUlT_T0_E_clISt17integral_constantIbLb1EES19_IbLb0EEEEDaS15_S16_EUlS15_E_NS1_11comp_targetILNS1_3genE4ELNS1_11target_archE910ELNS1_3gpuE8ELNS1_3repE0EEENS1_30default_config_static_selectorELNS0_4arch9wavefront6targetE0EEEvT1_,"axG",@progbits,_ZN7rocprim17ROCPRIM_400000_NS6detail17trampoline_kernelINS0_14default_configENS1_25partition_config_selectorILNS1_17partition_subalgoE9EiibEEZZNS1_14partition_implILS5_9ELb0ES3_jPKiN6thrust23THRUST_200600_302600_NS17counting_iteratorIiNSB_11use_defaultESD_SD_EEPNS0_10empty_typeENS0_5tupleIJPiSF_EEENSH_IJSI_SG_EEENS0_18inequality_wrapperIN6hipcub16HIPCUB_304000_NS8EqualityEEEPlJSF_EEE10hipError_tPvRmT3_T4_T5_T6_T7_T9_mT8_P12ihipStream_tbDpT10_ENKUlT_T0_E_clISt17integral_constantIbLb1EES19_IbLb0EEEEDaS15_S16_EUlS15_E_NS1_11comp_targetILNS1_3genE4ELNS1_11target_archE910ELNS1_3gpuE8ELNS1_3repE0EEENS1_30default_config_static_selectorELNS0_4arch9wavefront6targetE0EEEvT1_,comdat
.Lfunc_end29:
	.size	_ZN7rocprim17ROCPRIM_400000_NS6detail17trampoline_kernelINS0_14default_configENS1_25partition_config_selectorILNS1_17partition_subalgoE9EiibEEZZNS1_14partition_implILS5_9ELb0ES3_jPKiN6thrust23THRUST_200600_302600_NS17counting_iteratorIiNSB_11use_defaultESD_SD_EEPNS0_10empty_typeENS0_5tupleIJPiSF_EEENSH_IJSI_SG_EEENS0_18inequality_wrapperIN6hipcub16HIPCUB_304000_NS8EqualityEEEPlJSF_EEE10hipError_tPvRmT3_T4_T5_T6_T7_T9_mT8_P12ihipStream_tbDpT10_ENKUlT_T0_E_clISt17integral_constantIbLb1EES19_IbLb0EEEEDaS15_S16_EUlS15_E_NS1_11comp_targetILNS1_3genE4ELNS1_11target_archE910ELNS1_3gpuE8ELNS1_3repE0EEENS1_30default_config_static_selectorELNS0_4arch9wavefront6targetE0EEEvT1_, .Lfunc_end29-_ZN7rocprim17ROCPRIM_400000_NS6detail17trampoline_kernelINS0_14default_configENS1_25partition_config_selectorILNS1_17partition_subalgoE9EiibEEZZNS1_14partition_implILS5_9ELb0ES3_jPKiN6thrust23THRUST_200600_302600_NS17counting_iteratorIiNSB_11use_defaultESD_SD_EEPNS0_10empty_typeENS0_5tupleIJPiSF_EEENSH_IJSI_SG_EEENS0_18inequality_wrapperIN6hipcub16HIPCUB_304000_NS8EqualityEEEPlJSF_EEE10hipError_tPvRmT3_T4_T5_T6_T7_T9_mT8_P12ihipStream_tbDpT10_ENKUlT_T0_E_clISt17integral_constantIbLb1EES19_IbLb0EEEEDaS15_S16_EUlS15_E_NS1_11comp_targetILNS1_3genE4ELNS1_11target_archE910ELNS1_3gpuE8ELNS1_3repE0EEENS1_30default_config_static_selectorELNS0_4arch9wavefront6targetE0EEEvT1_
                                        ; -- End function
	.set _ZN7rocprim17ROCPRIM_400000_NS6detail17trampoline_kernelINS0_14default_configENS1_25partition_config_selectorILNS1_17partition_subalgoE9EiibEEZZNS1_14partition_implILS5_9ELb0ES3_jPKiN6thrust23THRUST_200600_302600_NS17counting_iteratorIiNSB_11use_defaultESD_SD_EEPNS0_10empty_typeENS0_5tupleIJPiSF_EEENSH_IJSI_SG_EEENS0_18inequality_wrapperIN6hipcub16HIPCUB_304000_NS8EqualityEEEPlJSF_EEE10hipError_tPvRmT3_T4_T5_T6_T7_T9_mT8_P12ihipStream_tbDpT10_ENKUlT_T0_E_clISt17integral_constantIbLb1EES19_IbLb0EEEEDaS15_S16_EUlS15_E_NS1_11comp_targetILNS1_3genE4ELNS1_11target_archE910ELNS1_3gpuE8ELNS1_3repE0EEENS1_30default_config_static_selectorELNS0_4arch9wavefront6targetE0EEEvT1_.num_vgpr, 0
	.set _ZN7rocprim17ROCPRIM_400000_NS6detail17trampoline_kernelINS0_14default_configENS1_25partition_config_selectorILNS1_17partition_subalgoE9EiibEEZZNS1_14partition_implILS5_9ELb0ES3_jPKiN6thrust23THRUST_200600_302600_NS17counting_iteratorIiNSB_11use_defaultESD_SD_EEPNS0_10empty_typeENS0_5tupleIJPiSF_EEENSH_IJSI_SG_EEENS0_18inequality_wrapperIN6hipcub16HIPCUB_304000_NS8EqualityEEEPlJSF_EEE10hipError_tPvRmT3_T4_T5_T6_T7_T9_mT8_P12ihipStream_tbDpT10_ENKUlT_T0_E_clISt17integral_constantIbLb1EES19_IbLb0EEEEDaS15_S16_EUlS15_E_NS1_11comp_targetILNS1_3genE4ELNS1_11target_archE910ELNS1_3gpuE8ELNS1_3repE0EEENS1_30default_config_static_selectorELNS0_4arch9wavefront6targetE0EEEvT1_.num_agpr, 0
	.set _ZN7rocprim17ROCPRIM_400000_NS6detail17trampoline_kernelINS0_14default_configENS1_25partition_config_selectorILNS1_17partition_subalgoE9EiibEEZZNS1_14partition_implILS5_9ELb0ES3_jPKiN6thrust23THRUST_200600_302600_NS17counting_iteratorIiNSB_11use_defaultESD_SD_EEPNS0_10empty_typeENS0_5tupleIJPiSF_EEENSH_IJSI_SG_EEENS0_18inequality_wrapperIN6hipcub16HIPCUB_304000_NS8EqualityEEEPlJSF_EEE10hipError_tPvRmT3_T4_T5_T6_T7_T9_mT8_P12ihipStream_tbDpT10_ENKUlT_T0_E_clISt17integral_constantIbLb1EES19_IbLb0EEEEDaS15_S16_EUlS15_E_NS1_11comp_targetILNS1_3genE4ELNS1_11target_archE910ELNS1_3gpuE8ELNS1_3repE0EEENS1_30default_config_static_selectorELNS0_4arch9wavefront6targetE0EEEvT1_.numbered_sgpr, 0
	.set _ZN7rocprim17ROCPRIM_400000_NS6detail17trampoline_kernelINS0_14default_configENS1_25partition_config_selectorILNS1_17partition_subalgoE9EiibEEZZNS1_14partition_implILS5_9ELb0ES3_jPKiN6thrust23THRUST_200600_302600_NS17counting_iteratorIiNSB_11use_defaultESD_SD_EEPNS0_10empty_typeENS0_5tupleIJPiSF_EEENSH_IJSI_SG_EEENS0_18inequality_wrapperIN6hipcub16HIPCUB_304000_NS8EqualityEEEPlJSF_EEE10hipError_tPvRmT3_T4_T5_T6_T7_T9_mT8_P12ihipStream_tbDpT10_ENKUlT_T0_E_clISt17integral_constantIbLb1EES19_IbLb0EEEEDaS15_S16_EUlS15_E_NS1_11comp_targetILNS1_3genE4ELNS1_11target_archE910ELNS1_3gpuE8ELNS1_3repE0EEENS1_30default_config_static_selectorELNS0_4arch9wavefront6targetE0EEEvT1_.num_named_barrier, 0
	.set _ZN7rocprim17ROCPRIM_400000_NS6detail17trampoline_kernelINS0_14default_configENS1_25partition_config_selectorILNS1_17partition_subalgoE9EiibEEZZNS1_14partition_implILS5_9ELb0ES3_jPKiN6thrust23THRUST_200600_302600_NS17counting_iteratorIiNSB_11use_defaultESD_SD_EEPNS0_10empty_typeENS0_5tupleIJPiSF_EEENSH_IJSI_SG_EEENS0_18inequality_wrapperIN6hipcub16HIPCUB_304000_NS8EqualityEEEPlJSF_EEE10hipError_tPvRmT3_T4_T5_T6_T7_T9_mT8_P12ihipStream_tbDpT10_ENKUlT_T0_E_clISt17integral_constantIbLb1EES19_IbLb0EEEEDaS15_S16_EUlS15_E_NS1_11comp_targetILNS1_3genE4ELNS1_11target_archE910ELNS1_3gpuE8ELNS1_3repE0EEENS1_30default_config_static_selectorELNS0_4arch9wavefront6targetE0EEEvT1_.private_seg_size, 0
	.set _ZN7rocprim17ROCPRIM_400000_NS6detail17trampoline_kernelINS0_14default_configENS1_25partition_config_selectorILNS1_17partition_subalgoE9EiibEEZZNS1_14partition_implILS5_9ELb0ES3_jPKiN6thrust23THRUST_200600_302600_NS17counting_iteratorIiNSB_11use_defaultESD_SD_EEPNS0_10empty_typeENS0_5tupleIJPiSF_EEENSH_IJSI_SG_EEENS0_18inequality_wrapperIN6hipcub16HIPCUB_304000_NS8EqualityEEEPlJSF_EEE10hipError_tPvRmT3_T4_T5_T6_T7_T9_mT8_P12ihipStream_tbDpT10_ENKUlT_T0_E_clISt17integral_constantIbLb1EES19_IbLb0EEEEDaS15_S16_EUlS15_E_NS1_11comp_targetILNS1_3genE4ELNS1_11target_archE910ELNS1_3gpuE8ELNS1_3repE0EEENS1_30default_config_static_selectorELNS0_4arch9wavefront6targetE0EEEvT1_.uses_vcc, 0
	.set _ZN7rocprim17ROCPRIM_400000_NS6detail17trampoline_kernelINS0_14default_configENS1_25partition_config_selectorILNS1_17partition_subalgoE9EiibEEZZNS1_14partition_implILS5_9ELb0ES3_jPKiN6thrust23THRUST_200600_302600_NS17counting_iteratorIiNSB_11use_defaultESD_SD_EEPNS0_10empty_typeENS0_5tupleIJPiSF_EEENSH_IJSI_SG_EEENS0_18inequality_wrapperIN6hipcub16HIPCUB_304000_NS8EqualityEEEPlJSF_EEE10hipError_tPvRmT3_T4_T5_T6_T7_T9_mT8_P12ihipStream_tbDpT10_ENKUlT_T0_E_clISt17integral_constantIbLb1EES19_IbLb0EEEEDaS15_S16_EUlS15_E_NS1_11comp_targetILNS1_3genE4ELNS1_11target_archE910ELNS1_3gpuE8ELNS1_3repE0EEENS1_30default_config_static_selectorELNS0_4arch9wavefront6targetE0EEEvT1_.uses_flat_scratch, 0
	.set _ZN7rocprim17ROCPRIM_400000_NS6detail17trampoline_kernelINS0_14default_configENS1_25partition_config_selectorILNS1_17partition_subalgoE9EiibEEZZNS1_14partition_implILS5_9ELb0ES3_jPKiN6thrust23THRUST_200600_302600_NS17counting_iteratorIiNSB_11use_defaultESD_SD_EEPNS0_10empty_typeENS0_5tupleIJPiSF_EEENSH_IJSI_SG_EEENS0_18inequality_wrapperIN6hipcub16HIPCUB_304000_NS8EqualityEEEPlJSF_EEE10hipError_tPvRmT3_T4_T5_T6_T7_T9_mT8_P12ihipStream_tbDpT10_ENKUlT_T0_E_clISt17integral_constantIbLb1EES19_IbLb0EEEEDaS15_S16_EUlS15_E_NS1_11comp_targetILNS1_3genE4ELNS1_11target_archE910ELNS1_3gpuE8ELNS1_3repE0EEENS1_30default_config_static_selectorELNS0_4arch9wavefront6targetE0EEEvT1_.has_dyn_sized_stack, 0
	.set _ZN7rocprim17ROCPRIM_400000_NS6detail17trampoline_kernelINS0_14default_configENS1_25partition_config_selectorILNS1_17partition_subalgoE9EiibEEZZNS1_14partition_implILS5_9ELb0ES3_jPKiN6thrust23THRUST_200600_302600_NS17counting_iteratorIiNSB_11use_defaultESD_SD_EEPNS0_10empty_typeENS0_5tupleIJPiSF_EEENSH_IJSI_SG_EEENS0_18inequality_wrapperIN6hipcub16HIPCUB_304000_NS8EqualityEEEPlJSF_EEE10hipError_tPvRmT3_T4_T5_T6_T7_T9_mT8_P12ihipStream_tbDpT10_ENKUlT_T0_E_clISt17integral_constantIbLb1EES19_IbLb0EEEEDaS15_S16_EUlS15_E_NS1_11comp_targetILNS1_3genE4ELNS1_11target_archE910ELNS1_3gpuE8ELNS1_3repE0EEENS1_30default_config_static_selectorELNS0_4arch9wavefront6targetE0EEEvT1_.has_recursion, 0
	.set _ZN7rocprim17ROCPRIM_400000_NS6detail17trampoline_kernelINS0_14default_configENS1_25partition_config_selectorILNS1_17partition_subalgoE9EiibEEZZNS1_14partition_implILS5_9ELb0ES3_jPKiN6thrust23THRUST_200600_302600_NS17counting_iteratorIiNSB_11use_defaultESD_SD_EEPNS0_10empty_typeENS0_5tupleIJPiSF_EEENSH_IJSI_SG_EEENS0_18inequality_wrapperIN6hipcub16HIPCUB_304000_NS8EqualityEEEPlJSF_EEE10hipError_tPvRmT3_T4_T5_T6_T7_T9_mT8_P12ihipStream_tbDpT10_ENKUlT_T0_E_clISt17integral_constantIbLb1EES19_IbLb0EEEEDaS15_S16_EUlS15_E_NS1_11comp_targetILNS1_3genE4ELNS1_11target_archE910ELNS1_3gpuE8ELNS1_3repE0EEENS1_30default_config_static_selectorELNS0_4arch9wavefront6targetE0EEEvT1_.has_indirect_call, 0
	.section	.AMDGPU.csdata,"",@progbits
; Kernel info:
; codeLenInByte = 0
; TotalNumSgprs: 0
; NumVgprs: 0
; ScratchSize: 0
; MemoryBound: 0
; FloatMode: 240
; IeeeMode: 1
; LDSByteSize: 0 bytes/workgroup (compile time only)
; SGPRBlocks: 0
; VGPRBlocks: 0
; NumSGPRsForWavesPerEU: 1
; NumVGPRsForWavesPerEU: 1
; Occupancy: 16
; WaveLimiterHint : 0
; COMPUTE_PGM_RSRC2:SCRATCH_EN: 0
; COMPUTE_PGM_RSRC2:USER_SGPR: 2
; COMPUTE_PGM_RSRC2:TRAP_HANDLER: 0
; COMPUTE_PGM_RSRC2:TGID_X_EN: 1
; COMPUTE_PGM_RSRC2:TGID_Y_EN: 0
; COMPUTE_PGM_RSRC2:TGID_Z_EN: 0
; COMPUTE_PGM_RSRC2:TIDIG_COMP_CNT: 0
	.section	.text._ZN7rocprim17ROCPRIM_400000_NS6detail17trampoline_kernelINS0_14default_configENS1_25partition_config_selectorILNS1_17partition_subalgoE9EiibEEZZNS1_14partition_implILS5_9ELb0ES3_jPKiN6thrust23THRUST_200600_302600_NS17counting_iteratorIiNSB_11use_defaultESD_SD_EEPNS0_10empty_typeENS0_5tupleIJPiSF_EEENSH_IJSI_SG_EEENS0_18inequality_wrapperIN6hipcub16HIPCUB_304000_NS8EqualityEEEPlJSF_EEE10hipError_tPvRmT3_T4_T5_T6_T7_T9_mT8_P12ihipStream_tbDpT10_ENKUlT_T0_E_clISt17integral_constantIbLb1EES19_IbLb0EEEEDaS15_S16_EUlS15_E_NS1_11comp_targetILNS1_3genE3ELNS1_11target_archE908ELNS1_3gpuE7ELNS1_3repE0EEENS1_30default_config_static_selectorELNS0_4arch9wavefront6targetE0EEEvT1_,"axG",@progbits,_ZN7rocprim17ROCPRIM_400000_NS6detail17trampoline_kernelINS0_14default_configENS1_25partition_config_selectorILNS1_17partition_subalgoE9EiibEEZZNS1_14partition_implILS5_9ELb0ES3_jPKiN6thrust23THRUST_200600_302600_NS17counting_iteratorIiNSB_11use_defaultESD_SD_EEPNS0_10empty_typeENS0_5tupleIJPiSF_EEENSH_IJSI_SG_EEENS0_18inequality_wrapperIN6hipcub16HIPCUB_304000_NS8EqualityEEEPlJSF_EEE10hipError_tPvRmT3_T4_T5_T6_T7_T9_mT8_P12ihipStream_tbDpT10_ENKUlT_T0_E_clISt17integral_constantIbLb1EES19_IbLb0EEEEDaS15_S16_EUlS15_E_NS1_11comp_targetILNS1_3genE3ELNS1_11target_archE908ELNS1_3gpuE7ELNS1_3repE0EEENS1_30default_config_static_selectorELNS0_4arch9wavefront6targetE0EEEvT1_,comdat
	.protected	_ZN7rocprim17ROCPRIM_400000_NS6detail17trampoline_kernelINS0_14default_configENS1_25partition_config_selectorILNS1_17partition_subalgoE9EiibEEZZNS1_14partition_implILS5_9ELb0ES3_jPKiN6thrust23THRUST_200600_302600_NS17counting_iteratorIiNSB_11use_defaultESD_SD_EEPNS0_10empty_typeENS0_5tupleIJPiSF_EEENSH_IJSI_SG_EEENS0_18inequality_wrapperIN6hipcub16HIPCUB_304000_NS8EqualityEEEPlJSF_EEE10hipError_tPvRmT3_T4_T5_T6_T7_T9_mT8_P12ihipStream_tbDpT10_ENKUlT_T0_E_clISt17integral_constantIbLb1EES19_IbLb0EEEEDaS15_S16_EUlS15_E_NS1_11comp_targetILNS1_3genE3ELNS1_11target_archE908ELNS1_3gpuE7ELNS1_3repE0EEENS1_30default_config_static_selectorELNS0_4arch9wavefront6targetE0EEEvT1_ ; -- Begin function _ZN7rocprim17ROCPRIM_400000_NS6detail17trampoline_kernelINS0_14default_configENS1_25partition_config_selectorILNS1_17partition_subalgoE9EiibEEZZNS1_14partition_implILS5_9ELb0ES3_jPKiN6thrust23THRUST_200600_302600_NS17counting_iteratorIiNSB_11use_defaultESD_SD_EEPNS0_10empty_typeENS0_5tupleIJPiSF_EEENSH_IJSI_SG_EEENS0_18inequality_wrapperIN6hipcub16HIPCUB_304000_NS8EqualityEEEPlJSF_EEE10hipError_tPvRmT3_T4_T5_T6_T7_T9_mT8_P12ihipStream_tbDpT10_ENKUlT_T0_E_clISt17integral_constantIbLb1EES19_IbLb0EEEEDaS15_S16_EUlS15_E_NS1_11comp_targetILNS1_3genE3ELNS1_11target_archE908ELNS1_3gpuE7ELNS1_3repE0EEENS1_30default_config_static_selectorELNS0_4arch9wavefront6targetE0EEEvT1_
	.globl	_ZN7rocprim17ROCPRIM_400000_NS6detail17trampoline_kernelINS0_14default_configENS1_25partition_config_selectorILNS1_17partition_subalgoE9EiibEEZZNS1_14partition_implILS5_9ELb0ES3_jPKiN6thrust23THRUST_200600_302600_NS17counting_iteratorIiNSB_11use_defaultESD_SD_EEPNS0_10empty_typeENS0_5tupleIJPiSF_EEENSH_IJSI_SG_EEENS0_18inequality_wrapperIN6hipcub16HIPCUB_304000_NS8EqualityEEEPlJSF_EEE10hipError_tPvRmT3_T4_T5_T6_T7_T9_mT8_P12ihipStream_tbDpT10_ENKUlT_T0_E_clISt17integral_constantIbLb1EES19_IbLb0EEEEDaS15_S16_EUlS15_E_NS1_11comp_targetILNS1_3genE3ELNS1_11target_archE908ELNS1_3gpuE7ELNS1_3repE0EEENS1_30default_config_static_selectorELNS0_4arch9wavefront6targetE0EEEvT1_
	.p2align	8
	.type	_ZN7rocprim17ROCPRIM_400000_NS6detail17trampoline_kernelINS0_14default_configENS1_25partition_config_selectorILNS1_17partition_subalgoE9EiibEEZZNS1_14partition_implILS5_9ELb0ES3_jPKiN6thrust23THRUST_200600_302600_NS17counting_iteratorIiNSB_11use_defaultESD_SD_EEPNS0_10empty_typeENS0_5tupleIJPiSF_EEENSH_IJSI_SG_EEENS0_18inequality_wrapperIN6hipcub16HIPCUB_304000_NS8EqualityEEEPlJSF_EEE10hipError_tPvRmT3_T4_T5_T6_T7_T9_mT8_P12ihipStream_tbDpT10_ENKUlT_T0_E_clISt17integral_constantIbLb1EES19_IbLb0EEEEDaS15_S16_EUlS15_E_NS1_11comp_targetILNS1_3genE3ELNS1_11target_archE908ELNS1_3gpuE7ELNS1_3repE0EEENS1_30default_config_static_selectorELNS0_4arch9wavefront6targetE0EEEvT1_,@function
_ZN7rocprim17ROCPRIM_400000_NS6detail17trampoline_kernelINS0_14default_configENS1_25partition_config_selectorILNS1_17partition_subalgoE9EiibEEZZNS1_14partition_implILS5_9ELb0ES3_jPKiN6thrust23THRUST_200600_302600_NS17counting_iteratorIiNSB_11use_defaultESD_SD_EEPNS0_10empty_typeENS0_5tupleIJPiSF_EEENSH_IJSI_SG_EEENS0_18inequality_wrapperIN6hipcub16HIPCUB_304000_NS8EqualityEEEPlJSF_EEE10hipError_tPvRmT3_T4_T5_T6_T7_T9_mT8_P12ihipStream_tbDpT10_ENKUlT_T0_E_clISt17integral_constantIbLb1EES19_IbLb0EEEEDaS15_S16_EUlS15_E_NS1_11comp_targetILNS1_3genE3ELNS1_11target_archE908ELNS1_3gpuE7ELNS1_3repE0EEENS1_30default_config_static_selectorELNS0_4arch9wavefront6targetE0EEEvT1_: ; @_ZN7rocprim17ROCPRIM_400000_NS6detail17trampoline_kernelINS0_14default_configENS1_25partition_config_selectorILNS1_17partition_subalgoE9EiibEEZZNS1_14partition_implILS5_9ELb0ES3_jPKiN6thrust23THRUST_200600_302600_NS17counting_iteratorIiNSB_11use_defaultESD_SD_EEPNS0_10empty_typeENS0_5tupleIJPiSF_EEENSH_IJSI_SG_EEENS0_18inequality_wrapperIN6hipcub16HIPCUB_304000_NS8EqualityEEEPlJSF_EEE10hipError_tPvRmT3_T4_T5_T6_T7_T9_mT8_P12ihipStream_tbDpT10_ENKUlT_T0_E_clISt17integral_constantIbLb1EES19_IbLb0EEEEDaS15_S16_EUlS15_E_NS1_11comp_targetILNS1_3genE3ELNS1_11target_archE908ELNS1_3gpuE7ELNS1_3repE0EEENS1_30default_config_static_selectorELNS0_4arch9wavefront6targetE0EEEvT1_
; %bb.0:
	.section	.rodata,"a",@progbits
	.p2align	6, 0x0
	.amdhsa_kernel _ZN7rocprim17ROCPRIM_400000_NS6detail17trampoline_kernelINS0_14default_configENS1_25partition_config_selectorILNS1_17partition_subalgoE9EiibEEZZNS1_14partition_implILS5_9ELb0ES3_jPKiN6thrust23THRUST_200600_302600_NS17counting_iteratorIiNSB_11use_defaultESD_SD_EEPNS0_10empty_typeENS0_5tupleIJPiSF_EEENSH_IJSI_SG_EEENS0_18inequality_wrapperIN6hipcub16HIPCUB_304000_NS8EqualityEEEPlJSF_EEE10hipError_tPvRmT3_T4_T5_T6_T7_T9_mT8_P12ihipStream_tbDpT10_ENKUlT_T0_E_clISt17integral_constantIbLb1EES19_IbLb0EEEEDaS15_S16_EUlS15_E_NS1_11comp_targetILNS1_3genE3ELNS1_11target_archE908ELNS1_3gpuE7ELNS1_3repE0EEENS1_30default_config_static_selectorELNS0_4arch9wavefront6targetE0EEEvT1_
		.amdhsa_group_segment_fixed_size 0
		.amdhsa_private_segment_fixed_size 0
		.amdhsa_kernarg_size 112
		.amdhsa_user_sgpr_count 2
		.amdhsa_user_sgpr_dispatch_ptr 0
		.amdhsa_user_sgpr_queue_ptr 0
		.amdhsa_user_sgpr_kernarg_segment_ptr 1
		.amdhsa_user_sgpr_dispatch_id 0
		.amdhsa_user_sgpr_private_segment_size 0
		.amdhsa_wavefront_size32 1
		.amdhsa_uses_dynamic_stack 0
		.amdhsa_enable_private_segment 0
		.amdhsa_system_sgpr_workgroup_id_x 1
		.amdhsa_system_sgpr_workgroup_id_y 0
		.amdhsa_system_sgpr_workgroup_id_z 0
		.amdhsa_system_sgpr_workgroup_info 0
		.amdhsa_system_vgpr_workitem_id 0
		.amdhsa_next_free_vgpr 1
		.amdhsa_next_free_sgpr 1
		.amdhsa_reserve_vcc 0
		.amdhsa_float_round_mode_32 0
		.amdhsa_float_round_mode_16_64 0
		.amdhsa_float_denorm_mode_32 3
		.amdhsa_float_denorm_mode_16_64 3
		.amdhsa_fp16_overflow 0
		.amdhsa_workgroup_processor_mode 1
		.amdhsa_memory_ordered 1
		.amdhsa_forward_progress 1
		.amdhsa_inst_pref_size 0
		.amdhsa_round_robin_scheduling 0
		.amdhsa_exception_fp_ieee_invalid_op 0
		.amdhsa_exception_fp_denorm_src 0
		.amdhsa_exception_fp_ieee_div_zero 0
		.amdhsa_exception_fp_ieee_overflow 0
		.amdhsa_exception_fp_ieee_underflow 0
		.amdhsa_exception_fp_ieee_inexact 0
		.amdhsa_exception_int_div_zero 0
	.end_amdhsa_kernel
	.section	.text._ZN7rocprim17ROCPRIM_400000_NS6detail17trampoline_kernelINS0_14default_configENS1_25partition_config_selectorILNS1_17partition_subalgoE9EiibEEZZNS1_14partition_implILS5_9ELb0ES3_jPKiN6thrust23THRUST_200600_302600_NS17counting_iteratorIiNSB_11use_defaultESD_SD_EEPNS0_10empty_typeENS0_5tupleIJPiSF_EEENSH_IJSI_SG_EEENS0_18inequality_wrapperIN6hipcub16HIPCUB_304000_NS8EqualityEEEPlJSF_EEE10hipError_tPvRmT3_T4_T5_T6_T7_T9_mT8_P12ihipStream_tbDpT10_ENKUlT_T0_E_clISt17integral_constantIbLb1EES19_IbLb0EEEEDaS15_S16_EUlS15_E_NS1_11comp_targetILNS1_3genE3ELNS1_11target_archE908ELNS1_3gpuE7ELNS1_3repE0EEENS1_30default_config_static_selectorELNS0_4arch9wavefront6targetE0EEEvT1_,"axG",@progbits,_ZN7rocprim17ROCPRIM_400000_NS6detail17trampoline_kernelINS0_14default_configENS1_25partition_config_selectorILNS1_17partition_subalgoE9EiibEEZZNS1_14partition_implILS5_9ELb0ES3_jPKiN6thrust23THRUST_200600_302600_NS17counting_iteratorIiNSB_11use_defaultESD_SD_EEPNS0_10empty_typeENS0_5tupleIJPiSF_EEENSH_IJSI_SG_EEENS0_18inequality_wrapperIN6hipcub16HIPCUB_304000_NS8EqualityEEEPlJSF_EEE10hipError_tPvRmT3_T4_T5_T6_T7_T9_mT8_P12ihipStream_tbDpT10_ENKUlT_T0_E_clISt17integral_constantIbLb1EES19_IbLb0EEEEDaS15_S16_EUlS15_E_NS1_11comp_targetILNS1_3genE3ELNS1_11target_archE908ELNS1_3gpuE7ELNS1_3repE0EEENS1_30default_config_static_selectorELNS0_4arch9wavefront6targetE0EEEvT1_,comdat
.Lfunc_end30:
	.size	_ZN7rocprim17ROCPRIM_400000_NS6detail17trampoline_kernelINS0_14default_configENS1_25partition_config_selectorILNS1_17partition_subalgoE9EiibEEZZNS1_14partition_implILS5_9ELb0ES3_jPKiN6thrust23THRUST_200600_302600_NS17counting_iteratorIiNSB_11use_defaultESD_SD_EEPNS0_10empty_typeENS0_5tupleIJPiSF_EEENSH_IJSI_SG_EEENS0_18inequality_wrapperIN6hipcub16HIPCUB_304000_NS8EqualityEEEPlJSF_EEE10hipError_tPvRmT3_T4_T5_T6_T7_T9_mT8_P12ihipStream_tbDpT10_ENKUlT_T0_E_clISt17integral_constantIbLb1EES19_IbLb0EEEEDaS15_S16_EUlS15_E_NS1_11comp_targetILNS1_3genE3ELNS1_11target_archE908ELNS1_3gpuE7ELNS1_3repE0EEENS1_30default_config_static_selectorELNS0_4arch9wavefront6targetE0EEEvT1_, .Lfunc_end30-_ZN7rocprim17ROCPRIM_400000_NS6detail17trampoline_kernelINS0_14default_configENS1_25partition_config_selectorILNS1_17partition_subalgoE9EiibEEZZNS1_14partition_implILS5_9ELb0ES3_jPKiN6thrust23THRUST_200600_302600_NS17counting_iteratorIiNSB_11use_defaultESD_SD_EEPNS0_10empty_typeENS0_5tupleIJPiSF_EEENSH_IJSI_SG_EEENS0_18inequality_wrapperIN6hipcub16HIPCUB_304000_NS8EqualityEEEPlJSF_EEE10hipError_tPvRmT3_T4_T5_T6_T7_T9_mT8_P12ihipStream_tbDpT10_ENKUlT_T0_E_clISt17integral_constantIbLb1EES19_IbLb0EEEEDaS15_S16_EUlS15_E_NS1_11comp_targetILNS1_3genE3ELNS1_11target_archE908ELNS1_3gpuE7ELNS1_3repE0EEENS1_30default_config_static_selectorELNS0_4arch9wavefront6targetE0EEEvT1_
                                        ; -- End function
	.set _ZN7rocprim17ROCPRIM_400000_NS6detail17trampoline_kernelINS0_14default_configENS1_25partition_config_selectorILNS1_17partition_subalgoE9EiibEEZZNS1_14partition_implILS5_9ELb0ES3_jPKiN6thrust23THRUST_200600_302600_NS17counting_iteratorIiNSB_11use_defaultESD_SD_EEPNS0_10empty_typeENS0_5tupleIJPiSF_EEENSH_IJSI_SG_EEENS0_18inequality_wrapperIN6hipcub16HIPCUB_304000_NS8EqualityEEEPlJSF_EEE10hipError_tPvRmT3_T4_T5_T6_T7_T9_mT8_P12ihipStream_tbDpT10_ENKUlT_T0_E_clISt17integral_constantIbLb1EES19_IbLb0EEEEDaS15_S16_EUlS15_E_NS1_11comp_targetILNS1_3genE3ELNS1_11target_archE908ELNS1_3gpuE7ELNS1_3repE0EEENS1_30default_config_static_selectorELNS0_4arch9wavefront6targetE0EEEvT1_.num_vgpr, 0
	.set _ZN7rocprim17ROCPRIM_400000_NS6detail17trampoline_kernelINS0_14default_configENS1_25partition_config_selectorILNS1_17partition_subalgoE9EiibEEZZNS1_14partition_implILS5_9ELb0ES3_jPKiN6thrust23THRUST_200600_302600_NS17counting_iteratorIiNSB_11use_defaultESD_SD_EEPNS0_10empty_typeENS0_5tupleIJPiSF_EEENSH_IJSI_SG_EEENS0_18inequality_wrapperIN6hipcub16HIPCUB_304000_NS8EqualityEEEPlJSF_EEE10hipError_tPvRmT3_T4_T5_T6_T7_T9_mT8_P12ihipStream_tbDpT10_ENKUlT_T0_E_clISt17integral_constantIbLb1EES19_IbLb0EEEEDaS15_S16_EUlS15_E_NS1_11comp_targetILNS1_3genE3ELNS1_11target_archE908ELNS1_3gpuE7ELNS1_3repE0EEENS1_30default_config_static_selectorELNS0_4arch9wavefront6targetE0EEEvT1_.num_agpr, 0
	.set _ZN7rocprim17ROCPRIM_400000_NS6detail17trampoline_kernelINS0_14default_configENS1_25partition_config_selectorILNS1_17partition_subalgoE9EiibEEZZNS1_14partition_implILS5_9ELb0ES3_jPKiN6thrust23THRUST_200600_302600_NS17counting_iteratorIiNSB_11use_defaultESD_SD_EEPNS0_10empty_typeENS0_5tupleIJPiSF_EEENSH_IJSI_SG_EEENS0_18inequality_wrapperIN6hipcub16HIPCUB_304000_NS8EqualityEEEPlJSF_EEE10hipError_tPvRmT3_T4_T5_T6_T7_T9_mT8_P12ihipStream_tbDpT10_ENKUlT_T0_E_clISt17integral_constantIbLb1EES19_IbLb0EEEEDaS15_S16_EUlS15_E_NS1_11comp_targetILNS1_3genE3ELNS1_11target_archE908ELNS1_3gpuE7ELNS1_3repE0EEENS1_30default_config_static_selectorELNS0_4arch9wavefront6targetE0EEEvT1_.numbered_sgpr, 0
	.set _ZN7rocprim17ROCPRIM_400000_NS6detail17trampoline_kernelINS0_14default_configENS1_25partition_config_selectorILNS1_17partition_subalgoE9EiibEEZZNS1_14partition_implILS5_9ELb0ES3_jPKiN6thrust23THRUST_200600_302600_NS17counting_iteratorIiNSB_11use_defaultESD_SD_EEPNS0_10empty_typeENS0_5tupleIJPiSF_EEENSH_IJSI_SG_EEENS0_18inequality_wrapperIN6hipcub16HIPCUB_304000_NS8EqualityEEEPlJSF_EEE10hipError_tPvRmT3_T4_T5_T6_T7_T9_mT8_P12ihipStream_tbDpT10_ENKUlT_T0_E_clISt17integral_constantIbLb1EES19_IbLb0EEEEDaS15_S16_EUlS15_E_NS1_11comp_targetILNS1_3genE3ELNS1_11target_archE908ELNS1_3gpuE7ELNS1_3repE0EEENS1_30default_config_static_selectorELNS0_4arch9wavefront6targetE0EEEvT1_.num_named_barrier, 0
	.set _ZN7rocprim17ROCPRIM_400000_NS6detail17trampoline_kernelINS0_14default_configENS1_25partition_config_selectorILNS1_17partition_subalgoE9EiibEEZZNS1_14partition_implILS5_9ELb0ES3_jPKiN6thrust23THRUST_200600_302600_NS17counting_iteratorIiNSB_11use_defaultESD_SD_EEPNS0_10empty_typeENS0_5tupleIJPiSF_EEENSH_IJSI_SG_EEENS0_18inequality_wrapperIN6hipcub16HIPCUB_304000_NS8EqualityEEEPlJSF_EEE10hipError_tPvRmT3_T4_T5_T6_T7_T9_mT8_P12ihipStream_tbDpT10_ENKUlT_T0_E_clISt17integral_constantIbLb1EES19_IbLb0EEEEDaS15_S16_EUlS15_E_NS1_11comp_targetILNS1_3genE3ELNS1_11target_archE908ELNS1_3gpuE7ELNS1_3repE0EEENS1_30default_config_static_selectorELNS0_4arch9wavefront6targetE0EEEvT1_.private_seg_size, 0
	.set _ZN7rocprim17ROCPRIM_400000_NS6detail17trampoline_kernelINS0_14default_configENS1_25partition_config_selectorILNS1_17partition_subalgoE9EiibEEZZNS1_14partition_implILS5_9ELb0ES3_jPKiN6thrust23THRUST_200600_302600_NS17counting_iteratorIiNSB_11use_defaultESD_SD_EEPNS0_10empty_typeENS0_5tupleIJPiSF_EEENSH_IJSI_SG_EEENS0_18inequality_wrapperIN6hipcub16HIPCUB_304000_NS8EqualityEEEPlJSF_EEE10hipError_tPvRmT3_T4_T5_T6_T7_T9_mT8_P12ihipStream_tbDpT10_ENKUlT_T0_E_clISt17integral_constantIbLb1EES19_IbLb0EEEEDaS15_S16_EUlS15_E_NS1_11comp_targetILNS1_3genE3ELNS1_11target_archE908ELNS1_3gpuE7ELNS1_3repE0EEENS1_30default_config_static_selectorELNS0_4arch9wavefront6targetE0EEEvT1_.uses_vcc, 0
	.set _ZN7rocprim17ROCPRIM_400000_NS6detail17trampoline_kernelINS0_14default_configENS1_25partition_config_selectorILNS1_17partition_subalgoE9EiibEEZZNS1_14partition_implILS5_9ELb0ES3_jPKiN6thrust23THRUST_200600_302600_NS17counting_iteratorIiNSB_11use_defaultESD_SD_EEPNS0_10empty_typeENS0_5tupleIJPiSF_EEENSH_IJSI_SG_EEENS0_18inequality_wrapperIN6hipcub16HIPCUB_304000_NS8EqualityEEEPlJSF_EEE10hipError_tPvRmT3_T4_T5_T6_T7_T9_mT8_P12ihipStream_tbDpT10_ENKUlT_T0_E_clISt17integral_constantIbLb1EES19_IbLb0EEEEDaS15_S16_EUlS15_E_NS1_11comp_targetILNS1_3genE3ELNS1_11target_archE908ELNS1_3gpuE7ELNS1_3repE0EEENS1_30default_config_static_selectorELNS0_4arch9wavefront6targetE0EEEvT1_.uses_flat_scratch, 0
	.set _ZN7rocprim17ROCPRIM_400000_NS6detail17trampoline_kernelINS0_14default_configENS1_25partition_config_selectorILNS1_17partition_subalgoE9EiibEEZZNS1_14partition_implILS5_9ELb0ES3_jPKiN6thrust23THRUST_200600_302600_NS17counting_iteratorIiNSB_11use_defaultESD_SD_EEPNS0_10empty_typeENS0_5tupleIJPiSF_EEENSH_IJSI_SG_EEENS0_18inequality_wrapperIN6hipcub16HIPCUB_304000_NS8EqualityEEEPlJSF_EEE10hipError_tPvRmT3_T4_T5_T6_T7_T9_mT8_P12ihipStream_tbDpT10_ENKUlT_T0_E_clISt17integral_constantIbLb1EES19_IbLb0EEEEDaS15_S16_EUlS15_E_NS1_11comp_targetILNS1_3genE3ELNS1_11target_archE908ELNS1_3gpuE7ELNS1_3repE0EEENS1_30default_config_static_selectorELNS0_4arch9wavefront6targetE0EEEvT1_.has_dyn_sized_stack, 0
	.set _ZN7rocprim17ROCPRIM_400000_NS6detail17trampoline_kernelINS0_14default_configENS1_25partition_config_selectorILNS1_17partition_subalgoE9EiibEEZZNS1_14partition_implILS5_9ELb0ES3_jPKiN6thrust23THRUST_200600_302600_NS17counting_iteratorIiNSB_11use_defaultESD_SD_EEPNS0_10empty_typeENS0_5tupleIJPiSF_EEENSH_IJSI_SG_EEENS0_18inequality_wrapperIN6hipcub16HIPCUB_304000_NS8EqualityEEEPlJSF_EEE10hipError_tPvRmT3_T4_T5_T6_T7_T9_mT8_P12ihipStream_tbDpT10_ENKUlT_T0_E_clISt17integral_constantIbLb1EES19_IbLb0EEEEDaS15_S16_EUlS15_E_NS1_11comp_targetILNS1_3genE3ELNS1_11target_archE908ELNS1_3gpuE7ELNS1_3repE0EEENS1_30default_config_static_selectorELNS0_4arch9wavefront6targetE0EEEvT1_.has_recursion, 0
	.set _ZN7rocprim17ROCPRIM_400000_NS6detail17trampoline_kernelINS0_14default_configENS1_25partition_config_selectorILNS1_17partition_subalgoE9EiibEEZZNS1_14partition_implILS5_9ELb0ES3_jPKiN6thrust23THRUST_200600_302600_NS17counting_iteratorIiNSB_11use_defaultESD_SD_EEPNS0_10empty_typeENS0_5tupleIJPiSF_EEENSH_IJSI_SG_EEENS0_18inequality_wrapperIN6hipcub16HIPCUB_304000_NS8EqualityEEEPlJSF_EEE10hipError_tPvRmT3_T4_T5_T6_T7_T9_mT8_P12ihipStream_tbDpT10_ENKUlT_T0_E_clISt17integral_constantIbLb1EES19_IbLb0EEEEDaS15_S16_EUlS15_E_NS1_11comp_targetILNS1_3genE3ELNS1_11target_archE908ELNS1_3gpuE7ELNS1_3repE0EEENS1_30default_config_static_selectorELNS0_4arch9wavefront6targetE0EEEvT1_.has_indirect_call, 0
	.section	.AMDGPU.csdata,"",@progbits
; Kernel info:
; codeLenInByte = 0
; TotalNumSgprs: 0
; NumVgprs: 0
; ScratchSize: 0
; MemoryBound: 0
; FloatMode: 240
; IeeeMode: 1
; LDSByteSize: 0 bytes/workgroup (compile time only)
; SGPRBlocks: 0
; VGPRBlocks: 0
; NumSGPRsForWavesPerEU: 1
; NumVGPRsForWavesPerEU: 1
; Occupancy: 16
; WaveLimiterHint : 0
; COMPUTE_PGM_RSRC2:SCRATCH_EN: 0
; COMPUTE_PGM_RSRC2:USER_SGPR: 2
; COMPUTE_PGM_RSRC2:TRAP_HANDLER: 0
; COMPUTE_PGM_RSRC2:TGID_X_EN: 1
; COMPUTE_PGM_RSRC2:TGID_Y_EN: 0
; COMPUTE_PGM_RSRC2:TGID_Z_EN: 0
; COMPUTE_PGM_RSRC2:TIDIG_COMP_CNT: 0
	.section	.text._ZN7rocprim17ROCPRIM_400000_NS6detail17trampoline_kernelINS0_14default_configENS1_25partition_config_selectorILNS1_17partition_subalgoE9EiibEEZZNS1_14partition_implILS5_9ELb0ES3_jPKiN6thrust23THRUST_200600_302600_NS17counting_iteratorIiNSB_11use_defaultESD_SD_EEPNS0_10empty_typeENS0_5tupleIJPiSF_EEENSH_IJSI_SG_EEENS0_18inequality_wrapperIN6hipcub16HIPCUB_304000_NS8EqualityEEEPlJSF_EEE10hipError_tPvRmT3_T4_T5_T6_T7_T9_mT8_P12ihipStream_tbDpT10_ENKUlT_T0_E_clISt17integral_constantIbLb1EES19_IbLb0EEEEDaS15_S16_EUlS15_E_NS1_11comp_targetILNS1_3genE2ELNS1_11target_archE906ELNS1_3gpuE6ELNS1_3repE0EEENS1_30default_config_static_selectorELNS0_4arch9wavefront6targetE0EEEvT1_,"axG",@progbits,_ZN7rocprim17ROCPRIM_400000_NS6detail17trampoline_kernelINS0_14default_configENS1_25partition_config_selectorILNS1_17partition_subalgoE9EiibEEZZNS1_14partition_implILS5_9ELb0ES3_jPKiN6thrust23THRUST_200600_302600_NS17counting_iteratorIiNSB_11use_defaultESD_SD_EEPNS0_10empty_typeENS0_5tupleIJPiSF_EEENSH_IJSI_SG_EEENS0_18inequality_wrapperIN6hipcub16HIPCUB_304000_NS8EqualityEEEPlJSF_EEE10hipError_tPvRmT3_T4_T5_T6_T7_T9_mT8_P12ihipStream_tbDpT10_ENKUlT_T0_E_clISt17integral_constantIbLb1EES19_IbLb0EEEEDaS15_S16_EUlS15_E_NS1_11comp_targetILNS1_3genE2ELNS1_11target_archE906ELNS1_3gpuE6ELNS1_3repE0EEENS1_30default_config_static_selectorELNS0_4arch9wavefront6targetE0EEEvT1_,comdat
	.protected	_ZN7rocprim17ROCPRIM_400000_NS6detail17trampoline_kernelINS0_14default_configENS1_25partition_config_selectorILNS1_17partition_subalgoE9EiibEEZZNS1_14partition_implILS5_9ELb0ES3_jPKiN6thrust23THRUST_200600_302600_NS17counting_iteratorIiNSB_11use_defaultESD_SD_EEPNS0_10empty_typeENS0_5tupleIJPiSF_EEENSH_IJSI_SG_EEENS0_18inequality_wrapperIN6hipcub16HIPCUB_304000_NS8EqualityEEEPlJSF_EEE10hipError_tPvRmT3_T4_T5_T6_T7_T9_mT8_P12ihipStream_tbDpT10_ENKUlT_T0_E_clISt17integral_constantIbLb1EES19_IbLb0EEEEDaS15_S16_EUlS15_E_NS1_11comp_targetILNS1_3genE2ELNS1_11target_archE906ELNS1_3gpuE6ELNS1_3repE0EEENS1_30default_config_static_selectorELNS0_4arch9wavefront6targetE0EEEvT1_ ; -- Begin function _ZN7rocprim17ROCPRIM_400000_NS6detail17trampoline_kernelINS0_14default_configENS1_25partition_config_selectorILNS1_17partition_subalgoE9EiibEEZZNS1_14partition_implILS5_9ELb0ES3_jPKiN6thrust23THRUST_200600_302600_NS17counting_iteratorIiNSB_11use_defaultESD_SD_EEPNS0_10empty_typeENS0_5tupleIJPiSF_EEENSH_IJSI_SG_EEENS0_18inequality_wrapperIN6hipcub16HIPCUB_304000_NS8EqualityEEEPlJSF_EEE10hipError_tPvRmT3_T4_T5_T6_T7_T9_mT8_P12ihipStream_tbDpT10_ENKUlT_T0_E_clISt17integral_constantIbLb1EES19_IbLb0EEEEDaS15_S16_EUlS15_E_NS1_11comp_targetILNS1_3genE2ELNS1_11target_archE906ELNS1_3gpuE6ELNS1_3repE0EEENS1_30default_config_static_selectorELNS0_4arch9wavefront6targetE0EEEvT1_
	.globl	_ZN7rocprim17ROCPRIM_400000_NS6detail17trampoline_kernelINS0_14default_configENS1_25partition_config_selectorILNS1_17partition_subalgoE9EiibEEZZNS1_14partition_implILS5_9ELb0ES3_jPKiN6thrust23THRUST_200600_302600_NS17counting_iteratorIiNSB_11use_defaultESD_SD_EEPNS0_10empty_typeENS0_5tupleIJPiSF_EEENSH_IJSI_SG_EEENS0_18inequality_wrapperIN6hipcub16HIPCUB_304000_NS8EqualityEEEPlJSF_EEE10hipError_tPvRmT3_T4_T5_T6_T7_T9_mT8_P12ihipStream_tbDpT10_ENKUlT_T0_E_clISt17integral_constantIbLb1EES19_IbLb0EEEEDaS15_S16_EUlS15_E_NS1_11comp_targetILNS1_3genE2ELNS1_11target_archE906ELNS1_3gpuE6ELNS1_3repE0EEENS1_30default_config_static_selectorELNS0_4arch9wavefront6targetE0EEEvT1_
	.p2align	8
	.type	_ZN7rocprim17ROCPRIM_400000_NS6detail17trampoline_kernelINS0_14default_configENS1_25partition_config_selectorILNS1_17partition_subalgoE9EiibEEZZNS1_14partition_implILS5_9ELb0ES3_jPKiN6thrust23THRUST_200600_302600_NS17counting_iteratorIiNSB_11use_defaultESD_SD_EEPNS0_10empty_typeENS0_5tupleIJPiSF_EEENSH_IJSI_SG_EEENS0_18inequality_wrapperIN6hipcub16HIPCUB_304000_NS8EqualityEEEPlJSF_EEE10hipError_tPvRmT3_T4_T5_T6_T7_T9_mT8_P12ihipStream_tbDpT10_ENKUlT_T0_E_clISt17integral_constantIbLb1EES19_IbLb0EEEEDaS15_S16_EUlS15_E_NS1_11comp_targetILNS1_3genE2ELNS1_11target_archE906ELNS1_3gpuE6ELNS1_3repE0EEENS1_30default_config_static_selectorELNS0_4arch9wavefront6targetE0EEEvT1_,@function
_ZN7rocprim17ROCPRIM_400000_NS6detail17trampoline_kernelINS0_14default_configENS1_25partition_config_selectorILNS1_17partition_subalgoE9EiibEEZZNS1_14partition_implILS5_9ELb0ES3_jPKiN6thrust23THRUST_200600_302600_NS17counting_iteratorIiNSB_11use_defaultESD_SD_EEPNS0_10empty_typeENS0_5tupleIJPiSF_EEENSH_IJSI_SG_EEENS0_18inequality_wrapperIN6hipcub16HIPCUB_304000_NS8EqualityEEEPlJSF_EEE10hipError_tPvRmT3_T4_T5_T6_T7_T9_mT8_P12ihipStream_tbDpT10_ENKUlT_T0_E_clISt17integral_constantIbLb1EES19_IbLb0EEEEDaS15_S16_EUlS15_E_NS1_11comp_targetILNS1_3genE2ELNS1_11target_archE906ELNS1_3gpuE6ELNS1_3repE0EEENS1_30default_config_static_selectorELNS0_4arch9wavefront6targetE0EEEvT1_: ; @_ZN7rocprim17ROCPRIM_400000_NS6detail17trampoline_kernelINS0_14default_configENS1_25partition_config_selectorILNS1_17partition_subalgoE9EiibEEZZNS1_14partition_implILS5_9ELb0ES3_jPKiN6thrust23THRUST_200600_302600_NS17counting_iteratorIiNSB_11use_defaultESD_SD_EEPNS0_10empty_typeENS0_5tupleIJPiSF_EEENSH_IJSI_SG_EEENS0_18inequality_wrapperIN6hipcub16HIPCUB_304000_NS8EqualityEEEPlJSF_EEE10hipError_tPvRmT3_T4_T5_T6_T7_T9_mT8_P12ihipStream_tbDpT10_ENKUlT_T0_E_clISt17integral_constantIbLb1EES19_IbLb0EEEEDaS15_S16_EUlS15_E_NS1_11comp_targetILNS1_3genE2ELNS1_11target_archE906ELNS1_3gpuE6ELNS1_3repE0EEENS1_30default_config_static_selectorELNS0_4arch9wavefront6targetE0EEEvT1_
; %bb.0:
	.section	.rodata,"a",@progbits
	.p2align	6, 0x0
	.amdhsa_kernel _ZN7rocprim17ROCPRIM_400000_NS6detail17trampoline_kernelINS0_14default_configENS1_25partition_config_selectorILNS1_17partition_subalgoE9EiibEEZZNS1_14partition_implILS5_9ELb0ES3_jPKiN6thrust23THRUST_200600_302600_NS17counting_iteratorIiNSB_11use_defaultESD_SD_EEPNS0_10empty_typeENS0_5tupleIJPiSF_EEENSH_IJSI_SG_EEENS0_18inequality_wrapperIN6hipcub16HIPCUB_304000_NS8EqualityEEEPlJSF_EEE10hipError_tPvRmT3_T4_T5_T6_T7_T9_mT8_P12ihipStream_tbDpT10_ENKUlT_T0_E_clISt17integral_constantIbLb1EES19_IbLb0EEEEDaS15_S16_EUlS15_E_NS1_11comp_targetILNS1_3genE2ELNS1_11target_archE906ELNS1_3gpuE6ELNS1_3repE0EEENS1_30default_config_static_selectorELNS0_4arch9wavefront6targetE0EEEvT1_
		.amdhsa_group_segment_fixed_size 0
		.amdhsa_private_segment_fixed_size 0
		.amdhsa_kernarg_size 112
		.amdhsa_user_sgpr_count 2
		.amdhsa_user_sgpr_dispatch_ptr 0
		.amdhsa_user_sgpr_queue_ptr 0
		.amdhsa_user_sgpr_kernarg_segment_ptr 1
		.amdhsa_user_sgpr_dispatch_id 0
		.amdhsa_user_sgpr_private_segment_size 0
		.amdhsa_wavefront_size32 1
		.amdhsa_uses_dynamic_stack 0
		.amdhsa_enable_private_segment 0
		.amdhsa_system_sgpr_workgroup_id_x 1
		.amdhsa_system_sgpr_workgroup_id_y 0
		.amdhsa_system_sgpr_workgroup_id_z 0
		.amdhsa_system_sgpr_workgroup_info 0
		.amdhsa_system_vgpr_workitem_id 0
		.amdhsa_next_free_vgpr 1
		.amdhsa_next_free_sgpr 1
		.amdhsa_reserve_vcc 0
		.amdhsa_float_round_mode_32 0
		.amdhsa_float_round_mode_16_64 0
		.amdhsa_float_denorm_mode_32 3
		.amdhsa_float_denorm_mode_16_64 3
		.amdhsa_fp16_overflow 0
		.amdhsa_workgroup_processor_mode 1
		.amdhsa_memory_ordered 1
		.amdhsa_forward_progress 1
		.amdhsa_inst_pref_size 0
		.amdhsa_round_robin_scheduling 0
		.amdhsa_exception_fp_ieee_invalid_op 0
		.amdhsa_exception_fp_denorm_src 0
		.amdhsa_exception_fp_ieee_div_zero 0
		.amdhsa_exception_fp_ieee_overflow 0
		.amdhsa_exception_fp_ieee_underflow 0
		.amdhsa_exception_fp_ieee_inexact 0
		.amdhsa_exception_int_div_zero 0
	.end_amdhsa_kernel
	.section	.text._ZN7rocprim17ROCPRIM_400000_NS6detail17trampoline_kernelINS0_14default_configENS1_25partition_config_selectorILNS1_17partition_subalgoE9EiibEEZZNS1_14partition_implILS5_9ELb0ES3_jPKiN6thrust23THRUST_200600_302600_NS17counting_iteratorIiNSB_11use_defaultESD_SD_EEPNS0_10empty_typeENS0_5tupleIJPiSF_EEENSH_IJSI_SG_EEENS0_18inequality_wrapperIN6hipcub16HIPCUB_304000_NS8EqualityEEEPlJSF_EEE10hipError_tPvRmT3_T4_T5_T6_T7_T9_mT8_P12ihipStream_tbDpT10_ENKUlT_T0_E_clISt17integral_constantIbLb1EES19_IbLb0EEEEDaS15_S16_EUlS15_E_NS1_11comp_targetILNS1_3genE2ELNS1_11target_archE906ELNS1_3gpuE6ELNS1_3repE0EEENS1_30default_config_static_selectorELNS0_4arch9wavefront6targetE0EEEvT1_,"axG",@progbits,_ZN7rocprim17ROCPRIM_400000_NS6detail17trampoline_kernelINS0_14default_configENS1_25partition_config_selectorILNS1_17partition_subalgoE9EiibEEZZNS1_14partition_implILS5_9ELb0ES3_jPKiN6thrust23THRUST_200600_302600_NS17counting_iteratorIiNSB_11use_defaultESD_SD_EEPNS0_10empty_typeENS0_5tupleIJPiSF_EEENSH_IJSI_SG_EEENS0_18inequality_wrapperIN6hipcub16HIPCUB_304000_NS8EqualityEEEPlJSF_EEE10hipError_tPvRmT3_T4_T5_T6_T7_T9_mT8_P12ihipStream_tbDpT10_ENKUlT_T0_E_clISt17integral_constantIbLb1EES19_IbLb0EEEEDaS15_S16_EUlS15_E_NS1_11comp_targetILNS1_3genE2ELNS1_11target_archE906ELNS1_3gpuE6ELNS1_3repE0EEENS1_30default_config_static_selectorELNS0_4arch9wavefront6targetE0EEEvT1_,comdat
.Lfunc_end31:
	.size	_ZN7rocprim17ROCPRIM_400000_NS6detail17trampoline_kernelINS0_14default_configENS1_25partition_config_selectorILNS1_17partition_subalgoE9EiibEEZZNS1_14partition_implILS5_9ELb0ES3_jPKiN6thrust23THRUST_200600_302600_NS17counting_iteratorIiNSB_11use_defaultESD_SD_EEPNS0_10empty_typeENS0_5tupleIJPiSF_EEENSH_IJSI_SG_EEENS0_18inequality_wrapperIN6hipcub16HIPCUB_304000_NS8EqualityEEEPlJSF_EEE10hipError_tPvRmT3_T4_T5_T6_T7_T9_mT8_P12ihipStream_tbDpT10_ENKUlT_T0_E_clISt17integral_constantIbLb1EES19_IbLb0EEEEDaS15_S16_EUlS15_E_NS1_11comp_targetILNS1_3genE2ELNS1_11target_archE906ELNS1_3gpuE6ELNS1_3repE0EEENS1_30default_config_static_selectorELNS0_4arch9wavefront6targetE0EEEvT1_, .Lfunc_end31-_ZN7rocprim17ROCPRIM_400000_NS6detail17trampoline_kernelINS0_14default_configENS1_25partition_config_selectorILNS1_17partition_subalgoE9EiibEEZZNS1_14partition_implILS5_9ELb0ES3_jPKiN6thrust23THRUST_200600_302600_NS17counting_iteratorIiNSB_11use_defaultESD_SD_EEPNS0_10empty_typeENS0_5tupleIJPiSF_EEENSH_IJSI_SG_EEENS0_18inequality_wrapperIN6hipcub16HIPCUB_304000_NS8EqualityEEEPlJSF_EEE10hipError_tPvRmT3_T4_T5_T6_T7_T9_mT8_P12ihipStream_tbDpT10_ENKUlT_T0_E_clISt17integral_constantIbLb1EES19_IbLb0EEEEDaS15_S16_EUlS15_E_NS1_11comp_targetILNS1_3genE2ELNS1_11target_archE906ELNS1_3gpuE6ELNS1_3repE0EEENS1_30default_config_static_selectorELNS0_4arch9wavefront6targetE0EEEvT1_
                                        ; -- End function
	.set _ZN7rocprim17ROCPRIM_400000_NS6detail17trampoline_kernelINS0_14default_configENS1_25partition_config_selectorILNS1_17partition_subalgoE9EiibEEZZNS1_14partition_implILS5_9ELb0ES3_jPKiN6thrust23THRUST_200600_302600_NS17counting_iteratorIiNSB_11use_defaultESD_SD_EEPNS0_10empty_typeENS0_5tupleIJPiSF_EEENSH_IJSI_SG_EEENS0_18inequality_wrapperIN6hipcub16HIPCUB_304000_NS8EqualityEEEPlJSF_EEE10hipError_tPvRmT3_T4_T5_T6_T7_T9_mT8_P12ihipStream_tbDpT10_ENKUlT_T0_E_clISt17integral_constantIbLb1EES19_IbLb0EEEEDaS15_S16_EUlS15_E_NS1_11comp_targetILNS1_3genE2ELNS1_11target_archE906ELNS1_3gpuE6ELNS1_3repE0EEENS1_30default_config_static_selectorELNS0_4arch9wavefront6targetE0EEEvT1_.num_vgpr, 0
	.set _ZN7rocprim17ROCPRIM_400000_NS6detail17trampoline_kernelINS0_14default_configENS1_25partition_config_selectorILNS1_17partition_subalgoE9EiibEEZZNS1_14partition_implILS5_9ELb0ES3_jPKiN6thrust23THRUST_200600_302600_NS17counting_iteratorIiNSB_11use_defaultESD_SD_EEPNS0_10empty_typeENS0_5tupleIJPiSF_EEENSH_IJSI_SG_EEENS0_18inequality_wrapperIN6hipcub16HIPCUB_304000_NS8EqualityEEEPlJSF_EEE10hipError_tPvRmT3_T4_T5_T6_T7_T9_mT8_P12ihipStream_tbDpT10_ENKUlT_T0_E_clISt17integral_constantIbLb1EES19_IbLb0EEEEDaS15_S16_EUlS15_E_NS1_11comp_targetILNS1_3genE2ELNS1_11target_archE906ELNS1_3gpuE6ELNS1_3repE0EEENS1_30default_config_static_selectorELNS0_4arch9wavefront6targetE0EEEvT1_.num_agpr, 0
	.set _ZN7rocprim17ROCPRIM_400000_NS6detail17trampoline_kernelINS0_14default_configENS1_25partition_config_selectorILNS1_17partition_subalgoE9EiibEEZZNS1_14partition_implILS5_9ELb0ES3_jPKiN6thrust23THRUST_200600_302600_NS17counting_iteratorIiNSB_11use_defaultESD_SD_EEPNS0_10empty_typeENS0_5tupleIJPiSF_EEENSH_IJSI_SG_EEENS0_18inequality_wrapperIN6hipcub16HIPCUB_304000_NS8EqualityEEEPlJSF_EEE10hipError_tPvRmT3_T4_T5_T6_T7_T9_mT8_P12ihipStream_tbDpT10_ENKUlT_T0_E_clISt17integral_constantIbLb1EES19_IbLb0EEEEDaS15_S16_EUlS15_E_NS1_11comp_targetILNS1_3genE2ELNS1_11target_archE906ELNS1_3gpuE6ELNS1_3repE0EEENS1_30default_config_static_selectorELNS0_4arch9wavefront6targetE0EEEvT1_.numbered_sgpr, 0
	.set _ZN7rocprim17ROCPRIM_400000_NS6detail17trampoline_kernelINS0_14default_configENS1_25partition_config_selectorILNS1_17partition_subalgoE9EiibEEZZNS1_14partition_implILS5_9ELb0ES3_jPKiN6thrust23THRUST_200600_302600_NS17counting_iteratorIiNSB_11use_defaultESD_SD_EEPNS0_10empty_typeENS0_5tupleIJPiSF_EEENSH_IJSI_SG_EEENS0_18inequality_wrapperIN6hipcub16HIPCUB_304000_NS8EqualityEEEPlJSF_EEE10hipError_tPvRmT3_T4_T5_T6_T7_T9_mT8_P12ihipStream_tbDpT10_ENKUlT_T0_E_clISt17integral_constantIbLb1EES19_IbLb0EEEEDaS15_S16_EUlS15_E_NS1_11comp_targetILNS1_3genE2ELNS1_11target_archE906ELNS1_3gpuE6ELNS1_3repE0EEENS1_30default_config_static_selectorELNS0_4arch9wavefront6targetE0EEEvT1_.num_named_barrier, 0
	.set _ZN7rocprim17ROCPRIM_400000_NS6detail17trampoline_kernelINS0_14default_configENS1_25partition_config_selectorILNS1_17partition_subalgoE9EiibEEZZNS1_14partition_implILS5_9ELb0ES3_jPKiN6thrust23THRUST_200600_302600_NS17counting_iteratorIiNSB_11use_defaultESD_SD_EEPNS0_10empty_typeENS0_5tupleIJPiSF_EEENSH_IJSI_SG_EEENS0_18inequality_wrapperIN6hipcub16HIPCUB_304000_NS8EqualityEEEPlJSF_EEE10hipError_tPvRmT3_T4_T5_T6_T7_T9_mT8_P12ihipStream_tbDpT10_ENKUlT_T0_E_clISt17integral_constantIbLb1EES19_IbLb0EEEEDaS15_S16_EUlS15_E_NS1_11comp_targetILNS1_3genE2ELNS1_11target_archE906ELNS1_3gpuE6ELNS1_3repE0EEENS1_30default_config_static_selectorELNS0_4arch9wavefront6targetE0EEEvT1_.private_seg_size, 0
	.set _ZN7rocprim17ROCPRIM_400000_NS6detail17trampoline_kernelINS0_14default_configENS1_25partition_config_selectorILNS1_17partition_subalgoE9EiibEEZZNS1_14partition_implILS5_9ELb0ES3_jPKiN6thrust23THRUST_200600_302600_NS17counting_iteratorIiNSB_11use_defaultESD_SD_EEPNS0_10empty_typeENS0_5tupleIJPiSF_EEENSH_IJSI_SG_EEENS0_18inequality_wrapperIN6hipcub16HIPCUB_304000_NS8EqualityEEEPlJSF_EEE10hipError_tPvRmT3_T4_T5_T6_T7_T9_mT8_P12ihipStream_tbDpT10_ENKUlT_T0_E_clISt17integral_constantIbLb1EES19_IbLb0EEEEDaS15_S16_EUlS15_E_NS1_11comp_targetILNS1_3genE2ELNS1_11target_archE906ELNS1_3gpuE6ELNS1_3repE0EEENS1_30default_config_static_selectorELNS0_4arch9wavefront6targetE0EEEvT1_.uses_vcc, 0
	.set _ZN7rocprim17ROCPRIM_400000_NS6detail17trampoline_kernelINS0_14default_configENS1_25partition_config_selectorILNS1_17partition_subalgoE9EiibEEZZNS1_14partition_implILS5_9ELb0ES3_jPKiN6thrust23THRUST_200600_302600_NS17counting_iteratorIiNSB_11use_defaultESD_SD_EEPNS0_10empty_typeENS0_5tupleIJPiSF_EEENSH_IJSI_SG_EEENS0_18inequality_wrapperIN6hipcub16HIPCUB_304000_NS8EqualityEEEPlJSF_EEE10hipError_tPvRmT3_T4_T5_T6_T7_T9_mT8_P12ihipStream_tbDpT10_ENKUlT_T0_E_clISt17integral_constantIbLb1EES19_IbLb0EEEEDaS15_S16_EUlS15_E_NS1_11comp_targetILNS1_3genE2ELNS1_11target_archE906ELNS1_3gpuE6ELNS1_3repE0EEENS1_30default_config_static_selectorELNS0_4arch9wavefront6targetE0EEEvT1_.uses_flat_scratch, 0
	.set _ZN7rocprim17ROCPRIM_400000_NS6detail17trampoline_kernelINS0_14default_configENS1_25partition_config_selectorILNS1_17partition_subalgoE9EiibEEZZNS1_14partition_implILS5_9ELb0ES3_jPKiN6thrust23THRUST_200600_302600_NS17counting_iteratorIiNSB_11use_defaultESD_SD_EEPNS0_10empty_typeENS0_5tupleIJPiSF_EEENSH_IJSI_SG_EEENS0_18inequality_wrapperIN6hipcub16HIPCUB_304000_NS8EqualityEEEPlJSF_EEE10hipError_tPvRmT3_T4_T5_T6_T7_T9_mT8_P12ihipStream_tbDpT10_ENKUlT_T0_E_clISt17integral_constantIbLb1EES19_IbLb0EEEEDaS15_S16_EUlS15_E_NS1_11comp_targetILNS1_3genE2ELNS1_11target_archE906ELNS1_3gpuE6ELNS1_3repE0EEENS1_30default_config_static_selectorELNS0_4arch9wavefront6targetE0EEEvT1_.has_dyn_sized_stack, 0
	.set _ZN7rocprim17ROCPRIM_400000_NS6detail17trampoline_kernelINS0_14default_configENS1_25partition_config_selectorILNS1_17partition_subalgoE9EiibEEZZNS1_14partition_implILS5_9ELb0ES3_jPKiN6thrust23THRUST_200600_302600_NS17counting_iteratorIiNSB_11use_defaultESD_SD_EEPNS0_10empty_typeENS0_5tupleIJPiSF_EEENSH_IJSI_SG_EEENS0_18inequality_wrapperIN6hipcub16HIPCUB_304000_NS8EqualityEEEPlJSF_EEE10hipError_tPvRmT3_T4_T5_T6_T7_T9_mT8_P12ihipStream_tbDpT10_ENKUlT_T0_E_clISt17integral_constantIbLb1EES19_IbLb0EEEEDaS15_S16_EUlS15_E_NS1_11comp_targetILNS1_3genE2ELNS1_11target_archE906ELNS1_3gpuE6ELNS1_3repE0EEENS1_30default_config_static_selectorELNS0_4arch9wavefront6targetE0EEEvT1_.has_recursion, 0
	.set _ZN7rocprim17ROCPRIM_400000_NS6detail17trampoline_kernelINS0_14default_configENS1_25partition_config_selectorILNS1_17partition_subalgoE9EiibEEZZNS1_14partition_implILS5_9ELb0ES3_jPKiN6thrust23THRUST_200600_302600_NS17counting_iteratorIiNSB_11use_defaultESD_SD_EEPNS0_10empty_typeENS0_5tupleIJPiSF_EEENSH_IJSI_SG_EEENS0_18inequality_wrapperIN6hipcub16HIPCUB_304000_NS8EqualityEEEPlJSF_EEE10hipError_tPvRmT3_T4_T5_T6_T7_T9_mT8_P12ihipStream_tbDpT10_ENKUlT_T0_E_clISt17integral_constantIbLb1EES19_IbLb0EEEEDaS15_S16_EUlS15_E_NS1_11comp_targetILNS1_3genE2ELNS1_11target_archE906ELNS1_3gpuE6ELNS1_3repE0EEENS1_30default_config_static_selectorELNS0_4arch9wavefront6targetE0EEEvT1_.has_indirect_call, 0
	.section	.AMDGPU.csdata,"",@progbits
; Kernel info:
; codeLenInByte = 0
; TotalNumSgprs: 0
; NumVgprs: 0
; ScratchSize: 0
; MemoryBound: 0
; FloatMode: 240
; IeeeMode: 1
; LDSByteSize: 0 bytes/workgroup (compile time only)
; SGPRBlocks: 0
; VGPRBlocks: 0
; NumSGPRsForWavesPerEU: 1
; NumVGPRsForWavesPerEU: 1
; Occupancy: 16
; WaveLimiterHint : 0
; COMPUTE_PGM_RSRC2:SCRATCH_EN: 0
; COMPUTE_PGM_RSRC2:USER_SGPR: 2
; COMPUTE_PGM_RSRC2:TRAP_HANDLER: 0
; COMPUTE_PGM_RSRC2:TGID_X_EN: 1
; COMPUTE_PGM_RSRC2:TGID_Y_EN: 0
; COMPUTE_PGM_RSRC2:TGID_Z_EN: 0
; COMPUTE_PGM_RSRC2:TIDIG_COMP_CNT: 0
	.section	.text._ZN7rocprim17ROCPRIM_400000_NS6detail17trampoline_kernelINS0_14default_configENS1_25partition_config_selectorILNS1_17partition_subalgoE9EiibEEZZNS1_14partition_implILS5_9ELb0ES3_jPKiN6thrust23THRUST_200600_302600_NS17counting_iteratorIiNSB_11use_defaultESD_SD_EEPNS0_10empty_typeENS0_5tupleIJPiSF_EEENSH_IJSI_SG_EEENS0_18inequality_wrapperIN6hipcub16HIPCUB_304000_NS8EqualityEEEPlJSF_EEE10hipError_tPvRmT3_T4_T5_T6_T7_T9_mT8_P12ihipStream_tbDpT10_ENKUlT_T0_E_clISt17integral_constantIbLb1EES19_IbLb0EEEEDaS15_S16_EUlS15_E_NS1_11comp_targetILNS1_3genE10ELNS1_11target_archE1200ELNS1_3gpuE4ELNS1_3repE0EEENS1_30default_config_static_selectorELNS0_4arch9wavefront6targetE0EEEvT1_,"axG",@progbits,_ZN7rocprim17ROCPRIM_400000_NS6detail17trampoline_kernelINS0_14default_configENS1_25partition_config_selectorILNS1_17partition_subalgoE9EiibEEZZNS1_14partition_implILS5_9ELb0ES3_jPKiN6thrust23THRUST_200600_302600_NS17counting_iteratorIiNSB_11use_defaultESD_SD_EEPNS0_10empty_typeENS0_5tupleIJPiSF_EEENSH_IJSI_SG_EEENS0_18inequality_wrapperIN6hipcub16HIPCUB_304000_NS8EqualityEEEPlJSF_EEE10hipError_tPvRmT3_T4_T5_T6_T7_T9_mT8_P12ihipStream_tbDpT10_ENKUlT_T0_E_clISt17integral_constantIbLb1EES19_IbLb0EEEEDaS15_S16_EUlS15_E_NS1_11comp_targetILNS1_3genE10ELNS1_11target_archE1200ELNS1_3gpuE4ELNS1_3repE0EEENS1_30default_config_static_selectorELNS0_4arch9wavefront6targetE0EEEvT1_,comdat
	.protected	_ZN7rocprim17ROCPRIM_400000_NS6detail17trampoline_kernelINS0_14default_configENS1_25partition_config_selectorILNS1_17partition_subalgoE9EiibEEZZNS1_14partition_implILS5_9ELb0ES3_jPKiN6thrust23THRUST_200600_302600_NS17counting_iteratorIiNSB_11use_defaultESD_SD_EEPNS0_10empty_typeENS0_5tupleIJPiSF_EEENSH_IJSI_SG_EEENS0_18inequality_wrapperIN6hipcub16HIPCUB_304000_NS8EqualityEEEPlJSF_EEE10hipError_tPvRmT3_T4_T5_T6_T7_T9_mT8_P12ihipStream_tbDpT10_ENKUlT_T0_E_clISt17integral_constantIbLb1EES19_IbLb0EEEEDaS15_S16_EUlS15_E_NS1_11comp_targetILNS1_3genE10ELNS1_11target_archE1200ELNS1_3gpuE4ELNS1_3repE0EEENS1_30default_config_static_selectorELNS0_4arch9wavefront6targetE0EEEvT1_ ; -- Begin function _ZN7rocprim17ROCPRIM_400000_NS6detail17trampoline_kernelINS0_14default_configENS1_25partition_config_selectorILNS1_17partition_subalgoE9EiibEEZZNS1_14partition_implILS5_9ELb0ES3_jPKiN6thrust23THRUST_200600_302600_NS17counting_iteratorIiNSB_11use_defaultESD_SD_EEPNS0_10empty_typeENS0_5tupleIJPiSF_EEENSH_IJSI_SG_EEENS0_18inequality_wrapperIN6hipcub16HIPCUB_304000_NS8EqualityEEEPlJSF_EEE10hipError_tPvRmT3_T4_T5_T6_T7_T9_mT8_P12ihipStream_tbDpT10_ENKUlT_T0_E_clISt17integral_constantIbLb1EES19_IbLb0EEEEDaS15_S16_EUlS15_E_NS1_11comp_targetILNS1_3genE10ELNS1_11target_archE1200ELNS1_3gpuE4ELNS1_3repE0EEENS1_30default_config_static_selectorELNS0_4arch9wavefront6targetE0EEEvT1_
	.globl	_ZN7rocprim17ROCPRIM_400000_NS6detail17trampoline_kernelINS0_14default_configENS1_25partition_config_selectorILNS1_17partition_subalgoE9EiibEEZZNS1_14partition_implILS5_9ELb0ES3_jPKiN6thrust23THRUST_200600_302600_NS17counting_iteratorIiNSB_11use_defaultESD_SD_EEPNS0_10empty_typeENS0_5tupleIJPiSF_EEENSH_IJSI_SG_EEENS0_18inequality_wrapperIN6hipcub16HIPCUB_304000_NS8EqualityEEEPlJSF_EEE10hipError_tPvRmT3_T4_T5_T6_T7_T9_mT8_P12ihipStream_tbDpT10_ENKUlT_T0_E_clISt17integral_constantIbLb1EES19_IbLb0EEEEDaS15_S16_EUlS15_E_NS1_11comp_targetILNS1_3genE10ELNS1_11target_archE1200ELNS1_3gpuE4ELNS1_3repE0EEENS1_30default_config_static_selectorELNS0_4arch9wavefront6targetE0EEEvT1_
	.p2align	8
	.type	_ZN7rocprim17ROCPRIM_400000_NS6detail17trampoline_kernelINS0_14default_configENS1_25partition_config_selectorILNS1_17partition_subalgoE9EiibEEZZNS1_14partition_implILS5_9ELb0ES3_jPKiN6thrust23THRUST_200600_302600_NS17counting_iteratorIiNSB_11use_defaultESD_SD_EEPNS0_10empty_typeENS0_5tupleIJPiSF_EEENSH_IJSI_SG_EEENS0_18inequality_wrapperIN6hipcub16HIPCUB_304000_NS8EqualityEEEPlJSF_EEE10hipError_tPvRmT3_T4_T5_T6_T7_T9_mT8_P12ihipStream_tbDpT10_ENKUlT_T0_E_clISt17integral_constantIbLb1EES19_IbLb0EEEEDaS15_S16_EUlS15_E_NS1_11comp_targetILNS1_3genE10ELNS1_11target_archE1200ELNS1_3gpuE4ELNS1_3repE0EEENS1_30default_config_static_selectorELNS0_4arch9wavefront6targetE0EEEvT1_,@function
_ZN7rocprim17ROCPRIM_400000_NS6detail17trampoline_kernelINS0_14default_configENS1_25partition_config_selectorILNS1_17partition_subalgoE9EiibEEZZNS1_14partition_implILS5_9ELb0ES3_jPKiN6thrust23THRUST_200600_302600_NS17counting_iteratorIiNSB_11use_defaultESD_SD_EEPNS0_10empty_typeENS0_5tupleIJPiSF_EEENSH_IJSI_SG_EEENS0_18inequality_wrapperIN6hipcub16HIPCUB_304000_NS8EqualityEEEPlJSF_EEE10hipError_tPvRmT3_T4_T5_T6_T7_T9_mT8_P12ihipStream_tbDpT10_ENKUlT_T0_E_clISt17integral_constantIbLb1EES19_IbLb0EEEEDaS15_S16_EUlS15_E_NS1_11comp_targetILNS1_3genE10ELNS1_11target_archE1200ELNS1_3gpuE4ELNS1_3repE0EEENS1_30default_config_static_selectorELNS0_4arch9wavefront6targetE0EEEvT1_: ; @_ZN7rocprim17ROCPRIM_400000_NS6detail17trampoline_kernelINS0_14default_configENS1_25partition_config_selectorILNS1_17partition_subalgoE9EiibEEZZNS1_14partition_implILS5_9ELb0ES3_jPKiN6thrust23THRUST_200600_302600_NS17counting_iteratorIiNSB_11use_defaultESD_SD_EEPNS0_10empty_typeENS0_5tupleIJPiSF_EEENSH_IJSI_SG_EEENS0_18inequality_wrapperIN6hipcub16HIPCUB_304000_NS8EqualityEEEPlJSF_EEE10hipError_tPvRmT3_T4_T5_T6_T7_T9_mT8_P12ihipStream_tbDpT10_ENKUlT_T0_E_clISt17integral_constantIbLb1EES19_IbLb0EEEEDaS15_S16_EUlS15_E_NS1_11comp_targetILNS1_3genE10ELNS1_11target_archE1200ELNS1_3gpuE4ELNS1_3repE0EEENS1_30default_config_static_selectorELNS0_4arch9wavefront6targetE0EEEvT1_
; %bb.0:
	s_endpgm
	.section	.rodata,"a",@progbits
	.p2align	6, 0x0
	.amdhsa_kernel _ZN7rocprim17ROCPRIM_400000_NS6detail17trampoline_kernelINS0_14default_configENS1_25partition_config_selectorILNS1_17partition_subalgoE9EiibEEZZNS1_14partition_implILS5_9ELb0ES3_jPKiN6thrust23THRUST_200600_302600_NS17counting_iteratorIiNSB_11use_defaultESD_SD_EEPNS0_10empty_typeENS0_5tupleIJPiSF_EEENSH_IJSI_SG_EEENS0_18inequality_wrapperIN6hipcub16HIPCUB_304000_NS8EqualityEEEPlJSF_EEE10hipError_tPvRmT3_T4_T5_T6_T7_T9_mT8_P12ihipStream_tbDpT10_ENKUlT_T0_E_clISt17integral_constantIbLb1EES19_IbLb0EEEEDaS15_S16_EUlS15_E_NS1_11comp_targetILNS1_3genE10ELNS1_11target_archE1200ELNS1_3gpuE4ELNS1_3repE0EEENS1_30default_config_static_selectorELNS0_4arch9wavefront6targetE0EEEvT1_
		.amdhsa_group_segment_fixed_size 0
		.amdhsa_private_segment_fixed_size 0
		.amdhsa_kernarg_size 112
		.amdhsa_user_sgpr_count 2
		.amdhsa_user_sgpr_dispatch_ptr 0
		.amdhsa_user_sgpr_queue_ptr 0
		.amdhsa_user_sgpr_kernarg_segment_ptr 1
		.amdhsa_user_sgpr_dispatch_id 0
		.amdhsa_user_sgpr_private_segment_size 0
		.amdhsa_wavefront_size32 1
		.amdhsa_uses_dynamic_stack 0
		.amdhsa_enable_private_segment 0
		.amdhsa_system_sgpr_workgroup_id_x 1
		.amdhsa_system_sgpr_workgroup_id_y 0
		.amdhsa_system_sgpr_workgroup_id_z 0
		.amdhsa_system_sgpr_workgroup_info 0
		.amdhsa_system_vgpr_workitem_id 0
		.amdhsa_next_free_vgpr 1
		.amdhsa_next_free_sgpr 1
		.amdhsa_reserve_vcc 0
		.amdhsa_float_round_mode_32 0
		.amdhsa_float_round_mode_16_64 0
		.amdhsa_float_denorm_mode_32 3
		.amdhsa_float_denorm_mode_16_64 3
		.amdhsa_fp16_overflow 0
		.amdhsa_workgroup_processor_mode 1
		.amdhsa_memory_ordered 1
		.amdhsa_forward_progress 1
		.amdhsa_inst_pref_size 1
		.amdhsa_round_robin_scheduling 0
		.amdhsa_exception_fp_ieee_invalid_op 0
		.amdhsa_exception_fp_denorm_src 0
		.amdhsa_exception_fp_ieee_div_zero 0
		.amdhsa_exception_fp_ieee_overflow 0
		.amdhsa_exception_fp_ieee_underflow 0
		.amdhsa_exception_fp_ieee_inexact 0
		.amdhsa_exception_int_div_zero 0
	.end_amdhsa_kernel
	.section	.text._ZN7rocprim17ROCPRIM_400000_NS6detail17trampoline_kernelINS0_14default_configENS1_25partition_config_selectorILNS1_17partition_subalgoE9EiibEEZZNS1_14partition_implILS5_9ELb0ES3_jPKiN6thrust23THRUST_200600_302600_NS17counting_iteratorIiNSB_11use_defaultESD_SD_EEPNS0_10empty_typeENS0_5tupleIJPiSF_EEENSH_IJSI_SG_EEENS0_18inequality_wrapperIN6hipcub16HIPCUB_304000_NS8EqualityEEEPlJSF_EEE10hipError_tPvRmT3_T4_T5_T6_T7_T9_mT8_P12ihipStream_tbDpT10_ENKUlT_T0_E_clISt17integral_constantIbLb1EES19_IbLb0EEEEDaS15_S16_EUlS15_E_NS1_11comp_targetILNS1_3genE10ELNS1_11target_archE1200ELNS1_3gpuE4ELNS1_3repE0EEENS1_30default_config_static_selectorELNS0_4arch9wavefront6targetE0EEEvT1_,"axG",@progbits,_ZN7rocprim17ROCPRIM_400000_NS6detail17trampoline_kernelINS0_14default_configENS1_25partition_config_selectorILNS1_17partition_subalgoE9EiibEEZZNS1_14partition_implILS5_9ELb0ES3_jPKiN6thrust23THRUST_200600_302600_NS17counting_iteratorIiNSB_11use_defaultESD_SD_EEPNS0_10empty_typeENS0_5tupleIJPiSF_EEENSH_IJSI_SG_EEENS0_18inequality_wrapperIN6hipcub16HIPCUB_304000_NS8EqualityEEEPlJSF_EEE10hipError_tPvRmT3_T4_T5_T6_T7_T9_mT8_P12ihipStream_tbDpT10_ENKUlT_T0_E_clISt17integral_constantIbLb1EES19_IbLb0EEEEDaS15_S16_EUlS15_E_NS1_11comp_targetILNS1_3genE10ELNS1_11target_archE1200ELNS1_3gpuE4ELNS1_3repE0EEENS1_30default_config_static_selectorELNS0_4arch9wavefront6targetE0EEEvT1_,comdat
.Lfunc_end32:
	.size	_ZN7rocprim17ROCPRIM_400000_NS6detail17trampoline_kernelINS0_14default_configENS1_25partition_config_selectorILNS1_17partition_subalgoE9EiibEEZZNS1_14partition_implILS5_9ELb0ES3_jPKiN6thrust23THRUST_200600_302600_NS17counting_iteratorIiNSB_11use_defaultESD_SD_EEPNS0_10empty_typeENS0_5tupleIJPiSF_EEENSH_IJSI_SG_EEENS0_18inequality_wrapperIN6hipcub16HIPCUB_304000_NS8EqualityEEEPlJSF_EEE10hipError_tPvRmT3_T4_T5_T6_T7_T9_mT8_P12ihipStream_tbDpT10_ENKUlT_T0_E_clISt17integral_constantIbLb1EES19_IbLb0EEEEDaS15_S16_EUlS15_E_NS1_11comp_targetILNS1_3genE10ELNS1_11target_archE1200ELNS1_3gpuE4ELNS1_3repE0EEENS1_30default_config_static_selectorELNS0_4arch9wavefront6targetE0EEEvT1_, .Lfunc_end32-_ZN7rocprim17ROCPRIM_400000_NS6detail17trampoline_kernelINS0_14default_configENS1_25partition_config_selectorILNS1_17partition_subalgoE9EiibEEZZNS1_14partition_implILS5_9ELb0ES3_jPKiN6thrust23THRUST_200600_302600_NS17counting_iteratorIiNSB_11use_defaultESD_SD_EEPNS0_10empty_typeENS0_5tupleIJPiSF_EEENSH_IJSI_SG_EEENS0_18inequality_wrapperIN6hipcub16HIPCUB_304000_NS8EqualityEEEPlJSF_EEE10hipError_tPvRmT3_T4_T5_T6_T7_T9_mT8_P12ihipStream_tbDpT10_ENKUlT_T0_E_clISt17integral_constantIbLb1EES19_IbLb0EEEEDaS15_S16_EUlS15_E_NS1_11comp_targetILNS1_3genE10ELNS1_11target_archE1200ELNS1_3gpuE4ELNS1_3repE0EEENS1_30default_config_static_selectorELNS0_4arch9wavefront6targetE0EEEvT1_
                                        ; -- End function
	.set _ZN7rocprim17ROCPRIM_400000_NS6detail17trampoline_kernelINS0_14default_configENS1_25partition_config_selectorILNS1_17partition_subalgoE9EiibEEZZNS1_14partition_implILS5_9ELb0ES3_jPKiN6thrust23THRUST_200600_302600_NS17counting_iteratorIiNSB_11use_defaultESD_SD_EEPNS0_10empty_typeENS0_5tupleIJPiSF_EEENSH_IJSI_SG_EEENS0_18inequality_wrapperIN6hipcub16HIPCUB_304000_NS8EqualityEEEPlJSF_EEE10hipError_tPvRmT3_T4_T5_T6_T7_T9_mT8_P12ihipStream_tbDpT10_ENKUlT_T0_E_clISt17integral_constantIbLb1EES19_IbLb0EEEEDaS15_S16_EUlS15_E_NS1_11comp_targetILNS1_3genE10ELNS1_11target_archE1200ELNS1_3gpuE4ELNS1_3repE0EEENS1_30default_config_static_selectorELNS0_4arch9wavefront6targetE0EEEvT1_.num_vgpr, 0
	.set _ZN7rocprim17ROCPRIM_400000_NS6detail17trampoline_kernelINS0_14default_configENS1_25partition_config_selectorILNS1_17partition_subalgoE9EiibEEZZNS1_14partition_implILS5_9ELb0ES3_jPKiN6thrust23THRUST_200600_302600_NS17counting_iteratorIiNSB_11use_defaultESD_SD_EEPNS0_10empty_typeENS0_5tupleIJPiSF_EEENSH_IJSI_SG_EEENS0_18inequality_wrapperIN6hipcub16HIPCUB_304000_NS8EqualityEEEPlJSF_EEE10hipError_tPvRmT3_T4_T5_T6_T7_T9_mT8_P12ihipStream_tbDpT10_ENKUlT_T0_E_clISt17integral_constantIbLb1EES19_IbLb0EEEEDaS15_S16_EUlS15_E_NS1_11comp_targetILNS1_3genE10ELNS1_11target_archE1200ELNS1_3gpuE4ELNS1_3repE0EEENS1_30default_config_static_selectorELNS0_4arch9wavefront6targetE0EEEvT1_.num_agpr, 0
	.set _ZN7rocprim17ROCPRIM_400000_NS6detail17trampoline_kernelINS0_14default_configENS1_25partition_config_selectorILNS1_17partition_subalgoE9EiibEEZZNS1_14partition_implILS5_9ELb0ES3_jPKiN6thrust23THRUST_200600_302600_NS17counting_iteratorIiNSB_11use_defaultESD_SD_EEPNS0_10empty_typeENS0_5tupleIJPiSF_EEENSH_IJSI_SG_EEENS0_18inequality_wrapperIN6hipcub16HIPCUB_304000_NS8EqualityEEEPlJSF_EEE10hipError_tPvRmT3_T4_T5_T6_T7_T9_mT8_P12ihipStream_tbDpT10_ENKUlT_T0_E_clISt17integral_constantIbLb1EES19_IbLb0EEEEDaS15_S16_EUlS15_E_NS1_11comp_targetILNS1_3genE10ELNS1_11target_archE1200ELNS1_3gpuE4ELNS1_3repE0EEENS1_30default_config_static_selectorELNS0_4arch9wavefront6targetE0EEEvT1_.numbered_sgpr, 0
	.set _ZN7rocprim17ROCPRIM_400000_NS6detail17trampoline_kernelINS0_14default_configENS1_25partition_config_selectorILNS1_17partition_subalgoE9EiibEEZZNS1_14partition_implILS5_9ELb0ES3_jPKiN6thrust23THRUST_200600_302600_NS17counting_iteratorIiNSB_11use_defaultESD_SD_EEPNS0_10empty_typeENS0_5tupleIJPiSF_EEENSH_IJSI_SG_EEENS0_18inequality_wrapperIN6hipcub16HIPCUB_304000_NS8EqualityEEEPlJSF_EEE10hipError_tPvRmT3_T4_T5_T6_T7_T9_mT8_P12ihipStream_tbDpT10_ENKUlT_T0_E_clISt17integral_constantIbLb1EES19_IbLb0EEEEDaS15_S16_EUlS15_E_NS1_11comp_targetILNS1_3genE10ELNS1_11target_archE1200ELNS1_3gpuE4ELNS1_3repE0EEENS1_30default_config_static_selectorELNS0_4arch9wavefront6targetE0EEEvT1_.num_named_barrier, 0
	.set _ZN7rocprim17ROCPRIM_400000_NS6detail17trampoline_kernelINS0_14default_configENS1_25partition_config_selectorILNS1_17partition_subalgoE9EiibEEZZNS1_14partition_implILS5_9ELb0ES3_jPKiN6thrust23THRUST_200600_302600_NS17counting_iteratorIiNSB_11use_defaultESD_SD_EEPNS0_10empty_typeENS0_5tupleIJPiSF_EEENSH_IJSI_SG_EEENS0_18inequality_wrapperIN6hipcub16HIPCUB_304000_NS8EqualityEEEPlJSF_EEE10hipError_tPvRmT3_T4_T5_T6_T7_T9_mT8_P12ihipStream_tbDpT10_ENKUlT_T0_E_clISt17integral_constantIbLb1EES19_IbLb0EEEEDaS15_S16_EUlS15_E_NS1_11comp_targetILNS1_3genE10ELNS1_11target_archE1200ELNS1_3gpuE4ELNS1_3repE0EEENS1_30default_config_static_selectorELNS0_4arch9wavefront6targetE0EEEvT1_.private_seg_size, 0
	.set _ZN7rocprim17ROCPRIM_400000_NS6detail17trampoline_kernelINS0_14default_configENS1_25partition_config_selectorILNS1_17partition_subalgoE9EiibEEZZNS1_14partition_implILS5_9ELb0ES3_jPKiN6thrust23THRUST_200600_302600_NS17counting_iteratorIiNSB_11use_defaultESD_SD_EEPNS0_10empty_typeENS0_5tupleIJPiSF_EEENSH_IJSI_SG_EEENS0_18inequality_wrapperIN6hipcub16HIPCUB_304000_NS8EqualityEEEPlJSF_EEE10hipError_tPvRmT3_T4_T5_T6_T7_T9_mT8_P12ihipStream_tbDpT10_ENKUlT_T0_E_clISt17integral_constantIbLb1EES19_IbLb0EEEEDaS15_S16_EUlS15_E_NS1_11comp_targetILNS1_3genE10ELNS1_11target_archE1200ELNS1_3gpuE4ELNS1_3repE0EEENS1_30default_config_static_selectorELNS0_4arch9wavefront6targetE0EEEvT1_.uses_vcc, 0
	.set _ZN7rocprim17ROCPRIM_400000_NS6detail17trampoline_kernelINS0_14default_configENS1_25partition_config_selectorILNS1_17partition_subalgoE9EiibEEZZNS1_14partition_implILS5_9ELb0ES3_jPKiN6thrust23THRUST_200600_302600_NS17counting_iteratorIiNSB_11use_defaultESD_SD_EEPNS0_10empty_typeENS0_5tupleIJPiSF_EEENSH_IJSI_SG_EEENS0_18inequality_wrapperIN6hipcub16HIPCUB_304000_NS8EqualityEEEPlJSF_EEE10hipError_tPvRmT3_T4_T5_T6_T7_T9_mT8_P12ihipStream_tbDpT10_ENKUlT_T0_E_clISt17integral_constantIbLb1EES19_IbLb0EEEEDaS15_S16_EUlS15_E_NS1_11comp_targetILNS1_3genE10ELNS1_11target_archE1200ELNS1_3gpuE4ELNS1_3repE0EEENS1_30default_config_static_selectorELNS0_4arch9wavefront6targetE0EEEvT1_.uses_flat_scratch, 0
	.set _ZN7rocprim17ROCPRIM_400000_NS6detail17trampoline_kernelINS0_14default_configENS1_25partition_config_selectorILNS1_17partition_subalgoE9EiibEEZZNS1_14partition_implILS5_9ELb0ES3_jPKiN6thrust23THRUST_200600_302600_NS17counting_iteratorIiNSB_11use_defaultESD_SD_EEPNS0_10empty_typeENS0_5tupleIJPiSF_EEENSH_IJSI_SG_EEENS0_18inequality_wrapperIN6hipcub16HIPCUB_304000_NS8EqualityEEEPlJSF_EEE10hipError_tPvRmT3_T4_T5_T6_T7_T9_mT8_P12ihipStream_tbDpT10_ENKUlT_T0_E_clISt17integral_constantIbLb1EES19_IbLb0EEEEDaS15_S16_EUlS15_E_NS1_11comp_targetILNS1_3genE10ELNS1_11target_archE1200ELNS1_3gpuE4ELNS1_3repE0EEENS1_30default_config_static_selectorELNS0_4arch9wavefront6targetE0EEEvT1_.has_dyn_sized_stack, 0
	.set _ZN7rocprim17ROCPRIM_400000_NS6detail17trampoline_kernelINS0_14default_configENS1_25partition_config_selectorILNS1_17partition_subalgoE9EiibEEZZNS1_14partition_implILS5_9ELb0ES3_jPKiN6thrust23THRUST_200600_302600_NS17counting_iteratorIiNSB_11use_defaultESD_SD_EEPNS0_10empty_typeENS0_5tupleIJPiSF_EEENSH_IJSI_SG_EEENS0_18inequality_wrapperIN6hipcub16HIPCUB_304000_NS8EqualityEEEPlJSF_EEE10hipError_tPvRmT3_T4_T5_T6_T7_T9_mT8_P12ihipStream_tbDpT10_ENKUlT_T0_E_clISt17integral_constantIbLb1EES19_IbLb0EEEEDaS15_S16_EUlS15_E_NS1_11comp_targetILNS1_3genE10ELNS1_11target_archE1200ELNS1_3gpuE4ELNS1_3repE0EEENS1_30default_config_static_selectorELNS0_4arch9wavefront6targetE0EEEvT1_.has_recursion, 0
	.set _ZN7rocprim17ROCPRIM_400000_NS6detail17trampoline_kernelINS0_14default_configENS1_25partition_config_selectorILNS1_17partition_subalgoE9EiibEEZZNS1_14partition_implILS5_9ELb0ES3_jPKiN6thrust23THRUST_200600_302600_NS17counting_iteratorIiNSB_11use_defaultESD_SD_EEPNS0_10empty_typeENS0_5tupleIJPiSF_EEENSH_IJSI_SG_EEENS0_18inequality_wrapperIN6hipcub16HIPCUB_304000_NS8EqualityEEEPlJSF_EEE10hipError_tPvRmT3_T4_T5_T6_T7_T9_mT8_P12ihipStream_tbDpT10_ENKUlT_T0_E_clISt17integral_constantIbLb1EES19_IbLb0EEEEDaS15_S16_EUlS15_E_NS1_11comp_targetILNS1_3genE10ELNS1_11target_archE1200ELNS1_3gpuE4ELNS1_3repE0EEENS1_30default_config_static_selectorELNS0_4arch9wavefront6targetE0EEEvT1_.has_indirect_call, 0
	.section	.AMDGPU.csdata,"",@progbits
; Kernel info:
; codeLenInByte = 4
; TotalNumSgprs: 0
; NumVgprs: 0
; ScratchSize: 0
; MemoryBound: 0
; FloatMode: 240
; IeeeMode: 1
; LDSByteSize: 0 bytes/workgroup (compile time only)
; SGPRBlocks: 0
; VGPRBlocks: 0
; NumSGPRsForWavesPerEU: 1
; NumVGPRsForWavesPerEU: 1
; Occupancy: 16
; WaveLimiterHint : 0
; COMPUTE_PGM_RSRC2:SCRATCH_EN: 0
; COMPUTE_PGM_RSRC2:USER_SGPR: 2
; COMPUTE_PGM_RSRC2:TRAP_HANDLER: 0
; COMPUTE_PGM_RSRC2:TGID_X_EN: 1
; COMPUTE_PGM_RSRC2:TGID_Y_EN: 0
; COMPUTE_PGM_RSRC2:TGID_Z_EN: 0
; COMPUTE_PGM_RSRC2:TIDIG_COMP_CNT: 0
	.section	.text._ZN7rocprim17ROCPRIM_400000_NS6detail17trampoline_kernelINS0_14default_configENS1_25partition_config_selectorILNS1_17partition_subalgoE9EiibEEZZNS1_14partition_implILS5_9ELb0ES3_jPKiN6thrust23THRUST_200600_302600_NS17counting_iteratorIiNSB_11use_defaultESD_SD_EEPNS0_10empty_typeENS0_5tupleIJPiSF_EEENSH_IJSI_SG_EEENS0_18inequality_wrapperIN6hipcub16HIPCUB_304000_NS8EqualityEEEPlJSF_EEE10hipError_tPvRmT3_T4_T5_T6_T7_T9_mT8_P12ihipStream_tbDpT10_ENKUlT_T0_E_clISt17integral_constantIbLb1EES19_IbLb0EEEEDaS15_S16_EUlS15_E_NS1_11comp_targetILNS1_3genE9ELNS1_11target_archE1100ELNS1_3gpuE3ELNS1_3repE0EEENS1_30default_config_static_selectorELNS0_4arch9wavefront6targetE0EEEvT1_,"axG",@progbits,_ZN7rocprim17ROCPRIM_400000_NS6detail17trampoline_kernelINS0_14default_configENS1_25partition_config_selectorILNS1_17partition_subalgoE9EiibEEZZNS1_14partition_implILS5_9ELb0ES3_jPKiN6thrust23THRUST_200600_302600_NS17counting_iteratorIiNSB_11use_defaultESD_SD_EEPNS0_10empty_typeENS0_5tupleIJPiSF_EEENSH_IJSI_SG_EEENS0_18inequality_wrapperIN6hipcub16HIPCUB_304000_NS8EqualityEEEPlJSF_EEE10hipError_tPvRmT3_T4_T5_T6_T7_T9_mT8_P12ihipStream_tbDpT10_ENKUlT_T0_E_clISt17integral_constantIbLb1EES19_IbLb0EEEEDaS15_S16_EUlS15_E_NS1_11comp_targetILNS1_3genE9ELNS1_11target_archE1100ELNS1_3gpuE3ELNS1_3repE0EEENS1_30default_config_static_selectorELNS0_4arch9wavefront6targetE0EEEvT1_,comdat
	.protected	_ZN7rocprim17ROCPRIM_400000_NS6detail17trampoline_kernelINS0_14default_configENS1_25partition_config_selectorILNS1_17partition_subalgoE9EiibEEZZNS1_14partition_implILS5_9ELb0ES3_jPKiN6thrust23THRUST_200600_302600_NS17counting_iteratorIiNSB_11use_defaultESD_SD_EEPNS0_10empty_typeENS0_5tupleIJPiSF_EEENSH_IJSI_SG_EEENS0_18inequality_wrapperIN6hipcub16HIPCUB_304000_NS8EqualityEEEPlJSF_EEE10hipError_tPvRmT3_T4_T5_T6_T7_T9_mT8_P12ihipStream_tbDpT10_ENKUlT_T0_E_clISt17integral_constantIbLb1EES19_IbLb0EEEEDaS15_S16_EUlS15_E_NS1_11comp_targetILNS1_3genE9ELNS1_11target_archE1100ELNS1_3gpuE3ELNS1_3repE0EEENS1_30default_config_static_selectorELNS0_4arch9wavefront6targetE0EEEvT1_ ; -- Begin function _ZN7rocprim17ROCPRIM_400000_NS6detail17trampoline_kernelINS0_14default_configENS1_25partition_config_selectorILNS1_17partition_subalgoE9EiibEEZZNS1_14partition_implILS5_9ELb0ES3_jPKiN6thrust23THRUST_200600_302600_NS17counting_iteratorIiNSB_11use_defaultESD_SD_EEPNS0_10empty_typeENS0_5tupleIJPiSF_EEENSH_IJSI_SG_EEENS0_18inequality_wrapperIN6hipcub16HIPCUB_304000_NS8EqualityEEEPlJSF_EEE10hipError_tPvRmT3_T4_T5_T6_T7_T9_mT8_P12ihipStream_tbDpT10_ENKUlT_T0_E_clISt17integral_constantIbLb1EES19_IbLb0EEEEDaS15_S16_EUlS15_E_NS1_11comp_targetILNS1_3genE9ELNS1_11target_archE1100ELNS1_3gpuE3ELNS1_3repE0EEENS1_30default_config_static_selectorELNS0_4arch9wavefront6targetE0EEEvT1_
	.globl	_ZN7rocprim17ROCPRIM_400000_NS6detail17trampoline_kernelINS0_14default_configENS1_25partition_config_selectorILNS1_17partition_subalgoE9EiibEEZZNS1_14partition_implILS5_9ELb0ES3_jPKiN6thrust23THRUST_200600_302600_NS17counting_iteratorIiNSB_11use_defaultESD_SD_EEPNS0_10empty_typeENS0_5tupleIJPiSF_EEENSH_IJSI_SG_EEENS0_18inequality_wrapperIN6hipcub16HIPCUB_304000_NS8EqualityEEEPlJSF_EEE10hipError_tPvRmT3_T4_T5_T6_T7_T9_mT8_P12ihipStream_tbDpT10_ENKUlT_T0_E_clISt17integral_constantIbLb1EES19_IbLb0EEEEDaS15_S16_EUlS15_E_NS1_11comp_targetILNS1_3genE9ELNS1_11target_archE1100ELNS1_3gpuE3ELNS1_3repE0EEENS1_30default_config_static_selectorELNS0_4arch9wavefront6targetE0EEEvT1_
	.p2align	8
	.type	_ZN7rocprim17ROCPRIM_400000_NS6detail17trampoline_kernelINS0_14default_configENS1_25partition_config_selectorILNS1_17partition_subalgoE9EiibEEZZNS1_14partition_implILS5_9ELb0ES3_jPKiN6thrust23THRUST_200600_302600_NS17counting_iteratorIiNSB_11use_defaultESD_SD_EEPNS0_10empty_typeENS0_5tupleIJPiSF_EEENSH_IJSI_SG_EEENS0_18inequality_wrapperIN6hipcub16HIPCUB_304000_NS8EqualityEEEPlJSF_EEE10hipError_tPvRmT3_T4_T5_T6_T7_T9_mT8_P12ihipStream_tbDpT10_ENKUlT_T0_E_clISt17integral_constantIbLb1EES19_IbLb0EEEEDaS15_S16_EUlS15_E_NS1_11comp_targetILNS1_3genE9ELNS1_11target_archE1100ELNS1_3gpuE3ELNS1_3repE0EEENS1_30default_config_static_selectorELNS0_4arch9wavefront6targetE0EEEvT1_,@function
_ZN7rocprim17ROCPRIM_400000_NS6detail17trampoline_kernelINS0_14default_configENS1_25partition_config_selectorILNS1_17partition_subalgoE9EiibEEZZNS1_14partition_implILS5_9ELb0ES3_jPKiN6thrust23THRUST_200600_302600_NS17counting_iteratorIiNSB_11use_defaultESD_SD_EEPNS0_10empty_typeENS0_5tupleIJPiSF_EEENSH_IJSI_SG_EEENS0_18inequality_wrapperIN6hipcub16HIPCUB_304000_NS8EqualityEEEPlJSF_EEE10hipError_tPvRmT3_T4_T5_T6_T7_T9_mT8_P12ihipStream_tbDpT10_ENKUlT_T0_E_clISt17integral_constantIbLb1EES19_IbLb0EEEEDaS15_S16_EUlS15_E_NS1_11comp_targetILNS1_3genE9ELNS1_11target_archE1100ELNS1_3gpuE3ELNS1_3repE0EEENS1_30default_config_static_selectorELNS0_4arch9wavefront6targetE0EEEvT1_: ; @_ZN7rocprim17ROCPRIM_400000_NS6detail17trampoline_kernelINS0_14default_configENS1_25partition_config_selectorILNS1_17partition_subalgoE9EiibEEZZNS1_14partition_implILS5_9ELb0ES3_jPKiN6thrust23THRUST_200600_302600_NS17counting_iteratorIiNSB_11use_defaultESD_SD_EEPNS0_10empty_typeENS0_5tupleIJPiSF_EEENSH_IJSI_SG_EEENS0_18inequality_wrapperIN6hipcub16HIPCUB_304000_NS8EqualityEEEPlJSF_EEE10hipError_tPvRmT3_T4_T5_T6_T7_T9_mT8_P12ihipStream_tbDpT10_ENKUlT_T0_E_clISt17integral_constantIbLb1EES19_IbLb0EEEEDaS15_S16_EUlS15_E_NS1_11comp_targetILNS1_3genE9ELNS1_11target_archE1100ELNS1_3gpuE3ELNS1_3repE0EEENS1_30default_config_static_selectorELNS0_4arch9wavefront6targetE0EEEvT1_
; %bb.0:
	.section	.rodata,"a",@progbits
	.p2align	6, 0x0
	.amdhsa_kernel _ZN7rocprim17ROCPRIM_400000_NS6detail17trampoline_kernelINS0_14default_configENS1_25partition_config_selectorILNS1_17partition_subalgoE9EiibEEZZNS1_14partition_implILS5_9ELb0ES3_jPKiN6thrust23THRUST_200600_302600_NS17counting_iteratorIiNSB_11use_defaultESD_SD_EEPNS0_10empty_typeENS0_5tupleIJPiSF_EEENSH_IJSI_SG_EEENS0_18inequality_wrapperIN6hipcub16HIPCUB_304000_NS8EqualityEEEPlJSF_EEE10hipError_tPvRmT3_T4_T5_T6_T7_T9_mT8_P12ihipStream_tbDpT10_ENKUlT_T0_E_clISt17integral_constantIbLb1EES19_IbLb0EEEEDaS15_S16_EUlS15_E_NS1_11comp_targetILNS1_3genE9ELNS1_11target_archE1100ELNS1_3gpuE3ELNS1_3repE0EEENS1_30default_config_static_selectorELNS0_4arch9wavefront6targetE0EEEvT1_
		.amdhsa_group_segment_fixed_size 0
		.amdhsa_private_segment_fixed_size 0
		.amdhsa_kernarg_size 112
		.amdhsa_user_sgpr_count 2
		.amdhsa_user_sgpr_dispatch_ptr 0
		.amdhsa_user_sgpr_queue_ptr 0
		.amdhsa_user_sgpr_kernarg_segment_ptr 1
		.amdhsa_user_sgpr_dispatch_id 0
		.amdhsa_user_sgpr_private_segment_size 0
		.amdhsa_wavefront_size32 1
		.amdhsa_uses_dynamic_stack 0
		.amdhsa_enable_private_segment 0
		.amdhsa_system_sgpr_workgroup_id_x 1
		.amdhsa_system_sgpr_workgroup_id_y 0
		.amdhsa_system_sgpr_workgroup_id_z 0
		.amdhsa_system_sgpr_workgroup_info 0
		.amdhsa_system_vgpr_workitem_id 0
		.amdhsa_next_free_vgpr 1
		.amdhsa_next_free_sgpr 1
		.amdhsa_reserve_vcc 0
		.amdhsa_float_round_mode_32 0
		.amdhsa_float_round_mode_16_64 0
		.amdhsa_float_denorm_mode_32 3
		.amdhsa_float_denorm_mode_16_64 3
		.amdhsa_fp16_overflow 0
		.amdhsa_workgroup_processor_mode 1
		.amdhsa_memory_ordered 1
		.amdhsa_forward_progress 1
		.amdhsa_inst_pref_size 0
		.amdhsa_round_robin_scheduling 0
		.amdhsa_exception_fp_ieee_invalid_op 0
		.amdhsa_exception_fp_denorm_src 0
		.amdhsa_exception_fp_ieee_div_zero 0
		.amdhsa_exception_fp_ieee_overflow 0
		.amdhsa_exception_fp_ieee_underflow 0
		.amdhsa_exception_fp_ieee_inexact 0
		.amdhsa_exception_int_div_zero 0
	.end_amdhsa_kernel
	.section	.text._ZN7rocprim17ROCPRIM_400000_NS6detail17trampoline_kernelINS0_14default_configENS1_25partition_config_selectorILNS1_17partition_subalgoE9EiibEEZZNS1_14partition_implILS5_9ELb0ES3_jPKiN6thrust23THRUST_200600_302600_NS17counting_iteratorIiNSB_11use_defaultESD_SD_EEPNS0_10empty_typeENS0_5tupleIJPiSF_EEENSH_IJSI_SG_EEENS0_18inequality_wrapperIN6hipcub16HIPCUB_304000_NS8EqualityEEEPlJSF_EEE10hipError_tPvRmT3_T4_T5_T6_T7_T9_mT8_P12ihipStream_tbDpT10_ENKUlT_T0_E_clISt17integral_constantIbLb1EES19_IbLb0EEEEDaS15_S16_EUlS15_E_NS1_11comp_targetILNS1_3genE9ELNS1_11target_archE1100ELNS1_3gpuE3ELNS1_3repE0EEENS1_30default_config_static_selectorELNS0_4arch9wavefront6targetE0EEEvT1_,"axG",@progbits,_ZN7rocprim17ROCPRIM_400000_NS6detail17trampoline_kernelINS0_14default_configENS1_25partition_config_selectorILNS1_17partition_subalgoE9EiibEEZZNS1_14partition_implILS5_9ELb0ES3_jPKiN6thrust23THRUST_200600_302600_NS17counting_iteratorIiNSB_11use_defaultESD_SD_EEPNS0_10empty_typeENS0_5tupleIJPiSF_EEENSH_IJSI_SG_EEENS0_18inequality_wrapperIN6hipcub16HIPCUB_304000_NS8EqualityEEEPlJSF_EEE10hipError_tPvRmT3_T4_T5_T6_T7_T9_mT8_P12ihipStream_tbDpT10_ENKUlT_T0_E_clISt17integral_constantIbLb1EES19_IbLb0EEEEDaS15_S16_EUlS15_E_NS1_11comp_targetILNS1_3genE9ELNS1_11target_archE1100ELNS1_3gpuE3ELNS1_3repE0EEENS1_30default_config_static_selectorELNS0_4arch9wavefront6targetE0EEEvT1_,comdat
.Lfunc_end33:
	.size	_ZN7rocprim17ROCPRIM_400000_NS6detail17trampoline_kernelINS0_14default_configENS1_25partition_config_selectorILNS1_17partition_subalgoE9EiibEEZZNS1_14partition_implILS5_9ELb0ES3_jPKiN6thrust23THRUST_200600_302600_NS17counting_iteratorIiNSB_11use_defaultESD_SD_EEPNS0_10empty_typeENS0_5tupleIJPiSF_EEENSH_IJSI_SG_EEENS0_18inequality_wrapperIN6hipcub16HIPCUB_304000_NS8EqualityEEEPlJSF_EEE10hipError_tPvRmT3_T4_T5_T6_T7_T9_mT8_P12ihipStream_tbDpT10_ENKUlT_T0_E_clISt17integral_constantIbLb1EES19_IbLb0EEEEDaS15_S16_EUlS15_E_NS1_11comp_targetILNS1_3genE9ELNS1_11target_archE1100ELNS1_3gpuE3ELNS1_3repE0EEENS1_30default_config_static_selectorELNS0_4arch9wavefront6targetE0EEEvT1_, .Lfunc_end33-_ZN7rocprim17ROCPRIM_400000_NS6detail17trampoline_kernelINS0_14default_configENS1_25partition_config_selectorILNS1_17partition_subalgoE9EiibEEZZNS1_14partition_implILS5_9ELb0ES3_jPKiN6thrust23THRUST_200600_302600_NS17counting_iteratorIiNSB_11use_defaultESD_SD_EEPNS0_10empty_typeENS0_5tupleIJPiSF_EEENSH_IJSI_SG_EEENS0_18inequality_wrapperIN6hipcub16HIPCUB_304000_NS8EqualityEEEPlJSF_EEE10hipError_tPvRmT3_T4_T5_T6_T7_T9_mT8_P12ihipStream_tbDpT10_ENKUlT_T0_E_clISt17integral_constantIbLb1EES19_IbLb0EEEEDaS15_S16_EUlS15_E_NS1_11comp_targetILNS1_3genE9ELNS1_11target_archE1100ELNS1_3gpuE3ELNS1_3repE0EEENS1_30default_config_static_selectorELNS0_4arch9wavefront6targetE0EEEvT1_
                                        ; -- End function
	.set _ZN7rocprim17ROCPRIM_400000_NS6detail17trampoline_kernelINS0_14default_configENS1_25partition_config_selectorILNS1_17partition_subalgoE9EiibEEZZNS1_14partition_implILS5_9ELb0ES3_jPKiN6thrust23THRUST_200600_302600_NS17counting_iteratorIiNSB_11use_defaultESD_SD_EEPNS0_10empty_typeENS0_5tupleIJPiSF_EEENSH_IJSI_SG_EEENS0_18inequality_wrapperIN6hipcub16HIPCUB_304000_NS8EqualityEEEPlJSF_EEE10hipError_tPvRmT3_T4_T5_T6_T7_T9_mT8_P12ihipStream_tbDpT10_ENKUlT_T0_E_clISt17integral_constantIbLb1EES19_IbLb0EEEEDaS15_S16_EUlS15_E_NS1_11comp_targetILNS1_3genE9ELNS1_11target_archE1100ELNS1_3gpuE3ELNS1_3repE0EEENS1_30default_config_static_selectorELNS0_4arch9wavefront6targetE0EEEvT1_.num_vgpr, 0
	.set _ZN7rocprim17ROCPRIM_400000_NS6detail17trampoline_kernelINS0_14default_configENS1_25partition_config_selectorILNS1_17partition_subalgoE9EiibEEZZNS1_14partition_implILS5_9ELb0ES3_jPKiN6thrust23THRUST_200600_302600_NS17counting_iteratorIiNSB_11use_defaultESD_SD_EEPNS0_10empty_typeENS0_5tupleIJPiSF_EEENSH_IJSI_SG_EEENS0_18inequality_wrapperIN6hipcub16HIPCUB_304000_NS8EqualityEEEPlJSF_EEE10hipError_tPvRmT3_T4_T5_T6_T7_T9_mT8_P12ihipStream_tbDpT10_ENKUlT_T0_E_clISt17integral_constantIbLb1EES19_IbLb0EEEEDaS15_S16_EUlS15_E_NS1_11comp_targetILNS1_3genE9ELNS1_11target_archE1100ELNS1_3gpuE3ELNS1_3repE0EEENS1_30default_config_static_selectorELNS0_4arch9wavefront6targetE0EEEvT1_.num_agpr, 0
	.set _ZN7rocprim17ROCPRIM_400000_NS6detail17trampoline_kernelINS0_14default_configENS1_25partition_config_selectorILNS1_17partition_subalgoE9EiibEEZZNS1_14partition_implILS5_9ELb0ES3_jPKiN6thrust23THRUST_200600_302600_NS17counting_iteratorIiNSB_11use_defaultESD_SD_EEPNS0_10empty_typeENS0_5tupleIJPiSF_EEENSH_IJSI_SG_EEENS0_18inequality_wrapperIN6hipcub16HIPCUB_304000_NS8EqualityEEEPlJSF_EEE10hipError_tPvRmT3_T4_T5_T6_T7_T9_mT8_P12ihipStream_tbDpT10_ENKUlT_T0_E_clISt17integral_constantIbLb1EES19_IbLb0EEEEDaS15_S16_EUlS15_E_NS1_11comp_targetILNS1_3genE9ELNS1_11target_archE1100ELNS1_3gpuE3ELNS1_3repE0EEENS1_30default_config_static_selectorELNS0_4arch9wavefront6targetE0EEEvT1_.numbered_sgpr, 0
	.set _ZN7rocprim17ROCPRIM_400000_NS6detail17trampoline_kernelINS0_14default_configENS1_25partition_config_selectorILNS1_17partition_subalgoE9EiibEEZZNS1_14partition_implILS5_9ELb0ES3_jPKiN6thrust23THRUST_200600_302600_NS17counting_iteratorIiNSB_11use_defaultESD_SD_EEPNS0_10empty_typeENS0_5tupleIJPiSF_EEENSH_IJSI_SG_EEENS0_18inequality_wrapperIN6hipcub16HIPCUB_304000_NS8EqualityEEEPlJSF_EEE10hipError_tPvRmT3_T4_T5_T6_T7_T9_mT8_P12ihipStream_tbDpT10_ENKUlT_T0_E_clISt17integral_constantIbLb1EES19_IbLb0EEEEDaS15_S16_EUlS15_E_NS1_11comp_targetILNS1_3genE9ELNS1_11target_archE1100ELNS1_3gpuE3ELNS1_3repE0EEENS1_30default_config_static_selectorELNS0_4arch9wavefront6targetE0EEEvT1_.num_named_barrier, 0
	.set _ZN7rocprim17ROCPRIM_400000_NS6detail17trampoline_kernelINS0_14default_configENS1_25partition_config_selectorILNS1_17partition_subalgoE9EiibEEZZNS1_14partition_implILS5_9ELb0ES3_jPKiN6thrust23THRUST_200600_302600_NS17counting_iteratorIiNSB_11use_defaultESD_SD_EEPNS0_10empty_typeENS0_5tupleIJPiSF_EEENSH_IJSI_SG_EEENS0_18inequality_wrapperIN6hipcub16HIPCUB_304000_NS8EqualityEEEPlJSF_EEE10hipError_tPvRmT3_T4_T5_T6_T7_T9_mT8_P12ihipStream_tbDpT10_ENKUlT_T0_E_clISt17integral_constantIbLb1EES19_IbLb0EEEEDaS15_S16_EUlS15_E_NS1_11comp_targetILNS1_3genE9ELNS1_11target_archE1100ELNS1_3gpuE3ELNS1_3repE0EEENS1_30default_config_static_selectorELNS0_4arch9wavefront6targetE0EEEvT1_.private_seg_size, 0
	.set _ZN7rocprim17ROCPRIM_400000_NS6detail17trampoline_kernelINS0_14default_configENS1_25partition_config_selectorILNS1_17partition_subalgoE9EiibEEZZNS1_14partition_implILS5_9ELb0ES3_jPKiN6thrust23THRUST_200600_302600_NS17counting_iteratorIiNSB_11use_defaultESD_SD_EEPNS0_10empty_typeENS0_5tupleIJPiSF_EEENSH_IJSI_SG_EEENS0_18inequality_wrapperIN6hipcub16HIPCUB_304000_NS8EqualityEEEPlJSF_EEE10hipError_tPvRmT3_T4_T5_T6_T7_T9_mT8_P12ihipStream_tbDpT10_ENKUlT_T0_E_clISt17integral_constantIbLb1EES19_IbLb0EEEEDaS15_S16_EUlS15_E_NS1_11comp_targetILNS1_3genE9ELNS1_11target_archE1100ELNS1_3gpuE3ELNS1_3repE0EEENS1_30default_config_static_selectorELNS0_4arch9wavefront6targetE0EEEvT1_.uses_vcc, 0
	.set _ZN7rocprim17ROCPRIM_400000_NS6detail17trampoline_kernelINS0_14default_configENS1_25partition_config_selectorILNS1_17partition_subalgoE9EiibEEZZNS1_14partition_implILS5_9ELb0ES3_jPKiN6thrust23THRUST_200600_302600_NS17counting_iteratorIiNSB_11use_defaultESD_SD_EEPNS0_10empty_typeENS0_5tupleIJPiSF_EEENSH_IJSI_SG_EEENS0_18inequality_wrapperIN6hipcub16HIPCUB_304000_NS8EqualityEEEPlJSF_EEE10hipError_tPvRmT3_T4_T5_T6_T7_T9_mT8_P12ihipStream_tbDpT10_ENKUlT_T0_E_clISt17integral_constantIbLb1EES19_IbLb0EEEEDaS15_S16_EUlS15_E_NS1_11comp_targetILNS1_3genE9ELNS1_11target_archE1100ELNS1_3gpuE3ELNS1_3repE0EEENS1_30default_config_static_selectorELNS0_4arch9wavefront6targetE0EEEvT1_.uses_flat_scratch, 0
	.set _ZN7rocprim17ROCPRIM_400000_NS6detail17trampoline_kernelINS0_14default_configENS1_25partition_config_selectorILNS1_17partition_subalgoE9EiibEEZZNS1_14partition_implILS5_9ELb0ES3_jPKiN6thrust23THRUST_200600_302600_NS17counting_iteratorIiNSB_11use_defaultESD_SD_EEPNS0_10empty_typeENS0_5tupleIJPiSF_EEENSH_IJSI_SG_EEENS0_18inequality_wrapperIN6hipcub16HIPCUB_304000_NS8EqualityEEEPlJSF_EEE10hipError_tPvRmT3_T4_T5_T6_T7_T9_mT8_P12ihipStream_tbDpT10_ENKUlT_T0_E_clISt17integral_constantIbLb1EES19_IbLb0EEEEDaS15_S16_EUlS15_E_NS1_11comp_targetILNS1_3genE9ELNS1_11target_archE1100ELNS1_3gpuE3ELNS1_3repE0EEENS1_30default_config_static_selectorELNS0_4arch9wavefront6targetE0EEEvT1_.has_dyn_sized_stack, 0
	.set _ZN7rocprim17ROCPRIM_400000_NS6detail17trampoline_kernelINS0_14default_configENS1_25partition_config_selectorILNS1_17partition_subalgoE9EiibEEZZNS1_14partition_implILS5_9ELb0ES3_jPKiN6thrust23THRUST_200600_302600_NS17counting_iteratorIiNSB_11use_defaultESD_SD_EEPNS0_10empty_typeENS0_5tupleIJPiSF_EEENSH_IJSI_SG_EEENS0_18inequality_wrapperIN6hipcub16HIPCUB_304000_NS8EqualityEEEPlJSF_EEE10hipError_tPvRmT3_T4_T5_T6_T7_T9_mT8_P12ihipStream_tbDpT10_ENKUlT_T0_E_clISt17integral_constantIbLb1EES19_IbLb0EEEEDaS15_S16_EUlS15_E_NS1_11comp_targetILNS1_3genE9ELNS1_11target_archE1100ELNS1_3gpuE3ELNS1_3repE0EEENS1_30default_config_static_selectorELNS0_4arch9wavefront6targetE0EEEvT1_.has_recursion, 0
	.set _ZN7rocprim17ROCPRIM_400000_NS6detail17trampoline_kernelINS0_14default_configENS1_25partition_config_selectorILNS1_17partition_subalgoE9EiibEEZZNS1_14partition_implILS5_9ELb0ES3_jPKiN6thrust23THRUST_200600_302600_NS17counting_iteratorIiNSB_11use_defaultESD_SD_EEPNS0_10empty_typeENS0_5tupleIJPiSF_EEENSH_IJSI_SG_EEENS0_18inequality_wrapperIN6hipcub16HIPCUB_304000_NS8EqualityEEEPlJSF_EEE10hipError_tPvRmT3_T4_T5_T6_T7_T9_mT8_P12ihipStream_tbDpT10_ENKUlT_T0_E_clISt17integral_constantIbLb1EES19_IbLb0EEEEDaS15_S16_EUlS15_E_NS1_11comp_targetILNS1_3genE9ELNS1_11target_archE1100ELNS1_3gpuE3ELNS1_3repE0EEENS1_30default_config_static_selectorELNS0_4arch9wavefront6targetE0EEEvT1_.has_indirect_call, 0
	.section	.AMDGPU.csdata,"",@progbits
; Kernel info:
; codeLenInByte = 0
; TotalNumSgprs: 0
; NumVgprs: 0
; ScratchSize: 0
; MemoryBound: 0
; FloatMode: 240
; IeeeMode: 1
; LDSByteSize: 0 bytes/workgroup (compile time only)
; SGPRBlocks: 0
; VGPRBlocks: 0
; NumSGPRsForWavesPerEU: 1
; NumVGPRsForWavesPerEU: 1
; Occupancy: 16
; WaveLimiterHint : 0
; COMPUTE_PGM_RSRC2:SCRATCH_EN: 0
; COMPUTE_PGM_RSRC2:USER_SGPR: 2
; COMPUTE_PGM_RSRC2:TRAP_HANDLER: 0
; COMPUTE_PGM_RSRC2:TGID_X_EN: 1
; COMPUTE_PGM_RSRC2:TGID_Y_EN: 0
; COMPUTE_PGM_RSRC2:TGID_Z_EN: 0
; COMPUTE_PGM_RSRC2:TIDIG_COMP_CNT: 0
	.section	.text._ZN7rocprim17ROCPRIM_400000_NS6detail17trampoline_kernelINS0_14default_configENS1_25partition_config_selectorILNS1_17partition_subalgoE9EiibEEZZNS1_14partition_implILS5_9ELb0ES3_jPKiN6thrust23THRUST_200600_302600_NS17counting_iteratorIiNSB_11use_defaultESD_SD_EEPNS0_10empty_typeENS0_5tupleIJPiSF_EEENSH_IJSI_SG_EEENS0_18inequality_wrapperIN6hipcub16HIPCUB_304000_NS8EqualityEEEPlJSF_EEE10hipError_tPvRmT3_T4_T5_T6_T7_T9_mT8_P12ihipStream_tbDpT10_ENKUlT_T0_E_clISt17integral_constantIbLb1EES19_IbLb0EEEEDaS15_S16_EUlS15_E_NS1_11comp_targetILNS1_3genE8ELNS1_11target_archE1030ELNS1_3gpuE2ELNS1_3repE0EEENS1_30default_config_static_selectorELNS0_4arch9wavefront6targetE0EEEvT1_,"axG",@progbits,_ZN7rocprim17ROCPRIM_400000_NS6detail17trampoline_kernelINS0_14default_configENS1_25partition_config_selectorILNS1_17partition_subalgoE9EiibEEZZNS1_14partition_implILS5_9ELb0ES3_jPKiN6thrust23THRUST_200600_302600_NS17counting_iteratorIiNSB_11use_defaultESD_SD_EEPNS0_10empty_typeENS0_5tupleIJPiSF_EEENSH_IJSI_SG_EEENS0_18inequality_wrapperIN6hipcub16HIPCUB_304000_NS8EqualityEEEPlJSF_EEE10hipError_tPvRmT3_T4_T5_T6_T7_T9_mT8_P12ihipStream_tbDpT10_ENKUlT_T0_E_clISt17integral_constantIbLb1EES19_IbLb0EEEEDaS15_S16_EUlS15_E_NS1_11comp_targetILNS1_3genE8ELNS1_11target_archE1030ELNS1_3gpuE2ELNS1_3repE0EEENS1_30default_config_static_selectorELNS0_4arch9wavefront6targetE0EEEvT1_,comdat
	.protected	_ZN7rocprim17ROCPRIM_400000_NS6detail17trampoline_kernelINS0_14default_configENS1_25partition_config_selectorILNS1_17partition_subalgoE9EiibEEZZNS1_14partition_implILS5_9ELb0ES3_jPKiN6thrust23THRUST_200600_302600_NS17counting_iteratorIiNSB_11use_defaultESD_SD_EEPNS0_10empty_typeENS0_5tupleIJPiSF_EEENSH_IJSI_SG_EEENS0_18inequality_wrapperIN6hipcub16HIPCUB_304000_NS8EqualityEEEPlJSF_EEE10hipError_tPvRmT3_T4_T5_T6_T7_T9_mT8_P12ihipStream_tbDpT10_ENKUlT_T0_E_clISt17integral_constantIbLb1EES19_IbLb0EEEEDaS15_S16_EUlS15_E_NS1_11comp_targetILNS1_3genE8ELNS1_11target_archE1030ELNS1_3gpuE2ELNS1_3repE0EEENS1_30default_config_static_selectorELNS0_4arch9wavefront6targetE0EEEvT1_ ; -- Begin function _ZN7rocprim17ROCPRIM_400000_NS6detail17trampoline_kernelINS0_14default_configENS1_25partition_config_selectorILNS1_17partition_subalgoE9EiibEEZZNS1_14partition_implILS5_9ELb0ES3_jPKiN6thrust23THRUST_200600_302600_NS17counting_iteratorIiNSB_11use_defaultESD_SD_EEPNS0_10empty_typeENS0_5tupleIJPiSF_EEENSH_IJSI_SG_EEENS0_18inequality_wrapperIN6hipcub16HIPCUB_304000_NS8EqualityEEEPlJSF_EEE10hipError_tPvRmT3_T4_T5_T6_T7_T9_mT8_P12ihipStream_tbDpT10_ENKUlT_T0_E_clISt17integral_constantIbLb1EES19_IbLb0EEEEDaS15_S16_EUlS15_E_NS1_11comp_targetILNS1_3genE8ELNS1_11target_archE1030ELNS1_3gpuE2ELNS1_3repE0EEENS1_30default_config_static_selectorELNS0_4arch9wavefront6targetE0EEEvT1_
	.globl	_ZN7rocprim17ROCPRIM_400000_NS6detail17trampoline_kernelINS0_14default_configENS1_25partition_config_selectorILNS1_17partition_subalgoE9EiibEEZZNS1_14partition_implILS5_9ELb0ES3_jPKiN6thrust23THRUST_200600_302600_NS17counting_iteratorIiNSB_11use_defaultESD_SD_EEPNS0_10empty_typeENS0_5tupleIJPiSF_EEENSH_IJSI_SG_EEENS0_18inequality_wrapperIN6hipcub16HIPCUB_304000_NS8EqualityEEEPlJSF_EEE10hipError_tPvRmT3_T4_T5_T6_T7_T9_mT8_P12ihipStream_tbDpT10_ENKUlT_T0_E_clISt17integral_constantIbLb1EES19_IbLb0EEEEDaS15_S16_EUlS15_E_NS1_11comp_targetILNS1_3genE8ELNS1_11target_archE1030ELNS1_3gpuE2ELNS1_3repE0EEENS1_30default_config_static_selectorELNS0_4arch9wavefront6targetE0EEEvT1_
	.p2align	8
	.type	_ZN7rocprim17ROCPRIM_400000_NS6detail17trampoline_kernelINS0_14default_configENS1_25partition_config_selectorILNS1_17partition_subalgoE9EiibEEZZNS1_14partition_implILS5_9ELb0ES3_jPKiN6thrust23THRUST_200600_302600_NS17counting_iteratorIiNSB_11use_defaultESD_SD_EEPNS0_10empty_typeENS0_5tupleIJPiSF_EEENSH_IJSI_SG_EEENS0_18inequality_wrapperIN6hipcub16HIPCUB_304000_NS8EqualityEEEPlJSF_EEE10hipError_tPvRmT3_T4_T5_T6_T7_T9_mT8_P12ihipStream_tbDpT10_ENKUlT_T0_E_clISt17integral_constantIbLb1EES19_IbLb0EEEEDaS15_S16_EUlS15_E_NS1_11comp_targetILNS1_3genE8ELNS1_11target_archE1030ELNS1_3gpuE2ELNS1_3repE0EEENS1_30default_config_static_selectorELNS0_4arch9wavefront6targetE0EEEvT1_,@function
_ZN7rocprim17ROCPRIM_400000_NS6detail17trampoline_kernelINS0_14default_configENS1_25partition_config_selectorILNS1_17partition_subalgoE9EiibEEZZNS1_14partition_implILS5_9ELb0ES3_jPKiN6thrust23THRUST_200600_302600_NS17counting_iteratorIiNSB_11use_defaultESD_SD_EEPNS0_10empty_typeENS0_5tupleIJPiSF_EEENSH_IJSI_SG_EEENS0_18inequality_wrapperIN6hipcub16HIPCUB_304000_NS8EqualityEEEPlJSF_EEE10hipError_tPvRmT3_T4_T5_T6_T7_T9_mT8_P12ihipStream_tbDpT10_ENKUlT_T0_E_clISt17integral_constantIbLb1EES19_IbLb0EEEEDaS15_S16_EUlS15_E_NS1_11comp_targetILNS1_3genE8ELNS1_11target_archE1030ELNS1_3gpuE2ELNS1_3repE0EEENS1_30default_config_static_selectorELNS0_4arch9wavefront6targetE0EEEvT1_: ; @_ZN7rocprim17ROCPRIM_400000_NS6detail17trampoline_kernelINS0_14default_configENS1_25partition_config_selectorILNS1_17partition_subalgoE9EiibEEZZNS1_14partition_implILS5_9ELb0ES3_jPKiN6thrust23THRUST_200600_302600_NS17counting_iteratorIiNSB_11use_defaultESD_SD_EEPNS0_10empty_typeENS0_5tupleIJPiSF_EEENSH_IJSI_SG_EEENS0_18inequality_wrapperIN6hipcub16HIPCUB_304000_NS8EqualityEEEPlJSF_EEE10hipError_tPvRmT3_T4_T5_T6_T7_T9_mT8_P12ihipStream_tbDpT10_ENKUlT_T0_E_clISt17integral_constantIbLb1EES19_IbLb0EEEEDaS15_S16_EUlS15_E_NS1_11comp_targetILNS1_3genE8ELNS1_11target_archE1030ELNS1_3gpuE2ELNS1_3repE0EEENS1_30default_config_static_selectorELNS0_4arch9wavefront6targetE0EEEvT1_
; %bb.0:
	.section	.rodata,"a",@progbits
	.p2align	6, 0x0
	.amdhsa_kernel _ZN7rocprim17ROCPRIM_400000_NS6detail17trampoline_kernelINS0_14default_configENS1_25partition_config_selectorILNS1_17partition_subalgoE9EiibEEZZNS1_14partition_implILS5_9ELb0ES3_jPKiN6thrust23THRUST_200600_302600_NS17counting_iteratorIiNSB_11use_defaultESD_SD_EEPNS0_10empty_typeENS0_5tupleIJPiSF_EEENSH_IJSI_SG_EEENS0_18inequality_wrapperIN6hipcub16HIPCUB_304000_NS8EqualityEEEPlJSF_EEE10hipError_tPvRmT3_T4_T5_T6_T7_T9_mT8_P12ihipStream_tbDpT10_ENKUlT_T0_E_clISt17integral_constantIbLb1EES19_IbLb0EEEEDaS15_S16_EUlS15_E_NS1_11comp_targetILNS1_3genE8ELNS1_11target_archE1030ELNS1_3gpuE2ELNS1_3repE0EEENS1_30default_config_static_selectorELNS0_4arch9wavefront6targetE0EEEvT1_
		.amdhsa_group_segment_fixed_size 0
		.amdhsa_private_segment_fixed_size 0
		.amdhsa_kernarg_size 112
		.amdhsa_user_sgpr_count 2
		.amdhsa_user_sgpr_dispatch_ptr 0
		.amdhsa_user_sgpr_queue_ptr 0
		.amdhsa_user_sgpr_kernarg_segment_ptr 1
		.amdhsa_user_sgpr_dispatch_id 0
		.amdhsa_user_sgpr_private_segment_size 0
		.amdhsa_wavefront_size32 1
		.amdhsa_uses_dynamic_stack 0
		.amdhsa_enable_private_segment 0
		.amdhsa_system_sgpr_workgroup_id_x 1
		.amdhsa_system_sgpr_workgroup_id_y 0
		.amdhsa_system_sgpr_workgroup_id_z 0
		.amdhsa_system_sgpr_workgroup_info 0
		.amdhsa_system_vgpr_workitem_id 0
		.amdhsa_next_free_vgpr 1
		.amdhsa_next_free_sgpr 1
		.amdhsa_reserve_vcc 0
		.amdhsa_float_round_mode_32 0
		.amdhsa_float_round_mode_16_64 0
		.amdhsa_float_denorm_mode_32 3
		.amdhsa_float_denorm_mode_16_64 3
		.amdhsa_fp16_overflow 0
		.amdhsa_workgroup_processor_mode 1
		.amdhsa_memory_ordered 1
		.amdhsa_forward_progress 1
		.amdhsa_inst_pref_size 0
		.amdhsa_round_robin_scheduling 0
		.amdhsa_exception_fp_ieee_invalid_op 0
		.amdhsa_exception_fp_denorm_src 0
		.amdhsa_exception_fp_ieee_div_zero 0
		.amdhsa_exception_fp_ieee_overflow 0
		.amdhsa_exception_fp_ieee_underflow 0
		.amdhsa_exception_fp_ieee_inexact 0
		.amdhsa_exception_int_div_zero 0
	.end_amdhsa_kernel
	.section	.text._ZN7rocprim17ROCPRIM_400000_NS6detail17trampoline_kernelINS0_14default_configENS1_25partition_config_selectorILNS1_17partition_subalgoE9EiibEEZZNS1_14partition_implILS5_9ELb0ES3_jPKiN6thrust23THRUST_200600_302600_NS17counting_iteratorIiNSB_11use_defaultESD_SD_EEPNS0_10empty_typeENS0_5tupleIJPiSF_EEENSH_IJSI_SG_EEENS0_18inequality_wrapperIN6hipcub16HIPCUB_304000_NS8EqualityEEEPlJSF_EEE10hipError_tPvRmT3_T4_T5_T6_T7_T9_mT8_P12ihipStream_tbDpT10_ENKUlT_T0_E_clISt17integral_constantIbLb1EES19_IbLb0EEEEDaS15_S16_EUlS15_E_NS1_11comp_targetILNS1_3genE8ELNS1_11target_archE1030ELNS1_3gpuE2ELNS1_3repE0EEENS1_30default_config_static_selectorELNS0_4arch9wavefront6targetE0EEEvT1_,"axG",@progbits,_ZN7rocprim17ROCPRIM_400000_NS6detail17trampoline_kernelINS0_14default_configENS1_25partition_config_selectorILNS1_17partition_subalgoE9EiibEEZZNS1_14partition_implILS5_9ELb0ES3_jPKiN6thrust23THRUST_200600_302600_NS17counting_iteratorIiNSB_11use_defaultESD_SD_EEPNS0_10empty_typeENS0_5tupleIJPiSF_EEENSH_IJSI_SG_EEENS0_18inequality_wrapperIN6hipcub16HIPCUB_304000_NS8EqualityEEEPlJSF_EEE10hipError_tPvRmT3_T4_T5_T6_T7_T9_mT8_P12ihipStream_tbDpT10_ENKUlT_T0_E_clISt17integral_constantIbLb1EES19_IbLb0EEEEDaS15_S16_EUlS15_E_NS1_11comp_targetILNS1_3genE8ELNS1_11target_archE1030ELNS1_3gpuE2ELNS1_3repE0EEENS1_30default_config_static_selectorELNS0_4arch9wavefront6targetE0EEEvT1_,comdat
.Lfunc_end34:
	.size	_ZN7rocprim17ROCPRIM_400000_NS6detail17trampoline_kernelINS0_14default_configENS1_25partition_config_selectorILNS1_17partition_subalgoE9EiibEEZZNS1_14partition_implILS5_9ELb0ES3_jPKiN6thrust23THRUST_200600_302600_NS17counting_iteratorIiNSB_11use_defaultESD_SD_EEPNS0_10empty_typeENS0_5tupleIJPiSF_EEENSH_IJSI_SG_EEENS0_18inequality_wrapperIN6hipcub16HIPCUB_304000_NS8EqualityEEEPlJSF_EEE10hipError_tPvRmT3_T4_T5_T6_T7_T9_mT8_P12ihipStream_tbDpT10_ENKUlT_T0_E_clISt17integral_constantIbLb1EES19_IbLb0EEEEDaS15_S16_EUlS15_E_NS1_11comp_targetILNS1_3genE8ELNS1_11target_archE1030ELNS1_3gpuE2ELNS1_3repE0EEENS1_30default_config_static_selectorELNS0_4arch9wavefront6targetE0EEEvT1_, .Lfunc_end34-_ZN7rocprim17ROCPRIM_400000_NS6detail17trampoline_kernelINS0_14default_configENS1_25partition_config_selectorILNS1_17partition_subalgoE9EiibEEZZNS1_14partition_implILS5_9ELb0ES3_jPKiN6thrust23THRUST_200600_302600_NS17counting_iteratorIiNSB_11use_defaultESD_SD_EEPNS0_10empty_typeENS0_5tupleIJPiSF_EEENSH_IJSI_SG_EEENS0_18inequality_wrapperIN6hipcub16HIPCUB_304000_NS8EqualityEEEPlJSF_EEE10hipError_tPvRmT3_T4_T5_T6_T7_T9_mT8_P12ihipStream_tbDpT10_ENKUlT_T0_E_clISt17integral_constantIbLb1EES19_IbLb0EEEEDaS15_S16_EUlS15_E_NS1_11comp_targetILNS1_3genE8ELNS1_11target_archE1030ELNS1_3gpuE2ELNS1_3repE0EEENS1_30default_config_static_selectorELNS0_4arch9wavefront6targetE0EEEvT1_
                                        ; -- End function
	.set _ZN7rocprim17ROCPRIM_400000_NS6detail17trampoline_kernelINS0_14default_configENS1_25partition_config_selectorILNS1_17partition_subalgoE9EiibEEZZNS1_14partition_implILS5_9ELb0ES3_jPKiN6thrust23THRUST_200600_302600_NS17counting_iteratorIiNSB_11use_defaultESD_SD_EEPNS0_10empty_typeENS0_5tupleIJPiSF_EEENSH_IJSI_SG_EEENS0_18inequality_wrapperIN6hipcub16HIPCUB_304000_NS8EqualityEEEPlJSF_EEE10hipError_tPvRmT3_T4_T5_T6_T7_T9_mT8_P12ihipStream_tbDpT10_ENKUlT_T0_E_clISt17integral_constantIbLb1EES19_IbLb0EEEEDaS15_S16_EUlS15_E_NS1_11comp_targetILNS1_3genE8ELNS1_11target_archE1030ELNS1_3gpuE2ELNS1_3repE0EEENS1_30default_config_static_selectorELNS0_4arch9wavefront6targetE0EEEvT1_.num_vgpr, 0
	.set _ZN7rocprim17ROCPRIM_400000_NS6detail17trampoline_kernelINS0_14default_configENS1_25partition_config_selectorILNS1_17partition_subalgoE9EiibEEZZNS1_14partition_implILS5_9ELb0ES3_jPKiN6thrust23THRUST_200600_302600_NS17counting_iteratorIiNSB_11use_defaultESD_SD_EEPNS0_10empty_typeENS0_5tupleIJPiSF_EEENSH_IJSI_SG_EEENS0_18inequality_wrapperIN6hipcub16HIPCUB_304000_NS8EqualityEEEPlJSF_EEE10hipError_tPvRmT3_T4_T5_T6_T7_T9_mT8_P12ihipStream_tbDpT10_ENKUlT_T0_E_clISt17integral_constantIbLb1EES19_IbLb0EEEEDaS15_S16_EUlS15_E_NS1_11comp_targetILNS1_3genE8ELNS1_11target_archE1030ELNS1_3gpuE2ELNS1_3repE0EEENS1_30default_config_static_selectorELNS0_4arch9wavefront6targetE0EEEvT1_.num_agpr, 0
	.set _ZN7rocprim17ROCPRIM_400000_NS6detail17trampoline_kernelINS0_14default_configENS1_25partition_config_selectorILNS1_17partition_subalgoE9EiibEEZZNS1_14partition_implILS5_9ELb0ES3_jPKiN6thrust23THRUST_200600_302600_NS17counting_iteratorIiNSB_11use_defaultESD_SD_EEPNS0_10empty_typeENS0_5tupleIJPiSF_EEENSH_IJSI_SG_EEENS0_18inequality_wrapperIN6hipcub16HIPCUB_304000_NS8EqualityEEEPlJSF_EEE10hipError_tPvRmT3_T4_T5_T6_T7_T9_mT8_P12ihipStream_tbDpT10_ENKUlT_T0_E_clISt17integral_constantIbLb1EES19_IbLb0EEEEDaS15_S16_EUlS15_E_NS1_11comp_targetILNS1_3genE8ELNS1_11target_archE1030ELNS1_3gpuE2ELNS1_3repE0EEENS1_30default_config_static_selectorELNS0_4arch9wavefront6targetE0EEEvT1_.numbered_sgpr, 0
	.set _ZN7rocprim17ROCPRIM_400000_NS6detail17trampoline_kernelINS0_14default_configENS1_25partition_config_selectorILNS1_17partition_subalgoE9EiibEEZZNS1_14partition_implILS5_9ELb0ES3_jPKiN6thrust23THRUST_200600_302600_NS17counting_iteratorIiNSB_11use_defaultESD_SD_EEPNS0_10empty_typeENS0_5tupleIJPiSF_EEENSH_IJSI_SG_EEENS0_18inequality_wrapperIN6hipcub16HIPCUB_304000_NS8EqualityEEEPlJSF_EEE10hipError_tPvRmT3_T4_T5_T6_T7_T9_mT8_P12ihipStream_tbDpT10_ENKUlT_T0_E_clISt17integral_constantIbLb1EES19_IbLb0EEEEDaS15_S16_EUlS15_E_NS1_11comp_targetILNS1_3genE8ELNS1_11target_archE1030ELNS1_3gpuE2ELNS1_3repE0EEENS1_30default_config_static_selectorELNS0_4arch9wavefront6targetE0EEEvT1_.num_named_barrier, 0
	.set _ZN7rocprim17ROCPRIM_400000_NS6detail17trampoline_kernelINS0_14default_configENS1_25partition_config_selectorILNS1_17partition_subalgoE9EiibEEZZNS1_14partition_implILS5_9ELb0ES3_jPKiN6thrust23THRUST_200600_302600_NS17counting_iteratorIiNSB_11use_defaultESD_SD_EEPNS0_10empty_typeENS0_5tupleIJPiSF_EEENSH_IJSI_SG_EEENS0_18inequality_wrapperIN6hipcub16HIPCUB_304000_NS8EqualityEEEPlJSF_EEE10hipError_tPvRmT3_T4_T5_T6_T7_T9_mT8_P12ihipStream_tbDpT10_ENKUlT_T0_E_clISt17integral_constantIbLb1EES19_IbLb0EEEEDaS15_S16_EUlS15_E_NS1_11comp_targetILNS1_3genE8ELNS1_11target_archE1030ELNS1_3gpuE2ELNS1_3repE0EEENS1_30default_config_static_selectorELNS0_4arch9wavefront6targetE0EEEvT1_.private_seg_size, 0
	.set _ZN7rocprim17ROCPRIM_400000_NS6detail17trampoline_kernelINS0_14default_configENS1_25partition_config_selectorILNS1_17partition_subalgoE9EiibEEZZNS1_14partition_implILS5_9ELb0ES3_jPKiN6thrust23THRUST_200600_302600_NS17counting_iteratorIiNSB_11use_defaultESD_SD_EEPNS0_10empty_typeENS0_5tupleIJPiSF_EEENSH_IJSI_SG_EEENS0_18inequality_wrapperIN6hipcub16HIPCUB_304000_NS8EqualityEEEPlJSF_EEE10hipError_tPvRmT3_T4_T5_T6_T7_T9_mT8_P12ihipStream_tbDpT10_ENKUlT_T0_E_clISt17integral_constantIbLb1EES19_IbLb0EEEEDaS15_S16_EUlS15_E_NS1_11comp_targetILNS1_3genE8ELNS1_11target_archE1030ELNS1_3gpuE2ELNS1_3repE0EEENS1_30default_config_static_selectorELNS0_4arch9wavefront6targetE0EEEvT1_.uses_vcc, 0
	.set _ZN7rocprim17ROCPRIM_400000_NS6detail17trampoline_kernelINS0_14default_configENS1_25partition_config_selectorILNS1_17partition_subalgoE9EiibEEZZNS1_14partition_implILS5_9ELb0ES3_jPKiN6thrust23THRUST_200600_302600_NS17counting_iteratorIiNSB_11use_defaultESD_SD_EEPNS0_10empty_typeENS0_5tupleIJPiSF_EEENSH_IJSI_SG_EEENS0_18inequality_wrapperIN6hipcub16HIPCUB_304000_NS8EqualityEEEPlJSF_EEE10hipError_tPvRmT3_T4_T5_T6_T7_T9_mT8_P12ihipStream_tbDpT10_ENKUlT_T0_E_clISt17integral_constantIbLb1EES19_IbLb0EEEEDaS15_S16_EUlS15_E_NS1_11comp_targetILNS1_3genE8ELNS1_11target_archE1030ELNS1_3gpuE2ELNS1_3repE0EEENS1_30default_config_static_selectorELNS0_4arch9wavefront6targetE0EEEvT1_.uses_flat_scratch, 0
	.set _ZN7rocprim17ROCPRIM_400000_NS6detail17trampoline_kernelINS0_14default_configENS1_25partition_config_selectorILNS1_17partition_subalgoE9EiibEEZZNS1_14partition_implILS5_9ELb0ES3_jPKiN6thrust23THRUST_200600_302600_NS17counting_iteratorIiNSB_11use_defaultESD_SD_EEPNS0_10empty_typeENS0_5tupleIJPiSF_EEENSH_IJSI_SG_EEENS0_18inequality_wrapperIN6hipcub16HIPCUB_304000_NS8EqualityEEEPlJSF_EEE10hipError_tPvRmT3_T4_T5_T6_T7_T9_mT8_P12ihipStream_tbDpT10_ENKUlT_T0_E_clISt17integral_constantIbLb1EES19_IbLb0EEEEDaS15_S16_EUlS15_E_NS1_11comp_targetILNS1_3genE8ELNS1_11target_archE1030ELNS1_3gpuE2ELNS1_3repE0EEENS1_30default_config_static_selectorELNS0_4arch9wavefront6targetE0EEEvT1_.has_dyn_sized_stack, 0
	.set _ZN7rocprim17ROCPRIM_400000_NS6detail17trampoline_kernelINS0_14default_configENS1_25partition_config_selectorILNS1_17partition_subalgoE9EiibEEZZNS1_14partition_implILS5_9ELb0ES3_jPKiN6thrust23THRUST_200600_302600_NS17counting_iteratorIiNSB_11use_defaultESD_SD_EEPNS0_10empty_typeENS0_5tupleIJPiSF_EEENSH_IJSI_SG_EEENS0_18inequality_wrapperIN6hipcub16HIPCUB_304000_NS8EqualityEEEPlJSF_EEE10hipError_tPvRmT3_T4_T5_T6_T7_T9_mT8_P12ihipStream_tbDpT10_ENKUlT_T0_E_clISt17integral_constantIbLb1EES19_IbLb0EEEEDaS15_S16_EUlS15_E_NS1_11comp_targetILNS1_3genE8ELNS1_11target_archE1030ELNS1_3gpuE2ELNS1_3repE0EEENS1_30default_config_static_selectorELNS0_4arch9wavefront6targetE0EEEvT1_.has_recursion, 0
	.set _ZN7rocprim17ROCPRIM_400000_NS6detail17trampoline_kernelINS0_14default_configENS1_25partition_config_selectorILNS1_17partition_subalgoE9EiibEEZZNS1_14partition_implILS5_9ELb0ES3_jPKiN6thrust23THRUST_200600_302600_NS17counting_iteratorIiNSB_11use_defaultESD_SD_EEPNS0_10empty_typeENS0_5tupleIJPiSF_EEENSH_IJSI_SG_EEENS0_18inequality_wrapperIN6hipcub16HIPCUB_304000_NS8EqualityEEEPlJSF_EEE10hipError_tPvRmT3_T4_T5_T6_T7_T9_mT8_P12ihipStream_tbDpT10_ENKUlT_T0_E_clISt17integral_constantIbLb1EES19_IbLb0EEEEDaS15_S16_EUlS15_E_NS1_11comp_targetILNS1_3genE8ELNS1_11target_archE1030ELNS1_3gpuE2ELNS1_3repE0EEENS1_30default_config_static_selectorELNS0_4arch9wavefront6targetE0EEEvT1_.has_indirect_call, 0
	.section	.AMDGPU.csdata,"",@progbits
; Kernel info:
; codeLenInByte = 0
; TotalNumSgprs: 0
; NumVgprs: 0
; ScratchSize: 0
; MemoryBound: 0
; FloatMode: 240
; IeeeMode: 1
; LDSByteSize: 0 bytes/workgroup (compile time only)
; SGPRBlocks: 0
; VGPRBlocks: 0
; NumSGPRsForWavesPerEU: 1
; NumVGPRsForWavesPerEU: 1
; Occupancy: 16
; WaveLimiterHint : 0
; COMPUTE_PGM_RSRC2:SCRATCH_EN: 0
; COMPUTE_PGM_RSRC2:USER_SGPR: 2
; COMPUTE_PGM_RSRC2:TRAP_HANDLER: 0
; COMPUTE_PGM_RSRC2:TGID_X_EN: 1
; COMPUTE_PGM_RSRC2:TGID_Y_EN: 0
; COMPUTE_PGM_RSRC2:TGID_Z_EN: 0
; COMPUTE_PGM_RSRC2:TIDIG_COMP_CNT: 0
	.section	.text._ZN7rocprim17ROCPRIM_400000_NS6detail31init_lookback_scan_state_kernelINS1_19lookback_scan_stateIjLb0ELb1EEENS1_16block_id_wrapperIjLb1EEEEEvT_jT0_jPNS7_10value_typeE,"axG",@progbits,_ZN7rocprim17ROCPRIM_400000_NS6detail31init_lookback_scan_state_kernelINS1_19lookback_scan_stateIjLb0ELb1EEENS1_16block_id_wrapperIjLb1EEEEEvT_jT0_jPNS7_10value_typeE,comdat
	.protected	_ZN7rocprim17ROCPRIM_400000_NS6detail31init_lookback_scan_state_kernelINS1_19lookback_scan_stateIjLb0ELb1EEENS1_16block_id_wrapperIjLb1EEEEEvT_jT0_jPNS7_10value_typeE ; -- Begin function _ZN7rocprim17ROCPRIM_400000_NS6detail31init_lookback_scan_state_kernelINS1_19lookback_scan_stateIjLb0ELb1EEENS1_16block_id_wrapperIjLb1EEEEEvT_jT0_jPNS7_10value_typeE
	.globl	_ZN7rocprim17ROCPRIM_400000_NS6detail31init_lookback_scan_state_kernelINS1_19lookback_scan_stateIjLb0ELb1EEENS1_16block_id_wrapperIjLb1EEEEEvT_jT0_jPNS7_10value_typeE
	.p2align	8
	.type	_ZN7rocprim17ROCPRIM_400000_NS6detail31init_lookback_scan_state_kernelINS1_19lookback_scan_stateIjLb0ELb1EEENS1_16block_id_wrapperIjLb1EEEEEvT_jT0_jPNS7_10value_typeE,@function
_ZN7rocprim17ROCPRIM_400000_NS6detail31init_lookback_scan_state_kernelINS1_19lookback_scan_stateIjLb0ELb1EEENS1_16block_id_wrapperIjLb1EEEEEvT_jT0_jPNS7_10value_typeE: ; @_ZN7rocprim17ROCPRIM_400000_NS6detail31init_lookback_scan_state_kernelINS1_19lookback_scan_stateIjLb0ELb1EEENS1_16block_id_wrapperIjLb1EEEEEvT_jT0_jPNS7_10value_typeE
; %bb.0:
	s_clause 0x2
	s_load_b32 s7, s[0:1], 0x34
	s_load_b64 s[2:3], s[0:1], 0x20
	s_load_b96 s[4:6], s[0:1], 0x0
	s_wait_kmcnt 0x0
	s_and_b32 s7, s7, 0xffff
	s_cmp_eq_u64 s[2:3], 0
	v_mad_co_u64_u32 v[0:1], null, ttmp9, s7, v[0:1]
	s_cbranch_scc1 .LBB35_6
; %bb.1:
	s_load_b32 s8, s[0:1], 0x18
	s_mov_b32 s9, 0
	s_wait_kmcnt 0x0
	s_cmp_lt_u32 s8, s6
	s_cselect_b32 s7, s8, 0
	s_wait_alu 0xfffe
	v_cmp_eq_u32_e32 vcc_lo, s7, v0
	s_and_saveexec_b32 s7, vcc_lo
	s_cbranch_execz .LBB35_5
; %bb.2:
	s_add_co_i32 s8, s8, 32
	v_mov_b32_e32 v3, 0
	s_lshl_b64 s[8:9], s[8:9], 3
	s_delay_alu instid0(SALU_CYCLE_1) | instskip(SKIP_3) | instid1(VALU_DEP_1)
	s_add_nc_u64 s[8:9], s[4:5], s[8:9]
	global_load_b64 v[1:2], v3, s[8:9] scope:SCOPE_DEV
	s_wait_loadcnt 0x0
	v_and_b32_e32 v4, 0xff, v2
	v_cmp_ne_u64_e32 vcc_lo, 0, v[3:4]
	s_cbranch_vccnz .LBB35_4
.LBB35_3:                               ; =>This Inner Loop Header: Depth=1
	global_load_b64 v[1:2], v3, s[8:9] scope:SCOPE_DEV
	s_wait_loadcnt 0x0
	v_and_b32_e32 v4, 0xff, v2
	s_delay_alu instid0(VALU_DEP_1)
	v_cmp_eq_u64_e32 vcc_lo, 0, v[3:4]
	s_cbranch_vccnz .LBB35_3
.LBB35_4:
	v_mov_b32_e32 v2, 0
	global_store_b32 v2, v1, s[2:3]
.LBB35_5:
	s_wait_alu 0xfffe
	s_or_b32 exec_lo, exec_lo, s7
.LBB35_6:
	s_delay_alu instid0(SALU_CYCLE_1)
	s_mov_b32 s2, exec_lo
	v_cmpx_eq_u32_e32 0, v0
	s_cbranch_execz .LBB35_8
; %bb.7:
	s_load_b64 s[0:1], s[0:1], 0x10
	v_mov_b32_e32 v1, 0
	s_wait_kmcnt 0x0
	global_store_b32 v1, v1, s[0:1]
.LBB35_8:
	s_or_b32 exec_lo, exec_lo, s2
	s_delay_alu instid0(SALU_CYCLE_1)
	s_mov_b32 s0, exec_lo
	v_cmpx_gt_u32_e64 s6, v0
	s_cbranch_execz .LBB35_10
; %bb.9:
	v_dual_mov_b32 v2, 0 :: v_dual_add_nc_u32 v1, 32, v0
	s_delay_alu instid0(VALU_DEP_1) | instskip(SKIP_1) | instid1(VALU_DEP_2)
	v_lshlrev_b64_e32 v[3:4], 3, v[1:2]
	v_mov_b32_e32 v1, v2
	v_add_co_u32 v3, vcc_lo, s4, v3
	s_delay_alu instid0(VALU_DEP_1)
	v_add_co_ci_u32_e64 v4, null, s5, v4, vcc_lo
	global_store_b64 v[3:4], v[1:2], off
.LBB35_10:
	s_wait_alu 0xfffe
	s_or_b32 exec_lo, exec_lo, s0
	s_delay_alu instid0(SALU_CYCLE_1)
	s_mov_b32 s0, exec_lo
	v_cmpx_gt_u32_e32 32, v0
	s_cbranch_execz .LBB35_12
; %bb.11:
	v_dual_mov_b32 v1, 0 :: v_dual_mov_b32 v4, 0xff
	s_delay_alu instid0(VALU_DEP_1) | instskip(NEXT) | instid1(VALU_DEP_1)
	v_lshlrev_b64_e32 v[2:3], 3, v[0:1]
	v_add_co_u32 v5, vcc_lo, s4, v2
	s_wait_alu 0xfffd
	s_delay_alu instid0(VALU_DEP_2)
	v_add_co_ci_u32_e64 v6, null, s5, v3, vcc_lo
	v_mov_b32_e32 v3, v1
	global_store_b64 v[5:6], v[3:4], off
.LBB35_12:
	s_endpgm
	.section	.rodata,"a",@progbits
	.p2align	6, 0x0
	.amdhsa_kernel _ZN7rocprim17ROCPRIM_400000_NS6detail31init_lookback_scan_state_kernelINS1_19lookback_scan_stateIjLb0ELb1EEENS1_16block_id_wrapperIjLb1EEEEEvT_jT0_jPNS7_10value_typeE
		.amdhsa_group_segment_fixed_size 0
		.amdhsa_private_segment_fixed_size 0
		.amdhsa_kernarg_size 296
		.amdhsa_user_sgpr_count 2
		.amdhsa_user_sgpr_dispatch_ptr 0
		.amdhsa_user_sgpr_queue_ptr 0
		.amdhsa_user_sgpr_kernarg_segment_ptr 1
		.amdhsa_user_sgpr_dispatch_id 0
		.amdhsa_user_sgpr_private_segment_size 0
		.amdhsa_wavefront_size32 1
		.amdhsa_uses_dynamic_stack 0
		.amdhsa_enable_private_segment 0
		.amdhsa_system_sgpr_workgroup_id_x 1
		.amdhsa_system_sgpr_workgroup_id_y 0
		.amdhsa_system_sgpr_workgroup_id_z 0
		.amdhsa_system_sgpr_workgroup_info 0
		.amdhsa_system_vgpr_workitem_id 0
		.amdhsa_next_free_vgpr 7
		.amdhsa_next_free_sgpr 10
		.amdhsa_reserve_vcc 1
		.amdhsa_float_round_mode_32 0
		.amdhsa_float_round_mode_16_64 0
		.amdhsa_float_denorm_mode_32 3
		.amdhsa_float_denorm_mode_16_64 3
		.amdhsa_fp16_overflow 0
		.amdhsa_workgroup_processor_mode 1
		.amdhsa_memory_ordered 1
		.amdhsa_forward_progress 1
		.amdhsa_inst_pref_size 4
		.amdhsa_round_robin_scheduling 0
		.amdhsa_exception_fp_ieee_invalid_op 0
		.amdhsa_exception_fp_denorm_src 0
		.amdhsa_exception_fp_ieee_div_zero 0
		.amdhsa_exception_fp_ieee_overflow 0
		.amdhsa_exception_fp_ieee_underflow 0
		.amdhsa_exception_fp_ieee_inexact 0
		.amdhsa_exception_int_div_zero 0
	.end_amdhsa_kernel
	.section	.text._ZN7rocprim17ROCPRIM_400000_NS6detail31init_lookback_scan_state_kernelINS1_19lookback_scan_stateIjLb0ELb1EEENS1_16block_id_wrapperIjLb1EEEEEvT_jT0_jPNS7_10value_typeE,"axG",@progbits,_ZN7rocprim17ROCPRIM_400000_NS6detail31init_lookback_scan_state_kernelINS1_19lookback_scan_stateIjLb0ELb1EEENS1_16block_id_wrapperIjLb1EEEEEvT_jT0_jPNS7_10value_typeE,comdat
.Lfunc_end35:
	.size	_ZN7rocprim17ROCPRIM_400000_NS6detail31init_lookback_scan_state_kernelINS1_19lookback_scan_stateIjLb0ELb1EEENS1_16block_id_wrapperIjLb1EEEEEvT_jT0_jPNS7_10value_typeE, .Lfunc_end35-_ZN7rocprim17ROCPRIM_400000_NS6detail31init_lookback_scan_state_kernelINS1_19lookback_scan_stateIjLb0ELb1EEENS1_16block_id_wrapperIjLb1EEEEEvT_jT0_jPNS7_10value_typeE
                                        ; -- End function
	.set _ZN7rocprim17ROCPRIM_400000_NS6detail31init_lookback_scan_state_kernelINS1_19lookback_scan_stateIjLb0ELb1EEENS1_16block_id_wrapperIjLb1EEEEEvT_jT0_jPNS7_10value_typeE.num_vgpr, 7
	.set _ZN7rocprim17ROCPRIM_400000_NS6detail31init_lookback_scan_state_kernelINS1_19lookback_scan_stateIjLb0ELb1EEENS1_16block_id_wrapperIjLb1EEEEEvT_jT0_jPNS7_10value_typeE.num_agpr, 0
	.set _ZN7rocprim17ROCPRIM_400000_NS6detail31init_lookback_scan_state_kernelINS1_19lookback_scan_stateIjLb0ELb1EEENS1_16block_id_wrapperIjLb1EEEEEvT_jT0_jPNS7_10value_typeE.numbered_sgpr, 10
	.set _ZN7rocprim17ROCPRIM_400000_NS6detail31init_lookback_scan_state_kernelINS1_19lookback_scan_stateIjLb0ELb1EEENS1_16block_id_wrapperIjLb1EEEEEvT_jT0_jPNS7_10value_typeE.num_named_barrier, 0
	.set _ZN7rocprim17ROCPRIM_400000_NS6detail31init_lookback_scan_state_kernelINS1_19lookback_scan_stateIjLb0ELb1EEENS1_16block_id_wrapperIjLb1EEEEEvT_jT0_jPNS7_10value_typeE.private_seg_size, 0
	.set _ZN7rocprim17ROCPRIM_400000_NS6detail31init_lookback_scan_state_kernelINS1_19lookback_scan_stateIjLb0ELb1EEENS1_16block_id_wrapperIjLb1EEEEEvT_jT0_jPNS7_10value_typeE.uses_vcc, 1
	.set _ZN7rocprim17ROCPRIM_400000_NS6detail31init_lookback_scan_state_kernelINS1_19lookback_scan_stateIjLb0ELb1EEENS1_16block_id_wrapperIjLb1EEEEEvT_jT0_jPNS7_10value_typeE.uses_flat_scratch, 0
	.set _ZN7rocprim17ROCPRIM_400000_NS6detail31init_lookback_scan_state_kernelINS1_19lookback_scan_stateIjLb0ELb1EEENS1_16block_id_wrapperIjLb1EEEEEvT_jT0_jPNS7_10value_typeE.has_dyn_sized_stack, 0
	.set _ZN7rocprim17ROCPRIM_400000_NS6detail31init_lookback_scan_state_kernelINS1_19lookback_scan_stateIjLb0ELb1EEENS1_16block_id_wrapperIjLb1EEEEEvT_jT0_jPNS7_10value_typeE.has_recursion, 0
	.set _ZN7rocprim17ROCPRIM_400000_NS6detail31init_lookback_scan_state_kernelINS1_19lookback_scan_stateIjLb0ELb1EEENS1_16block_id_wrapperIjLb1EEEEEvT_jT0_jPNS7_10value_typeE.has_indirect_call, 0
	.section	.AMDGPU.csdata,"",@progbits
; Kernel info:
; codeLenInByte = 416
; TotalNumSgprs: 12
; NumVgprs: 7
; ScratchSize: 0
; MemoryBound: 0
; FloatMode: 240
; IeeeMode: 1
; LDSByteSize: 0 bytes/workgroup (compile time only)
; SGPRBlocks: 0
; VGPRBlocks: 0
; NumSGPRsForWavesPerEU: 12
; NumVGPRsForWavesPerEU: 7
; Occupancy: 16
; WaveLimiterHint : 0
; COMPUTE_PGM_RSRC2:SCRATCH_EN: 0
; COMPUTE_PGM_RSRC2:USER_SGPR: 2
; COMPUTE_PGM_RSRC2:TRAP_HANDLER: 0
; COMPUTE_PGM_RSRC2:TGID_X_EN: 1
; COMPUTE_PGM_RSRC2:TGID_Y_EN: 0
; COMPUTE_PGM_RSRC2:TGID_Z_EN: 0
; COMPUTE_PGM_RSRC2:TIDIG_COMP_CNT: 0
	.section	.text._ZN7rocprim17ROCPRIM_400000_NS6detail17trampoline_kernelINS0_14default_configENS1_25partition_config_selectorILNS1_17partition_subalgoE9EiibEEZZNS1_14partition_implILS5_9ELb0ES3_jPKiN6thrust23THRUST_200600_302600_NS17counting_iteratorIiNSB_11use_defaultESD_SD_EEPNS0_10empty_typeENS0_5tupleIJPiSF_EEENSH_IJSI_SG_EEENS0_18inequality_wrapperIN6hipcub16HIPCUB_304000_NS8EqualityEEEPlJSF_EEE10hipError_tPvRmT3_T4_T5_T6_T7_T9_mT8_P12ihipStream_tbDpT10_ENKUlT_T0_E_clISt17integral_constantIbLb0EES19_IbLb1EEEEDaS15_S16_EUlS15_E_NS1_11comp_targetILNS1_3genE0ELNS1_11target_archE4294967295ELNS1_3gpuE0ELNS1_3repE0EEENS1_30default_config_static_selectorELNS0_4arch9wavefront6targetE0EEEvT1_,"axG",@progbits,_ZN7rocprim17ROCPRIM_400000_NS6detail17trampoline_kernelINS0_14default_configENS1_25partition_config_selectorILNS1_17partition_subalgoE9EiibEEZZNS1_14partition_implILS5_9ELb0ES3_jPKiN6thrust23THRUST_200600_302600_NS17counting_iteratorIiNSB_11use_defaultESD_SD_EEPNS0_10empty_typeENS0_5tupleIJPiSF_EEENSH_IJSI_SG_EEENS0_18inequality_wrapperIN6hipcub16HIPCUB_304000_NS8EqualityEEEPlJSF_EEE10hipError_tPvRmT3_T4_T5_T6_T7_T9_mT8_P12ihipStream_tbDpT10_ENKUlT_T0_E_clISt17integral_constantIbLb0EES19_IbLb1EEEEDaS15_S16_EUlS15_E_NS1_11comp_targetILNS1_3genE0ELNS1_11target_archE4294967295ELNS1_3gpuE0ELNS1_3repE0EEENS1_30default_config_static_selectorELNS0_4arch9wavefront6targetE0EEEvT1_,comdat
	.protected	_ZN7rocprim17ROCPRIM_400000_NS6detail17trampoline_kernelINS0_14default_configENS1_25partition_config_selectorILNS1_17partition_subalgoE9EiibEEZZNS1_14partition_implILS5_9ELb0ES3_jPKiN6thrust23THRUST_200600_302600_NS17counting_iteratorIiNSB_11use_defaultESD_SD_EEPNS0_10empty_typeENS0_5tupleIJPiSF_EEENSH_IJSI_SG_EEENS0_18inequality_wrapperIN6hipcub16HIPCUB_304000_NS8EqualityEEEPlJSF_EEE10hipError_tPvRmT3_T4_T5_T6_T7_T9_mT8_P12ihipStream_tbDpT10_ENKUlT_T0_E_clISt17integral_constantIbLb0EES19_IbLb1EEEEDaS15_S16_EUlS15_E_NS1_11comp_targetILNS1_3genE0ELNS1_11target_archE4294967295ELNS1_3gpuE0ELNS1_3repE0EEENS1_30default_config_static_selectorELNS0_4arch9wavefront6targetE0EEEvT1_ ; -- Begin function _ZN7rocprim17ROCPRIM_400000_NS6detail17trampoline_kernelINS0_14default_configENS1_25partition_config_selectorILNS1_17partition_subalgoE9EiibEEZZNS1_14partition_implILS5_9ELb0ES3_jPKiN6thrust23THRUST_200600_302600_NS17counting_iteratorIiNSB_11use_defaultESD_SD_EEPNS0_10empty_typeENS0_5tupleIJPiSF_EEENSH_IJSI_SG_EEENS0_18inequality_wrapperIN6hipcub16HIPCUB_304000_NS8EqualityEEEPlJSF_EEE10hipError_tPvRmT3_T4_T5_T6_T7_T9_mT8_P12ihipStream_tbDpT10_ENKUlT_T0_E_clISt17integral_constantIbLb0EES19_IbLb1EEEEDaS15_S16_EUlS15_E_NS1_11comp_targetILNS1_3genE0ELNS1_11target_archE4294967295ELNS1_3gpuE0ELNS1_3repE0EEENS1_30default_config_static_selectorELNS0_4arch9wavefront6targetE0EEEvT1_
	.globl	_ZN7rocprim17ROCPRIM_400000_NS6detail17trampoline_kernelINS0_14default_configENS1_25partition_config_selectorILNS1_17partition_subalgoE9EiibEEZZNS1_14partition_implILS5_9ELb0ES3_jPKiN6thrust23THRUST_200600_302600_NS17counting_iteratorIiNSB_11use_defaultESD_SD_EEPNS0_10empty_typeENS0_5tupleIJPiSF_EEENSH_IJSI_SG_EEENS0_18inequality_wrapperIN6hipcub16HIPCUB_304000_NS8EqualityEEEPlJSF_EEE10hipError_tPvRmT3_T4_T5_T6_T7_T9_mT8_P12ihipStream_tbDpT10_ENKUlT_T0_E_clISt17integral_constantIbLb0EES19_IbLb1EEEEDaS15_S16_EUlS15_E_NS1_11comp_targetILNS1_3genE0ELNS1_11target_archE4294967295ELNS1_3gpuE0ELNS1_3repE0EEENS1_30default_config_static_selectorELNS0_4arch9wavefront6targetE0EEEvT1_
	.p2align	8
	.type	_ZN7rocprim17ROCPRIM_400000_NS6detail17trampoline_kernelINS0_14default_configENS1_25partition_config_selectorILNS1_17partition_subalgoE9EiibEEZZNS1_14partition_implILS5_9ELb0ES3_jPKiN6thrust23THRUST_200600_302600_NS17counting_iteratorIiNSB_11use_defaultESD_SD_EEPNS0_10empty_typeENS0_5tupleIJPiSF_EEENSH_IJSI_SG_EEENS0_18inequality_wrapperIN6hipcub16HIPCUB_304000_NS8EqualityEEEPlJSF_EEE10hipError_tPvRmT3_T4_T5_T6_T7_T9_mT8_P12ihipStream_tbDpT10_ENKUlT_T0_E_clISt17integral_constantIbLb0EES19_IbLb1EEEEDaS15_S16_EUlS15_E_NS1_11comp_targetILNS1_3genE0ELNS1_11target_archE4294967295ELNS1_3gpuE0ELNS1_3repE0EEENS1_30default_config_static_selectorELNS0_4arch9wavefront6targetE0EEEvT1_,@function
_ZN7rocprim17ROCPRIM_400000_NS6detail17trampoline_kernelINS0_14default_configENS1_25partition_config_selectorILNS1_17partition_subalgoE9EiibEEZZNS1_14partition_implILS5_9ELb0ES3_jPKiN6thrust23THRUST_200600_302600_NS17counting_iteratorIiNSB_11use_defaultESD_SD_EEPNS0_10empty_typeENS0_5tupleIJPiSF_EEENSH_IJSI_SG_EEENS0_18inequality_wrapperIN6hipcub16HIPCUB_304000_NS8EqualityEEEPlJSF_EEE10hipError_tPvRmT3_T4_T5_T6_T7_T9_mT8_P12ihipStream_tbDpT10_ENKUlT_T0_E_clISt17integral_constantIbLb0EES19_IbLb1EEEEDaS15_S16_EUlS15_E_NS1_11comp_targetILNS1_3genE0ELNS1_11target_archE4294967295ELNS1_3gpuE0ELNS1_3repE0EEENS1_30default_config_static_selectorELNS0_4arch9wavefront6targetE0EEEvT1_: ; @_ZN7rocprim17ROCPRIM_400000_NS6detail17trampoline_kernelINS0_14default_configENS1_25partition_config_selectorILNS1_17partition_subalgoE9EiibEEZZNS1_14partition_implILS5_9ELb0ES3_jPKiN6thrust23THRUST_200600_302600_NS17counting_iteratorIiNSB_11use_defaultESD_SD_EEPNS0_10empty_typeENS0_5tupleIJPiSF_EEENSH_IJSI_SG_EEENS0_18inequality_wrapperIN6hipcub16HIPCUB_304000_NS8EqualityEEEPlJSF_EEE10hipError_tPvRmT3_T4_T5_T6_T7_T9_mT8_P12ihipStream_tbDpT10_ENKUlT_T0_E_clISt17integral_constantIbLb0EES19_IbLb1EEEEDaS15_S16_EUlS15_E_NS1_11comp_targetILNS1_3genE0ELNS1_11target_archE4294967295ELNS1_3gpuE0ELNS1_3repE0EEENS1_30default_config_static_selectorELNS0_4arch9wavefront6targetE0EEEvT1_
; %bb.0:
	.section	.rodata,"a",@progbits
	.p2align	6, 0x0
	.amdhsa_kernel _ZN7rocprim17ROCPRIM_400000_NS6detail17trampoline_kernelINS0_14default_configENS1_25partition_config_selectorILNS1_17partition_subalgoE9EiibEEZZNS1_14partition_implILS5_9ELb0ES3_jPKiN6thrust23THRUST_200600_302600_NS17counting_iteratorIiNSB_11use_defaultESD_SD_EEPNS0_10empty_typeENS0_5tupleIJPiSF_EEENSH_IJSI_SG_EEENS0_18inequality_wrapperIN6hipcub16HIPCUB_304000_NS8EqualityEEEPlJSF_EEE10hipError_tPvRmT3_T4_T5_T6_T7_T9_mT8_P12ihipStream_tbDpT10_ENKUlT_T0_E_clISt17integral_constantIbLb0EES19_IbLb1EEEEDaS15_S16_EUlS15_E_NS1_11comp_targetILNS1_3genE0ELNS1_11target_archE4294967295ELNS1_3gpuE0ELNS1_3repE0EEENS1_30default_config_static_selectorELNS0_4arch9wavefront6targetE0EEEvT1_
		.amdhsa_group_segment_fixed_size 0
		.amdhsa_private_segment_fixed_size 0
		.amdhsa_kernarg_size 128
		.amdhsa_user_sgpr_count 2
		.amdhsa_user_sgpr_dispatch_ptr 0
		.amdhsa_user_sgpr_queue_ptr 0
		.amdhsa_user_sgpr_kernarg_segment_ptr 1
		.amdhsa_user_sgpr_dispatch_id 0
		.amdhsa_user_sgpr_private_segment_size 0
		.amdhsa_wavefront_size32 1
		.amdhsa_uses_dynamic_stack 0
		.amdhsa_enable_private_segment 0
		.amdhsa_system_sgpr_workgroup_id_x 1
		.amdhsa_system_sgpr_workgroup_id_y 0
		.amdhsa_system_sgpr_workgroup_id_z 0
		.amdhsa_system_sgpr_workgroup_info 0
		.amdhsa_system_vgpr_workitem_id 0
		.amdhsa_next_free_vgpr 1
		.amdhsa_next_free_sgpr 1
		.amdhsa_reserve_vcc 0
		.amdhsa_float_round_mode_32 0
		.amdhsa_float_round_mode_16_64 0
		.amdhsa_float_denorm_mode_32 3
		.amdhsa_float_denorm_mode_16_64 3
		.amdhsa_fp16_overflow 0
		.amdhsa_workgroup_processor_mode 1
		.amdhsa_memory_ordered 1
		.amdhsa_forward_progress 1
		.amdhsa_inst_pref_size 0
		.amdhsa_round_robin_scheduling 0
		.amdhsa_exception_fp_ieee_invalid_op 0
		.amdhsa_exception_fp_denorm_src 0
		.amdhsa_exception_fp_ieee_div_zero 0
		.amdhsa_exception_fp_ieee_overflow 0
		.amdhsa_exception_fp_ieee_underflow 0
		.amdhsa_exception_fp_ieee_inexact 0
		.amdhsa_exception_int_div_zero 0
	.end_amdhsa_kernel
	.section	.text._ZN7rocprim17ROCPRIM_400000_NS6detail17trampoline_kernelINS0_14default_configENS1_25partition_config_selectorILNS1_17partition_subalgoE9EiibEEZZNS1_14partition_implILS5_9ELb0ES3_jPKiN6thrust23THRUST_200600_302600_NS17counting_iteratorIiNSB_11use_defaultESD_SD_EEPNS0_10empty_typeENS0_5tupleIJPiSF_EEENSH_IJSI_SG_EEENS0_18inequality_wrapperIN6hipcub16HIPCUB_304000_NS8EqualityEEEPlJSF_EEE10hipError_tPvRmT3_T4_T5_T6_T7_T9_mT8_P12ihipStream_tbDpT10_ENKUlT_T0_E_clISt17integral_constantIbLb0EES19_IbLb1EEEEDaS15_S16_EUlS15_E_NS1_11comp_targetILNS1_3genE0ELNS1_11target_archE4294967295ELNS1_3gpuE0ELNS1_3repE0EEENS1_30default_config_static_selectorELNS0_4arch9wavefront6targetE0EEEvT1_,"axG",@progbits,_ZN7rocprim17ROCPRIM_400000_NS6detail17trampoline_kernelINS0_14default_configENS1_25partition_config_selectorILNS1_17partition_subalgoE9EiibEEZZNS1_14partition_implILS5_9ELb0ES3_jPKiN6thrust23THRUST_200600_302600_NS17counting_iteratorIiNSB_11use_defaultESD_SD_EEPNS0_10empty_typeENS0_5tupleIJPiSF_EEENSH_IJSI_SG_EEENS0_18inequality_wrapperIN6hipcub16HIPCUB_304000_NS8EqualityEEEPlJSF_EEE10hipError_tPvRmT3_T4_T5_T6_T7_T9_mT8_P12ihipStream_tbDpT10_ENKUlT_T0_E_clISt17integral_constantIbLb0EES19_IbLb1EEEEDaS15_S16_EUlS15_E_NS1_11comp_targetILNS1_3genE0ELNS1_11target_archE4294967295ELNS1_3gpuE0ELNS1_3repE0EEENS1_30default_config_static_selectorELNS0_4arch9wavefront6targetE0EEEvT1_,comdat
.Lfunc_end36:
	.size	_ZN7rocprim17ROCPRIM_400000_NS6detail17trampoline_kernelINS0_14default_configENS1_25partition_config_selectorILNS1_17partition_subalgoE9EiibEEZZNS1_14partition_implILS5_9ELb0ES3_jPKiN6thrust23THRUST_200600_302600_NS17counting_iteratorIiNSB_11use_defaultESD_SD_EEPNS0_10empty_typeENS0_5tupleIJPiSF_EEENSH_IJSI_SG_EEENS0_18inequality_wrapperIN6hipcub16HIPCUB_304000_NS8EqualityEEEPlJSF_EEE10hipError_tPvRmT3_T4_T5_T6_T7_T9_mT8_P12ihipStream_tbDpT10_ENKUlT_T0_E_clISt17integral_constantIbLb0EES19_IbLb1EEEEDaS15_S16_EUlS15_E_NS1_11comp_targetILNS1_3genE0ELNS1_11target_archE4294967295ELNS1_3gpuE0ELNS1_3repE0EEENS1_30default_config_static_selectorELNS0_4arch9wavefront6targetE0EEEvT1_, .Lfunc_end36-_ZN7rocprim17ROCPRIM_400000_NS6detail17trampoline_kernelINS0_14default_configENS1_25partition_config_selectorILNS1_17partition_subalgoE9EiibEEZZNS1_14partition_implILS5_9ELb0ES3_jPKiN6thrust23THRUST_200600_302600_NS17counting_iteratorIiNSB_11use_defaultESD_SD_EEPNS0_10empty_typeENS0_5tupleIJPiSF_EEENSH_IJSI_SG_EEENS0_18inequality_wrapperIN6hipcub16HIPCUB_304000_NS8EqualityEEEPlJSF_EEE10hipError_tPvRmT3_T4_T5_T6_T7_T9_mT8_P12ihipStream_tbDpT10_ENKUlT_T0_E_clISt17integral_constantIbLb0EES19_IbLb1EEEEDaS15_S16_EUlS15_E_NS1_11comp_targetILNS1_3genE0ELNS1_11target_archE4294967295ELNS1_3gpuE0ELNS1_3repE0EEENS1_30default_config_static_selectorELNS0_4arch9wavefront6targetE0EEEvT1_
                                        ; -- End function
	.set _ZN7rocprim17ROCPRIM_400000_NS6detail17trampoline_kernelINS0_14default_configENS1_25partition_config_selectorILNS1_17partition_subalgoE9EiibEEZZNS1_14partition_implILS5_9ELb0ES3_jPKiN6thrust23THRUST_200600_302600_NS17counting_iteratorIiNSB_11use_defaultESD_SD_EEPNS0_10empty_typeENS0_5tupleIJPiSF_EEENSH_IJSI_SG_EEENS0_18inequality_wrapperIN6hipcub16HIPCUB_304000_NS8EqualityEEEPlJSF_EEE10hipError_tPvRmT3_T4_T5_T6_T7_T9_mT8_P12ihipStream_tbDpT10_ENKUlT_T0_E_clISt17integral_constantIbLb0EES19_IbLb1EEEEDaS15_S16_EUlS15_E_NS1_11comp_targetILNS1_3genE0ELNS1_11target_archE4294967295ELNS1_3gpuE0ELNS1_3repE0EEENS1_30default_config_static_selectorELNS0_4arch9wavefront6targetE0EEEvT1_.num_vgpr, 0
	.set _ZN7rocprim17ROCPRIM_400000_NS6detail17trampoline_kernelINS0_14default_configENS1_25partition_config_selectorILNS1_17partition_subalgoE9EiibEEZZNS1_14partition_implILS5_9ELb0ES3_jPKiN6thrust23THRUST_200600_302600_NS17counting_iteratorIiNSB_11use_defaultESD_SD_EEPNS0_10empty_typeENS0_5tupleIJPiSF_EEENSH_IJSI_SG_EEENS0_18inequality_wrapperIN6hipcub16HIPCUB_304000_NS8EqualityEEEPlJSF_EEE10hipError_tPvRmT3_T4_T5_T6_T7_T9_mT8_P12ihipStream_tbDpT10_ENKUlT_T0_E_clISt17integral_constantIbLb0EES19_IbLb1EEEEDaS15_S16_EUlS15_E_NS1_11comp_targetILNS1_3genE0ELNS1_11target_archE4294967295ELNS1_3gpuE0ELNS1_3repE0EEENS1_30default_config_static_selectorELNS0_4arch9wavefront6targetE0EEEvT1_.num_agpr, 0
	.set _ZN7rocprim17ROCPRIM_400000_NS6detail17trampoline_kernelINS0_14default_configENS1_25partition_config_selectorILNS1_17partition_subalgoE9EiibEEZZNS1_14partition_implILS5_9ELb0ES3_jPKiN6thrust23THRUST_200600_302600_NS17counting_iteratorIiNSB_11use_defaultESD_SD_EEPNS0_10empty_typeENS0_5tupleIJPiSF_EEENSH_IJSI_SG_EEENS0_18inequality_wrapperIN6hipcub16HIPCUB_304000_NS8EqualityEEEPlJSF_EEE10hipError_tPvRmT3_T4_T5_T6_T7_T9_mT8_P12ihipStream_tbDpT10_ENKUlT_T0_E_clISt17integral_constantIbLb0EES19_IbLb1EEEEDaS15_S16_EUlS15_E_NS1_11comp_targetILNS1_3genE0ELNS1_11target_archE4294967295ELNS1_3gpuE0ELNS1_3repE0EEENS1_30default_config_static_selectorELNS0_4arch9wavefront6targetE0EEEvT1_.numbered_sgpr, 0
	.set _ZN7rocprim17ROCPRIM_400000_NS6detail17trampoline_kernelINS0_14default_configENS1_25partition_config_selectorILNS1_17partition_subalgoE9EiibEEZZNS1_14partition_implILS5_9ELb0ES3_jPKiN6thrust23THRUST_200600_302600_NS17counting_iteratorIiNSB_11use_defaultESD_SD_EEPNS0_10empty_typeENS0_5tupleIJPiSF_EEENSH_IJSI_SG_EEENS0_18inequality_wrapperIN6hipcub16HIPCUB_304000_NS8EqualityEEEPlJSF_EEE10hipError_tPvRmT3_T4_T5_T6_T7_T9_mT8_P12ihipStream_tbDpT10_ENKUlT_T0_E_clISt17integral_constantIbLb0EES19_IbLb1EEEEDaS15_S16_EUlS15_E_NS1_11comp_targetILNS1_3genE0ELNS1_11target_archE4294967295ELNS1_3gpuE0ELNS1_3repE0EEENS1_30default_config_static_selectorELNS0_4arch9wavefront6targetE0EEEvT1_.num_named_barrier, 0
	.set _ZN7rocprim17ROCPRIM_400000_NS6detail17trampoline_kernelINS0_14default_configENS1_25partition_config_selectorILNS1_17partition_subalgoE9EiibEEZZNS1_14partition_implILS5_9ELb0ES3_jPKiN6thrust23THRUST_200600_302600_NS17counting_iteratorIiNSB_11use_defaultESD_SD_EEPNS0_10empty_typeENS0_5tupleIJPiSF_EEENSH_IJSI_SG_EEENS0_18inequality_wrapperIN6hipcub16HIPCUB_304000_NS8EqualityEEEPlJSF_EEE10hipError_tPvRmT3_T4_T5_T6_T7_T9_mT8_P12ihipStream_tbDpT10_ENKUlT_T0_E_clISt17integral_constantIbLb0EES19_IbLb1EEEEDaS15_S16_EUlS15_E_NS1_11comp_targetILNS1_3genE0ELNS1_11target_archE4294967295ELNS1_3gpuE0ELNS1_3repE0EEENS1_30default_config_static_selectorELNS0_4arch9wavefront6targetE0EEEvT1_.private_seg_size, 0
	.set _ZN7rocprim17ROCPRIM_400000_NS6detail17trampoline_kernelINS0_14default_configENS1_25partition_config_selectorILNS1_17partition_subalgoE9EiibEEZZNS1_14partition_implILS5_9ELb0ES3_jPKiN6thrust23THRUST_200600_302600_NS17counting_iteratorIiNSB_11use_defaultESD_SD_EEPNS0_10empty_typeENS0_5tupleIJPiSF_EEENSH_IJSI_SG_EEENS0_18inequality_wrapperIN6hipcub16HIPCUB_304000_NS8EqualityEEEPlJSF_EEE10hipError_tPvRmT3_T4_T5_T6_T7_T9_mT8_P12ihipStream_tbDpT10_ENKUlT_T0_E_clISt17integral_constantIbLb0EES19_IbLb1EEEEDaS15_S16_EUlS15_E_NS1_11comp_targetILNS1_3genE0ELNS1_11target_archE4294967295ELNS1_3gpuE0ELNS1_3repE0EEENS1_30default_config_static_selectorELNS0_4arch9wavefront6targetE0EEEvT1_.uses_vcc, 0
	.set _ZN7rocprim17ROCPRIM_400000_NS6detail17trampoline_kernelINS0_14default_configENS1_25partition_config_selectorILNS1_17partition_subalgoE9EiibEEZZNS1_14partition_implILS5_9ELb0ES3_jPKiN6thrust23THRUST_200600_302600_NS17counting_iteratorIiNSB_11use_defaultESD_SD_EEPNS0_10empty_typeENS0_5tupleIJPiSF_EEENSH_IJSI_SG_EEENS0_18inequality_wrapperIN6hipcub16HIPCUB_304000_NS8EqualityEEEPlJSF_EEE10hipError_tPvRmT3_T4_T5_T6_T7_T9_mT8_P12ihipStream_tbDpT10_ENKUlT_T0_E_clISt17integral_constantIbLb0EES19_IbLb1EEEEDaS15_S16_EUlS15_E_NS1_11comp_targetILNS1_3genE0ELNS1_11target_archE4294967295ELNS1_3gpuE0ELNS1_3repE0EEENS1_30default_config_static_selectorELNS0_4arch9wavefront6targetE0EEEvT1_.uses_flat_scratch, 0
	.set _ZN7rocprim17ROCPRIM_400000_NS6detail17trampoline_kernelINS0_14default_configENS1_25partition_config_selectorILNS1_17partition_subalgoE9EiibEEZZNS1_14partition_implILS5_9ELb0ES3_jPKiN6thrust23THRUST_200600_302600_NS17counting_iteratorIiNSB_11use_defaultESD_SD_EEPNS0_10empty_typeENS0_5tupleIJPiSF_EEENSH_IJSI_SG_EEENS0_18inequality_wrapperIN6hipcub16HIPCUB_304000_NS8EqualityEEEPlJSF_EEE10hipError_tPvRmT3_T4_T5_T6_T7_T9_mT8_P12ihipStream_tbDpT10_ENKUlT_T0_E_clISt17integral_constantIbLb0EES19_IbLb1EEEEDaS15_S16_EUlS15_E_NS1_11comp_targetILNS1_3genE0ELNS1_11target_archE4294967295ELNS1_3gpuE0ELNS1_3repE0EEENS1_30default_config_static_selectorELNS0_4arch9wavefront6targetE0EEEvT1_.has_dyn_sized_stack, 0
	.set _ZN7rocprim17ROCPRIM_400000_NS6detail17trampoline_kernelINS0_14default_configENS1_25partition_config_selectorILNS1_17partition_subalgoE9EiibEEZZNS1_14partition_implILS5_9ELb0ES3_jPKiN6thrust23THRUST_200600_302600_NS17counting_iteratorIiNSB_11use_defaultESD_SD_EEPNS0_10empty_typeENS0_5tupleIJPiSF_EEENSH_IJSI_SG_EEENS0_18inequality_wrapperIN6hipcub16HIPCUB_304000_NS8EqualityEEEPlJSF_EEE10hipError_tPvRmT3_T4_T5_T6_T7_T9_mT8_P12ihipStream_tbDpT10_ENKUlT_T0_E_clISt17integral_constantIbLb0EES19_IbLb1EEEEDaS15_S16_EUlS15_E_NS1_11comp_targetILNS1_3genE0ELNS1_11target_archE4294967295ELNS1_3gpuE0ELNS1_3repE0EEENS1_30default_config_static_selectorELNS0_4arch9wavefront6targetE0EEEvT1_.has_recursion, 0
	.set _ZN7rocprim17ROCPRIM_400000_NS6detail17trampoline_kernelINS0_14default_configENS1_25partition_config_selectorILNS1_17partition_subalgoE9EiibEEZZNS1_14partition_implILS5_9ELb0ES3_jPKiN6thrust23THRUST_200600_302600_NS17counting_iteratorIiNSB_11use_defaultESD_SD_EEPNS0_10empty_typeENS0_5tupleIJPiSF_EEENSH_IJSI_SG_EEENS0_18inequality_wrapperIN6hipcub16HIPCUB_304000_NS8EqualityEEEPlJSF_EEE10hipError_tPvRmT3_T4_T5_T6_T7_T9_mT8_P12ihipStream_tbDpT10_ENKUlT_T0_E_clISt17integral_constantIbLb0EES19_IbLb1EEEEDaS15_S16_EUlS15_E_NS1_11comp_targetILNS1_3genE0ELNS1_11target_archE4294967295ELNS1_3gpuE0ELNS1_3repE0EEENS1_30default_config_static_selectorELNS0_4arch9wavefront6targetE0EEEvT1_.has_indirect_call, 0
	.section	.AMDGPU.csdata,"",@progbits
; Kernel info:
; codeLenInByte = 0
; TotalNumSgprs: 0
; NumVgprs: 0
; ScratchSize: 0
; MemoryBound: 0
; FloatMode: 240
; IeeeMode: 1
; LDSByteSize: 0 bytes/workgroup (compile time only)
; SGPRBlocks: 0
; VGPRBlocks: 0
; NumSGPRsForWavesPerEU: 1
; NumVGPRsForWavesPerEU: 1
; Occupancy: 16
; WaveLimiterHint : 0
; COMPUTE_PGM_RSRC2:SCRATCH_EN: 0
; COMPUTE_PGM_RSRC2:USER_SGPR: 2
; COMPUTE_PGM_RSRC2:TRAP_HANDLER: 0
; COMPUTE_PGM_RSRC2:TGID_X_EN: 1
; COMPUTE_PGM_RSRC2:TGID_Y_EN: 0
; COMPUTE_PGM_RSRC2:TGID_Z_EN: 0
; COMPUTE_PGM_RSRC2:TIDIG_COMP_CNT: 0
	.section	.text._ZN7rocprim17ROCPRIM_400000_NS6detail17trampoline_kernelINS0_14default_configENS1_25partition_config_selectorILNS1_17partition_subalgoE9EiibEEZZNS1_14partition_implILS5_9ELb0ES3_jPKiN6thrust23THRUST_200600_302600_NS17counting_iteratorIiNSB_11use_defaultESD_SD_EEPNS0_10empty_typeENS0_5tupleIJPiSF_EEENSH_IJSI_SG_EEENS0_18inequality_wrapperIN6hipcub16HIPCUB_304000_NS8EqualityEEEPlJSF_EEE10hipError_tPvRmT3_T4_T5_T6_T7_T9_mT8_P12ihipStream_tbDpT10_ENKUlT_T0_E_clISt17integral_constantIbLb0EES19_IbLb1EEEEDaS15_S16_EUlS15_E_NS1_11comp_targetILNS1_3genE5ELNS1_11target_archE942ELNS1_3gpuE9ELNS1_3repE0EEENS1_30default_config_static_selectorELNS0_4arch9wavefront6targetE0EEEvT1_,"axG",@progbits,_ZN7rocprim17ROCPRIM_400000_NS6detail17trampoline_kernelINS0_14default_configENS1_25partition_config_selectorILNS1_17partition_subalgoE9EiibEEZZNS1_14partition_implILS5_9ELb0ES3_jPKiN6thrust23THRUST_200600_302600_NS17counting_iteratorIiNSB_11use_defaultESD_SD_EEPNS0_10empty_typeENS0_5tupleIJPiSF_EEENSH_IJSI_SG_EEENS0_18inequality_wrapperIN6hipcub16HIPCUB_304000_NS8EqualityEEEPlJSF_EEE10hipError_tPvRmT3_T4_T5_T6_T7_T9_mT8_P12ihipStream_tbDpT10_ENKUlT_T0_E_clISt17integral_constantIbLb0EES19_IbLb1EEEEDaS15_S16_EUlS15_E_NS1_11comp_targetILNS1_3genE5ELNS1_11target_archE942ELNS1_3gpuE9ELNS1_3repE0EEENS1_30default_config_static_selectorELNS0_4arch9wavefront6targetE0EEEvT1_,comdat
	.protected	_ZN7rocprim17ROCPRIM_400000_NS6detail17trampoline_kernelINS0_14default_configENS1_25partition_config_selectorILNS1_17partition_subalgoE9EiibEEZZNS1_14partition_implILS5_9ELb0ES3_jPKiN6thrust23THRUST_200600_302600_NS17counting_iteratorIiNSB_11use_defaultESD_SD_EEPNS0_10empty_typeENS0_5tupleIJPiSF_EEENSH_IJSI_SG_EEENS0_18inequality_wrapperIN6hipcub16HIPCUB_304000_NS8EqualityEEEPlJSF_EEE10hipError_tPvRmT3_T4_T5_T6_T7_T9_mT8_P12ihipStream_tbDpT10_ENKUlT_T0_E_clISt17integral_constantIbLb0EES19_IbLb1EEEEDaS15_S16_EUlS15_E_NS1_11comp_targetILNS1_3genE5ELNS1_11target_archE942ELNS1_3gpuE9ELNS1_3repE0EEENS1_30default_config_static_selectorELNS0_4arch9wavefront6targetE0EEEvT1_ ; -- Begin function _ZN7rocprim17ROCPRIM_400000_NS6detail17trampoline_kernelINS0_14default_configENS1_25partition_config_selectorILNS1_17partition_subalgoE9EiibEEZZNS1_14partition_implILS5_9ELb0ES3_jPKiN6thrust23THRUST_200600_302600_NS17counting_iteratorIiNSB_11use_defaultESD_SD_EEPNS0_10empty_typeENS0_5tupleIJPiSF_EEENSH_IJSI_SG_EEENS0_18inequality_wrapperIN6hipcub16HIPCUB_304000_NS8EqualityEEEPlJSF_EEE10hipError_tPvRmT3_T4_T5_T6_T7_T9_mT8_P12ihipStream_tbDpT10_ENKUlT_T0_E_clISt17integral_constantIbLb0EES19_IbLb1EEEEDaS15_S16_EUlS15_E_NS1_11comp_targetILNS1_3genE5ELNS1_11target_archE942ELNS1_3gpuE9ELNS1_3repE0EEENS1_30default_config_static_selectorELNS0_4arch9wavefront6targetE0EEEvT1_
	.globl	_ZN7rocprim17ROCPRIM_400000_NS6detail17trampoline_kernelINS0_14default_configENS1_25partition_config_selectorILNS1_17partition_subalgoE9EiibEEZZNS1_14partition_implILS5_9ELb0ES3_jPKiN6thrust23THRUST_200600_302600_NS17counting_iteratorIiNSB_11use_defaultESD_SD_EEPNS0_10empty_typeENS0_5tupleIJPiSF_EEENSH_IJSI_SG_EEENS0_18inequality_wrapperIN6hipcub16HIPCUB_304000_NS8EqualityEEEPlJSF_EEE10hipError_tPvRmT3_T4_T5_T6_T7_T9_mT8_P12ihipStream_tbDpT10_ENKUlT_T0_E_clISt17integral_constantIbLb0EES19_IbLb1EEEEDaS15_S16_EUlS15_E_NS1_11comp_targetILNS1_3genE5ELNS1_11target_archE942ELNS1_3gpuE9ELNS1_3repE0EEENS1_30default_config_static_selectorELNS0_4arch9wavefront6targetE0EEEvT1_
	.p2align	8
	.type	_ZN7rocprim17ROCPRIM_400000_NS6detail17trampoline_kernelINS0_14default_configENS1_25partition_config_selectorILNS1_17partition_subalgoE9EiibEEZZNS1_14partition_implILS5_9ELb0ES3_jPKiN6thrust23THRUST_200600_302600_NS17counting_iteratorIiNSB_11use_defaultESD_SD_EEPNS0_10empty_typeENS0_5tupleIJPiSF_EEENSH_IJSI_SG_EEENS0_18inequality_wrapperIN6hipcub16HIPCUB_304000_NS8EqualityEEEPlJSF_EEE10hipError_tPvRmT3_T4_T5_T6_T7_T9_mT8_P12ihipStream_tbDpT10_ENKUlT_T0_E_clISt17integral_constantIbLb0EES19_IbLb1EEEEDaS15_S16_EUlS15_E_NS1_11comp_targetILNS1_3genE5ELNS1_11target_archE942ELNS1_3gpuE9ELNS1_3repE0EEENS1_30default_config_static_selectorELNS0_4arch9wavefront6targetE0EEEvT1_,@function
_ZN7rocprim17ROCPRIM_400000_NS6detail17trampoline_kernelINS0_14default_configENS1_25partition_config_selectorILNS1_17partition_subalgoE9EiibEEZZNS1_14partition_implILS5_9ELb0ES3_jPKiN6thrust23THRUST_200600_302600_NS17counting_iteratorIiNSB_11use_defaultESD_SD_EEPNS0_10empty_typeENS0_5tupleIJPiSF_EEENSH_IJSI_SG_EEENS0_18inequality_wrapperIN6hipcub16HIPCUB_304000_NS8EqualityEEEPlJSF_EEE10hipError_tPvRmT3_T4_T5_T6_T7_T9_mT8_P12ihipStream_tbDpT10_ENKUlT_T0_E_clISt17integral_constantIbLb0EES19_IbLb1EEEEDaS15_S16_EUlS15_E_NS1_11comp_targetILNS1_3genE5ELNS1_11target_archE942ELNS1_3gpuE9ELNS1_3repE0EEENS1_30default_config_static_selectorELNS0_4arch9wavefront6targetE0EEEvT1_: ; @_ZN7rocprim17ROCPRIM_400000_NS6detail17trampoline_kernelINS0_14default_configENS1_25partition_config_selectorILNS1_17partition_subalgoE9EiibEEZZNS1_14partition_implILS5_9ELb0ES3_jPKiN6thrust23THRUST_200600_302600_NS17counting_iteratorIiNSB_11use_defaultESD_SD_EEPNS0_10empty_typeENS0_5tupleIJPiSF_EEENSH_IJSI_SG_EEENS0_18inequality_wrapperIN6hipcub16HIPCUB_304000_NS8EqualityEEEPlJSF_EEE10hipError_tPvRmT3_T4_T5_T6_T7_T9_mT8_P12ihipStream_tbDpT10_ENKUlT_T0_E_clISt17integral_constantIbLb0EES19_IbLb1EEEEDaS15_S16_EUlS15_E_NS1_11comp_targetILNS1_3genE5ELNS1_11target_archE942ELNS1_3gpuE9ELNS1_3repE0EEENS1_30default_config_static_selectorELNS0_4arch9wavefront6targetE0EEEvT1_
; %bb.0:
	.section	.rodata,"a",@progbits
	.p2align	6, 0x0
	.amdhsa_kernel _ZN7rocprim17ROCPRIM_400000_NS6detail17trampoline_kernelINS0_14default_configENS1_25partition_config_selectorILNS1_17partition_subalgoE9EiibEEZZNS1_14partition_implILS5_9ELb0ES3_jPKiN6thrust23THRUST_200600_302600_NS17counting_iteratorIiNSB_11use_defaultESD_SD_EEPNS0_10empty_typeENS0_5tupleIJPiSF_EEENSH_IJSI_SG_EEENS0_18inequality_wrapperIN6hipcub16HIPCUB_304000_NS8EqualityEEEPlJSF_EEE10hipError_tPvRmT3_T4_T5_T6_T7_T9_mT8_P12ihipStream_tbDpT10_ENKUlT_T0_E_clISt17integral_constantIbLb0EES19_IbLb1EEEEDaS15_S16_EUlS15_E_NS1_11comp_targetILNS1_3genE5ELNS1_11target_archE942ELNS1_3gpuE9ELNS1_3repE0EEENS1_30default_config_static_selectorELNS0_4arch9wavefront6targetE0EEEvT1_
		.amdhsa_group_segment_fixed_size 0
		.amdhsa_private_segment_fixed_size 0
		.amdhsa_kernarg_size 128
		.amdhsa_user_sgpr_count 2
		.amdhsa_user_sgpr_dispatch_ptr 0
		.amdhsa_user_sgpr_queue_ptr 0
		.amdhsa_user_sgpr_kernarg_segment_ptr 1
		.amdhsa_user_sgpr_dispatch_id 0
		.amdhsa_user_sgpr_private_segment_size 0
		.amdhsa_wavefront_size32 1
		.amdhsa_uses_dynamic_stack 0
		.amdhsa_enable_private_segment 0
		.amdhsa_system_sgpr_workgroup_id_x 1
		.amdhsa_system_sgpr_workgroup_id_y 0
		.amdhsa_system_sgpr_workgroup_id_z 0
		.amdhsa_system_sgpr_workgroup_info 0
		.amdhsa_system_vgpr_workitem_id 0
		.amdhsa_next_free_vgpr 1
		.amdhsa_next_free_sgpr 1
		.amdhsa_reserve_vcc 0
		.amdhsa_float_round_mode_32 0
		.amdhsa_float_round_mode_16_64 0
		.amdhsa_float_denorm_mode_32 3
		.amdhsa_float_denorm_mode_16_64 3
		.amdhsa_fp16_overflow 0
		.amdhsa_workgroup_processor_mode 1
		.amdhsa_memory_ordered 1
		.amdhsa_forward_progress 1
		.amdhsa_inst_pref_size 0
		.amdhsa_round_robin_scheduling 0
		.amdhsa_exception_fp_ieee_invalid_op 0
		.amdhsa_exception_fp_denorm_src 0
		.amdhsa_exception_fp_ieee_div_zero 0
		.amdhsa_exception_fp_ieee_overflow 0
		.amdhsa_exception_fp_ieee_underflow 0
		.amdhsa_exception_fp_ieee_inexact 0
		.amdhsa_exception_int_div_zero 0
	.end_amdhsa_kernel
	.section	.text._ZN7rocprim17ROCPRIM_400000_NS6detail17trampoline_kernelINS0_14default_configENS1_25partition_config_selectorILNS1_17partition_subalgoE9EiibEEZZNS1_14partition_implILS5_9ELb0ES3_jPKiN6thrust23THRUST_200600_302600_NS17counting_iteratorIiNSB_11use_defaultESD_SD_EEPNS0_10empty_typeENS0_5tupleIJPiSF_EEENSH_IJSI_SG_EEENS0_18inequality_wrapperIN6hipcub16HIPCUB_304000_NS8EqualityEEEPlJSF_EEE10hipError_tPvRmT3_T4_T5_T6_T7_T9_mT8_P12ihipStream_tbDpT10_ENKUlT_T0_E_clISt17integral_constantIbLb0EES19_IbLb1EEEEDaS15_S16_EUlS15_E_NS1_11comp_targetILNS1_3genE5ELNS1_11target_archE942ELNS1_3gpuE9ELNS1_3repE0EEENS1_30default_config_static_selectorELNS0_4arch9wavefront6targetE0EEEvT1_,"axG",@progbits,_ZN7rocprim17ROCPRIM_400000_NS6detail17trampoline_kernelINS0_14default_configENS1_25partition_config_selectorILNS1_17partition_subalgoE9EiibEEZZNS1_14partition_implILS5_9ELb0ES3_jPKiN6thrust23THRUST_200600_302600_NS17counting_iteratorIiNSB_11use_defaultESD_SD_EEPNS0_10empty_typeENS0_5tupleIJPiSF_EEENSH_IJSI_SG_EEENS0_18inequality_wrapperIN6hipcub16HIPCUB_304000_NS8EqualityEEEPlJSF_EEE10hipError_tPvRmT3_T4_T5_T6_T7_T9_mT8_P12ihipStream_tbDpT10_ENKUlT_T0_E_clISt17integral_constantIbLb0EES19_IbLb1EEEEDaS15_S16_EUlS15_E_NS1_11comp_targetILNS1_3genE5ELNS1_11target_archE942ELNS1_3gpuE9ELNS1_3repE0EEENS1_30default_config_static_selectorELNS0_4arch9wavefront6targetE0EEEvT1_,comdat
.Lfunc_end37:
	.size	_ZN7rocprim17ROCPRIM_400000_NS6detail17trampoline_kernelINS0_14default_configENS1_25partition_config_selectorILNS1_17partition_subalgoE9EiibEEZZNS1_14partition_implILS5_9ELb0ES3_jPKiN6thrust23THRUST_200600_302600_NS17counting_iteratorIiNSB_11use_defaultESD_SD_EEPNS0_10empty_typeENS0_5tupleIJPiSF_EEENSH_IJSI_SG_EEENS0_18inequality_wrapperIN6hipcub16HIPCUB_304000_NS8EqualityEEEPlJSF_EEE10hipError_tPvRmT3_T4_T5_T6_T7_T9_mT8_P12ihipStream_tbDpT10_ENKUlT_T0_E_clISt17integral_constantIbLb0EES19_IbLb1EEEEDaS15_S16_EUlS15_E_NS1_11comp_targetILNS1_3genE5ELNS1_11target_archE942ELNS1_3gpuE9ELNS1_3repE0EEENS1_30default_config_static_selectorELNS0_4arch9wavefront6targetE0EEEvT1_, .Lfunc_end37-_ZN7rocprim17ROCPRIM_400000_NS6detail17trampoline_kernelINS0_14default_configENS1_25partition_config_selectorILNS1_17partition_subalgoE9EiibEEZZNS1_14partition_implILS5_9ELb0ES3_jPKiN6thrust23THRUST_200600_302600_NS17counting_iteratorIiNSB_11use_defaultESD_SD_EEPNS0_10empty_typeENS0_5tupleIJPiSF_EEENSH_IJSI_SG_EEENS0_18inequality_wrapperIN6hipcub16HIPCUB_304000_NS8EqualityEEEPlJSF_EEE10hipError_tPvRmT3_T4_T5_T6_T7_T9_mT8_P12ihipStream_tbDpT10_ENKUlT_T0_E_clISt17integral_constantIbLb0EES19_IbLb1EEEEDaS15_S16_EUlS15_E_NS1_11comp_targetILNS1_3genE5ELNS1_11target_archE942ELNS1_3gpuE9ELNS1_3repE0EEENS1_30default_config_static_selectorELNS0_4arch9wavefront6targetE0EEEvT1_
                                        ; -- End function
	.set _ZN7rocprim17ROCPRIM_400000_NS6detail17trampoline_kernelINS0_14default_configENS1_25partition_config_selectorILNS1_17partition_subalgoE9EiibEEZZNS1_14partition_implILS5_9ELb0ES3_jPKiN6thrust23THRUST_200600_302600_NS17counting_iteratorIiNSB_11use_defaultESD_SD_EEPNS0_10empty_typeENS0_5tupleIJPiSF_EEENSH_IJSI_SG_EEENS0_18inequality_wrapperIN6hipcub16HIPCUB_304000_NS8EqualityEEEPlJSF_EEE10hipError_tPvRmT3_T4_T5_T6_T7_T9_mT8_P12ihipStream_tbDpT10_ENKUlT_T0_E_clISt17integral_constantIbLb0EES19_IbLb1EEEEDaS15_S16_EUlS15_E_NS1_11comp_targetILNS1_3genE5ELNS1_11target_archE942ELNS1_3gpuE9ELNS1_3repE0EEENS1_30default_config_static_selectorELNS0_4arch9wavefront6targetE0EEEvT1_.num_vgpr, 0
	.set _ZN7rocprim17ROCPRIM_400000_NS6detail17trampoline_kernelINS0_14default_configENS1_25partition_config_selectorILNS1_17partition_subalgoE9EiibEEZZNS1_14partition_implILS5_9ELb0ES3_jPKiN6thrust23THRUST_200600_302600_NS17counting_iteratorIiNSB_11use_defaultESD_SD_EEPNS0_10empty_typeENS0_5tupleIJPiSF_EEENSH_IJSI_SG_EEENS0_18inequality_wrapperIN6hipcub16HIPCUB_304000_NS8EqualityEEEPlJSF_EEE10hipError_tPvRmT3_T4_T5_T6_T7_T9_mT8_P12ihipStream_tbDpT10_ENKUlT_T0_E_clISt17integral_constantIbLb0EES19_IbLb1EEEEDaS15_S16_EUlS15_E_NS1_11comp_targetILNS1_3genE5ELNS1_11target_archE942ELNS1_3gpuE9ELNS1_3repE0EEENS1_30default_config_static_selectorELNS0_4arch9wavefront6targetE0EEEvT1_.num_agpr, 0
	.set _ZN7rocprim17ROCPRIM_400000_NS6detail17trampoline_kernelINS0_14default_configENS1_25partition_config_selectorILNS1_17partition_subalgoE9EiibEEZZNS1_14partition_implILS5_9ELb0ES3_jPKiN6thrust23THRUST_200600_302600_NS17counting_iteratorIiNSB_11use_defaultESD_SD_EEPNS0_10empty_typeENS0_5tupleIJPiSF_EEENSH_IJSI_SG_EEENS0_18inequality_wrapperIN6hipcub16HIPCUB_304000_NS8EqualityEEEPlJSF_EEE10hipError_tPvRmT3_T4_T5_T6_T7_T9_mT8_P12ihipStream_tbDpT10_ENKUlT_T0_E_clISt17integral_constantIbLb0EES19_IbLb1EEEEDaS15_S16_EUlS15_E_NS1_11comp_targetILNS1_3genE5ELNS1_11target_archE942ELNS1_3gpuE9ELNS1_3repE0EEENS1_30default_config_static_selectorELNS0_4arch9wavefront6targetE0EEEvT1_.numbered_sgpr, 0
	.set _ZN7rocprim17ROCPRIM_400000_NS6detail17trampoline_kernelINS0_14default_configENS1_25partition_config_selectorILNS1_17partition_subalgoE9EiibEEZZNS1_14partition_implILS5_9ELb0ES3_jPKiN6thrust23THRUST_200600_302600_NS17counting_iteratorIiNSB_11use_defaultESD_SD_EEPNS0_10empty_typeENS0_5tupleIJPiSF_EEENSH_IJSI_SG_EEENS0_18inequality_wrapperIN6hipcub16HIPCUB_304000_NS8EqualityEEEPlJSF_EEE10hipError_tPvRmT3_T4_T5_T6_T7_T9_mT8_P12ihipStream_tbDpT10_ENKUlT_T0_E_clISt17integral_constantIbLb0EES19_IbLb1EEEEDaS15_S16_EUlS15_E_NS1_11comp_targetILNS1_3genE5ELNS1_11target_archE942ELNS1_3gpuE9ELNS1_3repE0EEENS1_30default_config_static_selectorELNS0_4arch9wavefront6targetE0EEEvT1_.num_named_barrier, 0
	.set _ZN7rocprim17ROCPRIM_400000_NS6detail17trampoline_kernelINS0_14default_configENS1_25partition_config_selectorILNS1_17partition_subalgoE9EiibEEZZNS1_14partition_implILS5_9ELb0ES3_jPKiN6thrust23THRUST_200600_302600_NS17counting_iteratorIiNSB_11use_defaultESD_SD_EEPNS0_10empty_typeENS0_5tupleIJPiSF_EEENSH_IJSI_SG_EEENS0_18inequality_wrapperIN6hipcub16HIPCUB_304000_NS8EqualityEEEPlJSF_EEE10hipError_tPvRmT3_T4_T5_T6_T7_T9_mT8_P12ihipStream_tbDpT10_ENKUlT_T0_E_clISt17integral_constantIbLb0EES19_IbLb1EEEEDaS15_S16_EUlS15_E_NS1_11comp_targetILNS1_3genE5ELNS1_11target_archE942ELNS1_3gpuE9ELNS1_3repE0EEENS1_30default_config_static_selectorELNS0_4arch9wavefront6targetE0EEEvT1_.private_seg_size, 0
	.set _ZN7rocprim17ROCPRIM_400000_NS6detail17trampoline_kernelINS0_14default_configENS1_25partition_config_selectorILNS1_17partition_subalgoE9EiibEEZZNS1_14partition_implILS5_9ELb0ES3_jPKiN6thrust23THRUST_200600_302600_NS17counting_iteratorIiNSB_11use_defaultESD_SD_EEPNS0_10empty_typeENS0_5tupleIJPiSF_EEENSH_IJSI_SG_EEENS0_18inequality_wrapperIN6hipcub16HIPCUB_304000_NS8EqualityEEEPlJSF_EEE10hipError_tPvRmT3_T4_T5_T6_T7_T9_mT8_P12ihipStream_tbDpT10_ENKUlT_T0_E_clISt17integral_constantIbLb0EES19_IbLb1EEEEDaS15_S16_EUlS15_E_NS1_11comp_targetILNS1_3genE5ELNS1_11target_archE942ELNS1_3gpuE9ELNS1_3repE0EEENS1_30default_config_static_selectorELNS0_4arch9wavefront6targetE0EEEvT1_.uses_vcc, 0
	.set _ZN7rocprim17ROCPRIM_400000_NS6detail17trampoline_kernelINS0_14default_configENS1_25partition_config_selectorILNS1_17partition_subalgoE9EiibEEZZNS1_14partition_implILS5_9ELb0ES3_jPKiN6thrust23THRUST_200600_302600_NS17counting_iteratorIiNSB_11use_defaultESD_SD_EEPNS0_10empty_typeENS0_5tupleIJPiSF_EEENSH_IJSI_SG_EEENS0_18inequality_wrapperIN6hipcub16HIPCUB_304000_NS8EqualityEEEPlJSF_EEE10hipError_tPvRmT3_T4_T5_T6_T7_T9_mT8_P12ihipStream_tbDpT10_ENKUlT_T0_E_clISt17integral_constantIbLb0EES19_IbLb1EEEEDaS15_S16_EUlS15_E_NS1_11comp_targetILNS1_3genE5ELNS1_11target_archE942ELNS1_3gpuE9ELNS1_3repE0EEENS1_30default_config_static_selectorELNS0_4arch9wavefront6targetE0EEEvT1_.uses_flat_scratch, 0
	.set _ZN7rocprim17ROCPRIM_400000_NS6detail17trampoline_kernelINS0_14default_configENS1_25partition_config_selectorILNS1_17partition_subalgoE9EiibEEZZNS1_14partition_implILS5_9ELb0ES3_jPKiN6thrust23THRUST_200600_302600_NS17counting_iteratorIiNSB_11use_defaultESD_SD_EEPNS0_10empty_typeENS0_5tupleIJPiSF_EEENSH_IJSI_SG_EEENS0_18inequality_wrapperIN6hipcub16HIPCUB_304000_NS8EqualityEEEPlJSF_EEE10hipError_tPvRmT3_T4_T5_T6_T7_T9_mT8_P12ihipStream_tbDpT10_ENKUlT_T0_E_clISt17integral_constantIbLb0EES19_IbLb1EEEEDaS15_S16_EUlS15_E_NS1_11comp_targetILNS1_3genE5ELNS1_11target_archE942ELNS1_3gpuE9ELNS1_3repE0EEENS1_30default_config_static_selectorELNS0_4arch9wavefront6targetE0EEEvT1_.has_dyn_sized_stack, 0
	.set _ZN7rocprim17ROCPRIM_400000_NS6detail17trampoline_kernelINS0_14default_configENS1_25partition_config_selectorILNS1_17partition_subalgoE9EiibEEZZNS1_14partition_implILS5_9ELb0ES3_jPKiN6thrust23THRUST_200600_302600_NS17counting_iteratorIiNSB_11use_defaultESD_SD_EEPNS0_10empty_typeENS0_5tupleIJPiSF_EEENSH_IJSI_SG_EEENS0_18inequality_wrapperIN6hipcub16HIPCUB_304000_NS8EqualityEEEPlJSF_EEE10hipError_tPvRmT3_T4_T5_T6_T7_T9_mT8_P12ihipStream_tbDpT10_ENKUlT_T0_E_clISt17integral_constantIbLb0EES19_IbLb1EEEEDaS15_S16_EUlS15_E_NS1_11comp_targetILNS1_3genE5ELNS1_11target_archE942ELNS1_3gpuE9ELNS1_3repE0EEENS1_30default_config_static_selectorELNS0_4arch9wavefront6targetE0EEEvT1_.has_recursion, 0
	.set _ZN7rocprim17ROCPRIM_400000_NS6detail17trampoline_kernelINS0_14default_configENS1_25partition_config_selectorILNS1_17partition_subalgoE9EiibEEZZNS1_14partition_implILS5_9ELb0ES3_jPKiN6thrust23THRUST_200600_302600_NS17counting_iteratorIiNSB_11use_defaultESD_SD_EEPNS0_10empty_typeENS0_5tupleIJPiSF_EEENSH_IJSI_SG_EEENS0_18inequality_wrapperIN6hipcub16HIPCUB_304000_NS8EqualityEEEPlJSF_EEE10hipError_tPvRmT3_T4_T5_T6_T7_T9_mT8_P12ihipStream_tbDpT10_ENKUlT_T0_E_clISt17integral_constantIbLb0EES19_IbLb1EEEEDaS15_S16_EUlS15_E_NS1_11comp_targetILNS1_3genE5ELNS1_11target_archE942ELNS1_3gpuE9ELNS1_3repE0EEENS1_30default_config_static_selectorELNS0_4arch9wavefront6targetE0EEEvT1_.has_indirect_call, 0
	.section	.AMDGPU.csdata,"",@progbits
; Kernel info:
; codeLenInByte = 0
; TotalNumSgprs: 0
; NumVgprs: 0
; ScratchSize: 0
; MemoryBound: 0
; FloatMode: 240
; IeeeMode: 1
; LDSByteSize: 0 bytes/workgroup (compile time only)
; SGPRBlocks: 0
; VGPRBlocks: 0
; NumSGPRsForWavesPerEU: 1
; NumVGPRsForWavesPerEU: 1
; Occupancy: 16
; WaveLimiterHint : 0
; COMPUTE_PGM_RSRC2:SCRATCH_EN: 0
; COMPUTE_PGM_RSRC2:USER_SGPR: 2
; COMPUTE_PGM_RSRC2:TRAP_HANDLER: 0
; COMPUTE_PGM_RSRC2:TGID_X_EN: 1
; COMPUTE_PGM_RSRC2:TGID_Y_EN: 0
; COMPUTE_PGM_RSRC2:TGID_Z_EN: 0
; COMPUTE_PGM_RSRC2:TIDIG_COMP_CNT: 0
	.section	.text._ZN7rocprim17ROCPRIM_400000_NS6detail17trampoline_kernelINS0_14default_configENS1_25partition_config_selectorILNS1_17partition_subalgoE9EiibEEZZNS1_14partition_implILS5_9ELb0ES3_jPKiN6thrust23THRUST_200600_302600_NS17counting_iteratorIiNSB_11use_defaultESD_SD_EEPNS0_10empty_typeENS0_5tupleIJPiSF_EEENSH_IJSI_SG_EEENS0_18inequality_wrapperIN6hipcub16HIPCUB_304000_NS8EqualityEEEPlJSF_EEE10hipError_tPvRmT3_T4_T5_T6_T7_T9_mT8_P12ihipStream_tbDpT10_ENKUlT_T0_E_clISt17integral_constantIbLb0EES19_IbLb1EEEEDaS15_S16_EUlS15_E_NS1_11comp_targetILNS1_3genE4ELNS1_11target_archE910ELNS1_3gpuE8ELNS1_3repE0EEENS1_30default_config_static_selectorELNS0_4arch9wavefront6targetE0EEEvT1_,"axG",@progbits,_ZN7rocprim17ROCPRIM_400000_NS6detail17trampoline_kernelINS0_14default_configENS1_25partition_config_selectorILNS1_17partition_subalgoE9EiibEEZZNS1_14partition_implILS5_9ELb0ES3_jPKiN6thrust23THRUST_200600_302600_NS17counting_iteratorIiNSB_11use_defaultESD_SD_EEPNS0_10empty_typeENS0_5tupleIJPiSF_EEENSH_IJSI_SG_EEENS0_18inequality_wrapperIN6hipcub16HIPCUB_304000_NS8EqualityEEEPlJSF_EEE10hipError_tPvRmT3_T4_T5_T6_T7_T9_mT8_P12ihipStream_tbDpT10_ENKUlT_T0_E_clISt17integral_constantIbLb0EES19_IbLb1EEEEDaS15_S16_EUlS15_E_NS1_11comp_targetILNS1_3genE4ELNS1_11target_archE910ELNS1_3gpuE8ELNS1_3repE0EEENS1_30default_config_static_selectorELNS0_4arch9wavefront6targetE0EEEvT1_,comdat
	.protected	_ZN7rocprim17ROCPRIM_400000_NS6detail17trampoline_kernelINS0_14default_configENS1_25partition_config_selectorILNS1_17partition_subalgoE9EiibEEZZNS1_14partition_implILS5_9ELb0ES3_jPKiN6thrust23THRUST_200600_302600_NS17counting_iteratorIiNSB_11use_defaultESD_SD_EEPNS0_10empty_typeENS0_5tupleIJPiSF_EEENSH_IJSI_SG_EEENS0_18inequality_wrapperIN6hipcub16HIPCUB_304000_NS8EqualityEEEPlJSF_EEE10hipError_tPvRmT3_T4_T5_T6_T7_T9_mT8_P12ihipStream_tbDpT10_ENKUlT_T0_E_clISt17integral_constantIbLb0EES19_IbLb1EEEEDaS15_S16_EUlS15_E_NS1_11comp_targetILNS1_3genE4ELNS1_11target_archE910ELNS1_3gpuE8ELNS1_3repE0EEENS1_30default_config_static_selectorELNS0_4arch9wavefront6targetE0EEEvT1_ ; -- Begin function _ZN7rocprim17ROCPRIM_400000_NS6detail17trampoline_kernelINS0_14default_configENS1_25partition_config_selectorILNS1_17partition_subalgoE9EiibEEZZNS1_14partition_implILS5_9ELb0ES3_jPKiN6thrust23THRUST_200600_302600_NS17counting_iteratorIiNSB_11use_defaultESD_SD_EEPNS0_10empty_typeENS0_5tupleIJPiSF_EEENSH_IJSI_SG_EEENS0_18inequality_wrapperIN6hipcub16HIPCUB_304000_NS8EqualityEEEPlJSF_EEE10hipError_tPvRmT3_T4_T5_T6_T7_T9_mT8_P12ihipStream_tbDpT10_ENKUlT_T0_E_clISt17integral_constantIbLb0EES19_IbLb1EEEEDaS15_S16_EUlS15_E_NS1_11comp_targetILNS1_3genE4ELNS1_11target_archE910ELNS1_3gpuE8ELNS1_3repE0EEENS1_30default_config_static_selectorELNS0_4arch9wavefront6targetE0EEEvT1_
	.globl	_ZN7rocprim17ROCPRIM_400000_NS6detail17trampoline_kernelINS0_14default_configENS1_25partition_config_selectorILNS1_17partition_subalgoE9EiibEEZZNS1_14partition_implILS5_9ELb0ES3_jPKiN6thrust23THRUST_200600_302600_NS17counting_iteratorIiNSB_11use_defaultESD_SD_EEPNS0_10empty_typeENS0_5tupleIJPiSF_EEENSH_IJSI_SG_EEENS0_18inequality_wrapperIN6hipcub16HIPCUB_304000_NS8EqualityEEEPlJSF_EEE10hipError_tPvRmT3_T4_T5_T6_T7_T9_mT8_P12ihipStream_tbDpT10_ENKUlT_T0_E_clISt17integral_constantIbLb0EES19_IbLb1EEEEDaS15_S16_EUlS15_E_NS1_11comp_targetILNS1_3genE4ELNS1_11target_archE910ELNS1_3gpuE8ELNS1_3repE0EEENS1_30default_config_static_selectorELNS0_4arch9wavefront6targetE0EEEvT1_
	.p2align	8
	.type	_ZN7rocprim17ROCPRIM_400000_NS6detail17trampoline_kernelINS0_14default_configENS1_25partition_config_selectorILNS1_17partition_subalgoE9EiibEEZZNS1_14partition_implILS5_9ELb0ES3_jPKiN6thrust23THRUST_200600_302600_NS17counting_iteratorIiNSB_11use_defaultESD_SD_EEPNS0_10empty_typeENS0_5tupleIJPiSF_EEENSH_IJSI_SG_EEENS0_18inequality_wrapperIN6hipcub16HIPCUB_304000_NS8EqualityEEEPlJSF_EEE10hipError_tPvRmT3_T4_T5_T6_T7_T9_mT8_P12ihipStream_tbDpT10_ENKUlT_T0_E_clISt17integral_constantIbLb0EES19_IbLb1EEEEDaS15_S16_EUlS15_E_NS1_11comp_targetILNS1_3genE4ELNS1_11target_archE910ELNS1_3gpuE8ELNS1_3repE0EEENS1_30default_config_static_selectorELNS0_4arch9wavefront6targetE0EEEvT1_,@function
_ZN7rocprim17ROCPRIM_400000_NS6detail17trampoline_kernelINS0_14default_configENS1_25partition_config_selectorILNS1_17partition_subalgoE9EiibEEZZNS1_14partition_implILS5_9ELb0ES3_jPKiN6thrust23THRUST_200600_302600_NS17counting_iteratorIiNSB_11use_defaultESD_SD_EEPNS0_10empty_typeENS0_5tupleIJPiSF_EEENSH_IJSI_SG_EEENS0_18inequality_wrapperIN6hipcub16HIPCUB_304000_NS8EqualityEEEPlJSF_EEE10hipError_tPvRmT3_T4_T5_T6_T7_T9_mT8_P12ihipStream_tbDpT10_ENKUlT_T0_E_clISt17integral_constantIbLb0EES19_IbLb1EEEEDaS15_S16_EUlS15_E_NS1_11comp_targetILNS1_3genE4ELNS1_11target_archE910ELNS1_3gpuE8ELNS1_3repE0EEENS1_30default_config_static_selectorELNS0_4arch9wavefront6targetE0EEEvT1_: ; @_ZN7rocprim17ROCPRIM_400000_NS6detail17trampoline_kernelINS0_14default_configENS1_25partition_config_selectorILNS1_17partition_subalgoE9EiibEEZZNS1_14partition_implILS5_9ELb0ES3_jPKiN6thrust23THRUST_200600_302600_NS17counting_iteratorIiNSB_11use_defaultESD_SD_EEPNS0_10empty_typeENS0_5tupleIJPiSF_EEENSH_IJSI_SG_EEENS0_18inequality_wrapperIN6hipcub16HIPCUB_304000_NS8EqualityEEEPlJSF_EEE10hipError_tPvRmT3_T4_T5_T6_T7_T9_mT8_P12ihipStream_tbDpT10_ENKUlT_T0_E_clISt17integral_constantIbLb0EES19_IbLb1EEEEDaS15_S16_EUlS15_E_NS1_11comp_targetILNS1_3genE4ELNS1_11target_archE910ELNS1_3gpuE8ELNS1_3repE0EEENS1_30default_config_static_selectorELNS0_4arch9wavefront6targetE0EEEvT1_
; %bb.0:
	.section	.rodata,"a",@progbits
	.p2align	6, 0x0
	.amdhsa_kernel _ZN7rocprim17ROCPRIM_400000_NS6detail17trampoline_kernelINS0_14default_configENS1_25partition_config_selectorILNS1_17partition_subalgoE9EiibEEZZNS1_14partition_implILS5_9ELb0ES3_jPKiN6thrust23THRUST_200600_302600_NS17counting_iteratorIiNSB_11use_defaultESD_SD_EEPNS0_10empty_typeENS0_5tupleIJPiSF_EEENSH_IJSI_SG_EEENS0_18inequality_wrapperIN6hipcub16HIPCUB_304000_NS8EqualityEEEPlJSF_EEE10hipError_tPvRmT3_T4_T5_T6_T7_T9_mT8_P12ihipStream_tbDpT10_ENKUlT_T0_E_clISt17integral_constantIbLb0EES19_IbLb1EEEEDaS15_S16_EUlS15_E_NS1_11comp_targetILNS1_3genE4ELNS1_11target_archE910ELNS1_3gpuE8ELNS1_3repE0EEENS1_30default_config_static_selectorELNS0_4arch9wavefront6targetE0EEEvT1_
		.amdhsa_group_segment_fixed_size 0
		.amdhsa_private_segment_fixed_size 0
		.amdhsa_kernarg_size 128
		.amdhsa_user_sgpr_count 2
		.amdhsa_user_sgpr_dispatch_ptr 0
		.amdhsa_user_sgpr_queue_ptr 0
		.amdhsa_user_sgpr_kernarg_segment_ptr 1
		.amdhsa_user_sgpr_dispatch_id 0
		.amdhsa_user_sgpr_private_segment_size 0
		.amdhsa_wavefront_size32 1
		.amdhsa_uses_dynamic_stack 0
		.amdhsa_enable_private_segment 0
		.amdhsa_system_sgpr_workgroup_id_x 1
		.amdhsa_system_sgpr_workgroup_id_y 0
		.amdhsa_system_sgpr_workgroup_id_z 0
		.amdhsa_system_sgpr_workgroup_info 0
		.amdhsa_system_vgpr_workitem_id 0
		.amdhsa_next_free_vgpr 1
		.amdhsa_next_free_sgpr 1
		.amdhsa_reserve_vcc 0
		.amdhsa_float_round_mode_32 0
		.amdhsa_float_round_mode_16_64 0
		.amdhsa_float_denorm_mode_32 3
		.amdhsa_float_denorm_mode_16_64 3
		.amdhsa_fp16_overflow 0
		.amdhsa_workgroup_processor_mode 1
		.amdhsa_memory_ordered 1
		.amdhsa_forward_progress 1
		.amdhsa_inst_pref_size 0
		.amdhsa_round_robin_scheduling 0
		.amdhsa_exception_fp_ieee_invalid_op 0
		.amdhsa_exception_fp_denorm_src 0
		.amdhsa_exception_fp_ieee_div_zero 0
		.amdhsa_exception_fp_ieee_overflow 0
		.amdhsa_exception_fp_ieee_underflow 0
		.amdhsa_exception_fp_ieee_inexact 0
		.amdhsa_exception_int_div_zero 0
	.end_amdhsa_kernel
	.section	.text._ZN7rocprim17ROCPRIM_400000_NS6detail17trampoline_kernelINS0_14default_configENS1_25partition_config_selectorILNS1_17partition_subalgoE9EiibEEZZNS1_14partition_implILS5_9ELb0ES3_jPKiN6thrust23THRUST_200600_302600_NS17counting_iteratorIiNSB_11use_defaultESD_SD_EEPNS0_10empty_typeENS0_5tupleIJPiSF_EEENSH_IJSI_SG_EEENS0_18inequality_wrapperIN6hipcub16HIPCUB_304000_NS8EqualityEEEPlJSF_EEE10hipError_tPvRmT3_T4_T5_T6_T7_T9_mT8_P12ihipStream_tbDpT10_ENKUlT_T0_E_clISt17integral_constantIbLb0EES19_IbLb1EEEEDaS15_S16_EUlS15_E_NS1_11comp_targetILNS1_3genE4ELNS1_11target_archE910ELNS1_3gpuE8ELNS1_3repE0EEENS1_30default_config_static_selectorELNS0_4arch9wavefront6targetE0EEEvT1_,"axG",@progbits,_ZN7rocprim17ROCPRIM_400000_NS6detail17trampoline_kernelINS0_14default_configENS1_25partition_config_selectorILNS1_17partition_subalgoE9EiibEEZZNS1_14partition_implILS5_9ELb0ES3_jPKiN6thrust23THRUST_200600_302600_NS17counting_iteratorIiNSB_11use_defaultESD_SD_EEPNS0_10empty_typeENS0_5tupleIJPiSF_EEENSH_IJSI_SG_EEENS0_18inequality_wrapperIN6hipcub16HIPCUB_304000_NS8EqualityEEEPlJSF_EEE10hipError_tPvRmT3_T4_T5_T6_T7_T9_mT8_P12ihipStream_tbDpT10_ENKUlT_T0_E_clISt17integral_constantIbLb0EES19_IbLb1EEEEDaS15_S16_EUlS15_E_NS1_11comp_targetILNS1_3genE4ELNS1_11target_archE910ELNS1_3gpuE8ELNS1_3repE0EEENS1_30default_config_static_selectorELNS0_4arch9wavefront6targetE0EEEvT1_,comdat
.Lfunc_end38:
	.size	_ZN7rocprim17ROCPRIM_400000_NS6detail17trampoline_kernelINS0_14default_configENS1_25partition_config_selectorILNS1_17partition_subalgoE9EiibEEZZNS1_14partition_implILS5_9ELb0ES3_jPKiN6thrust23THRUST_200600_302600_NS17counting_iteratorIiNSB_11use_defaultESD_SD_EEPNS0_10empty_typeENS0_5tupleIJPiSF_EEENSH_IJSI_SG_EEENS0_18inequality_wrapperIN6hipcub16HIPCUB_304000_NS8EqualityEEEPlJSF_EEE10hipError_tPvRmT3_T4_T5_T6_T7_T9_mT8_P12ihipStream_tbDpT10_ENKUlT_T0_E_clISt17integral_constantIbLb0EES19_IbLb1EEEEDaS15_S16_EUlS15_E_NS1_11comp_targetILNS1_3genE4ELNS1_11target_archE910ELNS1_3gpuE8ELNS1_3repE0EEENS1_30default_config_static_selectorELNS0_4arch9wavefront6targetE0EEEvT1_, .Lfunc_end38-_ZN7rocprim17ROCPRIM_400000_NS6detail17trampoline_kernelINS0_14default_configENS1_25partition_config_selectorILNS1_17partition_subalgoE9EiibEEZZNS1_14partition_implILS5_9ELb0ES3_jPKiN6thrust23THRUST_200600_302600_NS17counting_iteratorIiNSB_11use_defaultESD_SD_EEPNS0_10empty_typeENS0_5tupleIJPiSF_EEENSH_IJSI_SG_EEENS0_18inequality_wrapperIN6hipcub16HIPCUB_304000_NS8EqualityEEEPlJSF_EEE10hipError_tPvRmT3_T4_T5_T6_T7_T9_mT8_P12ihipStream_tbDpT10_ENKUlT_T0_E_clISt17integral_constantIbLb0EES19_IbLb1EEEEDaS15_S16_EUlS15_E_NS1_11comp_targetILNS1_3genE4ELNS1_11target_archE910ELNS1_3gpuE8ELNS1_3repE0EEENS1_30default_config_static_selectorELNS0_4arch9wavefront6targetE0EEEvT1_
                                        ; -- End function
	.set _ZN7rocprim17ROCPRIM_400000_NS6detail17trampoline_kernelINS0_14default_configENS1_25partition_config_selectorILNS1_17partition_subalgoE9EiibEEZZNS1_14partition_implILS5_9ELb0ES3_jPKiN6thrust23THRUST_200600_302600_NS17counting_iteratorIiNSB_11use_defaultESD_SD_EEPNS0_10empty_typeENS0_5tupleIJPiSF_EEENSH_IJSI_SG_EEENS0_18inequality_wrapperIN6hipcub16HIPCUB_304000_NS8EqualityEEEPlJSF_EEE10hipError_tPvRmT3_T4_T5_T6_T7_T9_mT8_P12ihipStream_tbDpT10_ENKUlT_T0_E_clISt17integral_constantIbLb0EES19_IbLb1EEEEDaS15_S16_EUlS15_E_NS1_11comp_targetILNS1_3genE4ELNS1_11target_archE910ELNS1_3gpuE8ELNS1_3repE0EEENS1_30default_config_static_selectorELNS0_4arch9wavefront6targetE0EEEvT1_.num_vgpr, 0
	.set _ZN7rocprim17ROCPRIM_400000_NS6detail17trampoline_kernelINS0_14default_configENS1_25partition_config_selectorILNS1_17partition_subalgoE9EiibEEZZNS1_14partition_implILS5_9ELb0ES3_jPKiN6thrust23THRUST_200600_302600_NS17counting_iteratorIiNSB_11use_defaultESD_SD_EEPNS0_10empty_typeENS0_5tupleIJPiSF_EEENSH_IJSI_SG_EEENS0_18inequality_wrapperIN6hipcub16HIPCUB_304000_NS8EqualityEEEPlJSF_EEE10hipError_tPvRmT3_T4_T5_T6_T7_T9_mT8_P12ihipStream_tbDpT10_ENKUlT_T0_E_clISt17integral_constantIbLb0EES19_IbLb1EEEEDaS15_S16_EUlS15_E_NS1_11comp_targetILNS1_3genE4ELNS1_11target_archE910ELNS1_3gpuE8ELNS1_3repE0EEENS1_30default_config_static_selectorELNS0_4arch9wavefront6targetE0EEEvT1_.num_agpr, 0
	.set _ZN7rocprim17ROCPRIM_400000_NS6detail17trampoline_kernelINS0_14default_configENS1_25partition_config_selectorILNS1_17partition_subalgoE9EiibEEZZNS1_14partition_implILS5_9ELb0ES3_jPKiN6thrust23THRUST_200600_302600_NS17counting_iteratorIiNSB_11use_defaultESD_SD_EEPNS0_10empty_typeENS0_5tupleIJPiSF_EEENSH_IJSI_SG_EEENS0_18inequality_wrapperIN6hipcub16HIPCUB_304000_NS8EqualityEEEPlJSF_EEE10hipError_tPvRmT3_T4_T5_T6_T7_T9_mT8_P12ihipStream_tbDpT10_ENKUlT_T0_E_clISt17integral_constantIbLb0EES19_IbLb1EEEEDaS15_S16_EUlS15_E_NS1_11comp_targetILNS1_3genE4ELNS1_11target_archE910ELNS1_3gpuE8ELNS1_3repE0EEENS1_30default_config_static_selectorELNS0_4arch9wavefront6targetE0EEEvT1_.numbered_sgpr, 0
	.set _ZN7rocprim17ROCPRIM_400000_NS6detail17trampoline_kernelINS0_14default_configENS1_25partition_config_selectorILNS1_17partition_subalgoE9EiibEEZZNS1_14partition_implILS5_9ELb0ES3_jPKiN6thrust23THRUST_200600_302600_NS17counting_iteratorIiNSB_11use_defaultESD_SD_EEPNS0_10empty_typeENS0_5tupleIJPiSF_EEENSH_IJSI_SG_EEENS0_18inequality_wrapperIN6hipcub16HIPCUB_304000_NS8EqualityEEEPlJSF_EEE10hipError_tPvRmT3_T4_T5_T6_T7_T9_mT8_P12ihipStream_tbDpT10_ENKUlT_T0_E_clISt17integral_constantIbLb0EES19_IbLb1EEEEDaS15_S16_EUlS15_E_NS1_11comp_targetILNS1_3genE4ELNS1_11target_archE910ELNS1_3gpuE8ELNS1_3repE0EEENS1_30default_config_static_selectorELNS0_4arch9wavefront6targetE0EEEvT1_.num_named_barrier, 0
	.set _ZN7rocprim17ROCPRIM_400000_NS6detail17trampoline_kernelINS0_14default_configENS1_25partition_config_selectorILNS1_17partition_subalgoE9EiibEEZZNS1_14partition_implILS5_9ELb0ES3_jPKiN6thrust23THRUST_200600_302600_NS17counting_iteratorIiNSB_11use_defaultESD_SD_EEPNS0_10empty_typeENS0_5tupleIJPiSF_EEENSH_IJSI_SG_EEENS0_18inequality_wrapperIN6hipcub16HIPCUB_304000_NS8EqualityEEEPlJSF_EEE10hipError_tPvRmT3_T4_T5_T6_T7_T9_mT8_P12ihipStream_tbDpT10_ENKUlT_T0_E_clISt17integral_constantIbLb0EES19_IbLb1EEEEDaS15_S16_EUlS15_E_NS1_11comp_targetILNS1_3genE4ELNS1_11target_archE910ELNS1_3gpuE8ELNS1_3repE0EEENS1_30default_config_static_selectorELNS0_4arch9wavefront6targetE0EEEvT1_.private_seg_size, 0
	.set _ZN7rocprim17ROCPRIM_400000_NS6detail17trampoline_kernelINS0_14default_configENS1_25partition_config_selectorILNS1_17partition_subalgoE9EiibEEZZNS1_14partition_implILS5_9ELb0ES3_jPKiN6thrust23THRUST_200600_302600_NS17counting_iteratorIiNSB_11use_defaultESD_SD_EEPNS0_10empty_typeENS0_5tupleIJPiSF_EEENSH_IJSI_SG_EEENS0_18inequality_wrapperIN6hipcub16HIPCUB_304000_NS8EqualityEEEPlJSF_EEE10hipError_tPvRmT3_T4_T5_T6_T7_T9_mT8_P12ihipStream_tbDpT10_ENKUlT_T0_E_clISt17integral_constantIbLb0EES19_IbLb1EEEEDaS15_S16_EUlS15_E_NS1_11comp_targetILNS1_3genE4ELNS1_11target_archE910ELNS1_3gpuE8ELNS1_3repE0EEENS1_30default_config_static_selectorELNS0_4arch9wavefront6targetE0EEEvT1_.uses_vcc, 0
	.set _ZN7rocprim17ROCPRIM_400000_NS6detail17trampoline_kernelINS0_14default_configENS1_25partition_config_selectorILNS1_17partition_subalgoE9EiibEEZZNS1_14partition_implILS5_9ELb0ES3_jPKiN6thrust23THRUST_200600_302600_NS17counting_iteratorIiNSB_11use_defaultESD_SD_EEPNS0_10empty_typeENS0_5tupleIJPiSF_EEENSH_IJSI_SG_EEENS0_18inequality_wrapperIN6hipcub16HIPCUB_304000_NS8EqualityEEEPlJSF_EEE10hipError_tPvRmT3_T4_T5_T6_T7_T9_mT8_P12ihipStream_tbDpT10_ENKUlT_T0_E_clISt17integral_constantIbLb0EES19_IbLb1EEEEDaS15_S16_EUlS15_E_NS1_11comp_targetILNS1_3genE4ELNS1_11target_archE910ELNS1_3gpuE8ELNS1_3repE0EEENS1_30default_config_static_selectorELNS0_4arch9wavefront6targetE0EEEvT1_.uses_flat_scratch, 0
	.set _ZN7rocprim17ROCPRIM_400000_NS6detail17trampoline_kernelINS0_14default_configENS1_25partition_config_selectorILNS1_17partition_subalgoE9EiibEEZZNS1_14partition_implILS5_9ELb0ES3_jPKiN6thrust23THRUST_200600_302600_NS17counting_iteratorIiNSB_11use_defaultESD_SD_EEPNS0_10empty_typeENS0_5tupleIJPiSF_EEENSH_IJSI_SG_EEENS0_18inequality_wrapperIN6hipcub16HIPCUB_304000_NS8EqualityEEEPlJSF_EEE10hipError_tPvRmT3_T4_T5_T6_T7_T9_mT8_P12ihipStream_tbDpT10_ENKUlT_T0_E_clISt17integral_constantIbLb0EES19_IbLb1EEEEDaS15_S16_EUlS15_E_NS1_11comp_targetILNS1_3genE4ELNS1_11target_archE910ELNS1_3gpuE8ELNS1_3repE0EEENS1_30default_config_static_selectorELNS0_4arch9wavefront6targetE0EEEvT1_.has_dyn_sized_stack, 0
	.set _ZN7rocprim17ROCPRIM_400000_NS6detail17trampoline_kernelINS0_14default_configENS1_25partition_config_selectorILNS1_17partition_subalgoE9EiibEEZZNS1_14partition_implILS5_9ELb0ES3_jPKiN6thrust23THRUST_200600_302600_NS17counting_iteratorIiNSB_11use_defaultESD_SD_EEPNS0_10empty_typeENS0_5tupleIJPiSF_EEENSH_IJSI_SG_EEENS0_18inequality_wrapperIN6hipcub16HIPCUB_304000_NS8EqualityEEEPlJSF_EEE10hipError_tPvRmT3_T4_T5_T6_T7_T9_mT8_P12ihipStream_tbDpT10_ENKUlT_T0_E_clISt17integral_constantIbLb0EES19_IbLb1EEEEDaS15_S16_EUlS15_E_NS1_11comp_targetILNS1_3genE4ELNS1_11target_archE910ELNS1_3gpuE8ELNS1_3repE0EEENS1_30default_config_static_selectorELNS0_4arch9wavefront6targetE0EEEvT1_.has_recursion, 0
	.set _ZN7rocprim17ROCPRIM_400000_NS6detail17trampoline_kernelINS0_14default_configENS1_25partition_config_selectorILNS1_17partition_subalgoE9EiibEEZZNS1_14partition_implILS5_9ELb0ES3_jPKiN6thrust23THRUST_200600_302600_NS17counting_iteratorIiNSB_11use_defaultESD_SD_EEPNS0_10empty_typeENS0_5tupleIJPiSF_EEENSH_IJSI_SG_EEENS0_18inequality_wrapperIN6hipcub16HIPCUB_304000_NS8EqualityEEEPlJSF_EEE10hipError_tPvRmT3_T4_T5_T6_T7_T9_mT8_P12ihipStream_tbDpT10_ENKUlT_T0_E_clISt17integral_constantIbLb0EES19_IbLb1EEEEDaS15_S16_EUlS15_E_NS1_11comp_targetILNS1_3genE4ELNS1_11target_archE910ELNS1_3gpuE8ELNS1_3repE0EEENS1_30default_config_static_selectorELNS0_4arch9wavefront6targetE0EEEvT1_.has_indirect_call, 0
	.section	.AMDGPU.csdata,"",@progbits
; Kernel info:
; codeLenInByte = 0
; TotalNumSgprs: 0
; NumVgprs: 0
; ScratchSize: 0
; MemoryBound: 0
; FloatMode: 240
; IeeeMode: 1
; LDSByteSize: 0 bytes/workgroup (compile time only)
; SGPRBlocks: 0
; VGPRBlocks: 0
; NumSGPRsForWavesPerEU: 1
; NumVGPRsForWavesPerEU: 1
; Occupancy: 16
; WaveLimiterHint : 0
; COMPUTE_PGM_RSRC2:SCRATCH_EN: 0
; COMPUTE_PGM_RSRC2:USER_SGPR: 2
; COMPUTE_PGM_RSRC2:TRAP_HANDLER: 0
; COMPUTE_PGM_RSRC2:TGID_X_EN: 1
; COMPUTE_PGM_RSRC2:TGID_Y_EN: 0
; COMPUTE_PGM_RSRC2:TGID_Z_EN: 0
; COMPUTE_PGM_RSRC2:TIDIG_COMP_CNT: 0
	.section	.text._ZN7rocprim17ROCPRIM_400000_NS6detail17trampoline_kernelINS0_14default_configENS1_25partition_config_selectorILNS1_17partition_subalgoE9EiibEEZZNS1_14partition_implILS5_9ELb0ES3_jPKiN6thrust23THRUST_200600_302600_NS17counting_iteratorIiNSB_11use_defaultESD_SD_EEPNS0_10empty_typeENS0_5tupleIJPiSF_EEENSH_IJSI_SG_EEENS0_18inequality_wrapperIN6hipcub16HIPCUB_304000_NS8EqualityEEEPlJSF_EEE10hipError_tPvRmT3_T4_T5_T6_T7_T9_mT8_P12ihipStream_tbDpT10_ENKUlT_T0_E_clISt17integral_constantIbLb0EES19_IbLb1EEEEDaS15_S16_EUlS15_E_NS1_11comp_targetILNS1_3genE3ELNS1_11target_archE908ELNS1_3gpuE7ELNS1_3repE0EEENS1_30default_config_static_selectorELNS0_4arch9wavefront6targetE0EEEvT1_,"axG",@progbits,_ZN7rocprim17ROCPRIM_400000_NS6detail17trampoline_kernelINS0_14default_configENS1_25partition_config_selectorILNS1_17partition_subalgoE9EiibEEZZNS1_14partition_implILS5_9ELb0ES3_jPKiN6thrust23THRUST_200600_302600_NS17counting_iteratorIiNSB_11use_defaultESD_SD_EEPNS0_10empty_typeENS0_5tupleIJPiSF_EEENSH_IJSI_SG_EEENS0_18inequality_wrapperIN6hipcub16HIPCUB_304000_NS8EqualityEEEPlJSF_EEE10hipError_tPvRmT3_T4_T5_T6_T7_T9_mT8_P12ihipStream_tbDpT10_ENKUlT_T0_E_clISt17integral_constantIbLb0EES19_IbLb1EEEEDaS15_S16_EUlS15_E_NS1_11comp_targetILNS1_3genE3ELNS1_11target_archE908ELNS1_3gpuE7ELNS1_3repE0EEENS1_30default_config_static_selectorELNS0_4arch9wavefront6targetE0EEEvT1_,comdat
	.protected	_ZN7rocprim17ROCPRIM_400000_NS6detail17trampoline_kernelINS0_14default_configENS1_25partition_config_selectorILNS1_17partition_subalgoE9EiibEEZZNS1_14partition_implILS5_9ELb0ES3_jPKiN6thrust23THRUST_200600_302600_NS17counting_iteratorIiNSB_11use_defaultESD_SD_EEPNS0_10empty_typeENS0_5tupleIJPiSF_EEENSH_IJSI_SG_EEENS0_18inequality_wrapperIN6hipcub16HIPCUB_304000_NS8EqualityEEEPlJSF_EEE10hipError_tPvRmT3_T4_T5_T6_T7_T9_mT8_P12ihipStream_tbDpT10_ENKUlT_T0_E_clISt17integral_constantIbLb0EES19_IbLb1EEEEDaS15_S16_EUlS15_E_NS1_11comp_targetILNS1_3genE3ELNS1_11target_archE908ELNS1_3gpuE7ELNS1_3repE0EEENS1_30default_config_static_selectorELNS0_4arch9wavefront6targetE0EEEvT1_ ; -- Begin function _ZN7rocprim17ROCPRIM_400000_NS6detail17trampoline_kernelINS0_14default_configENS1_25partition_config_selectorILNS1_17partition_subalgoE9EiibEEZZNS1_14partition_implILS5_9ELb0ES3_jPKiN6thrust23THRUST_200600_302600_NS17counting_iteratorIiNSB_11use_defaultESD_SD_EEPNS0_10empty_typeENS0_5tupleIJPiSF_EEENSH_IJSI_SG_EEENS0_18inequality_wrapperIN6hipcub16HIPCUB_304000_NS8EqualityEEEPlJSF_EEE10hipError_tPvRmT3_T4_T5_T6_T7_T9_mT8_P12ihipStream_tbDpT10_ENKUlT_T0_E_clISt17integral_constantIbLb0EES19_IbLb1EEEEDaS15_S16_EUlS15_E_NS1_11comp_targetILNS1_3genE3ELNS1_11target_archE908ELNS1_3gpuE7ELNS1_3repE0EEENS1_30default_config_static_selectorELNS0_4arch9wavefront6targetE0EEEvT1_
	.globl	_ZN7rocprim17ROCPRIM_400000_NS6detail17trampoline_kernelINS0_14default_configENS1_25partition_config_selectorILNS1_17partition_subalgoE9EiibEEZZNS1_14partition_implILS5_9ELb0ES3_jPKiN6thrust23THRUST_200600_302600_NS17counting_iteratorIiNSB_11use_defaultESD_SD_EEPNS0_10empty_typeENS0_5tupleIJPiSF_EEENSH_IJSI_SG_EEENS0_18inequality_wrapperIN6hipcub16HIPCUB_304000_NS8EqualityEEEPlJSF_EEE10hipError_tPvRmT3_T4_T5_T6_T7_T9_mT8_P12ihipStream_tbDpT10_ENKUlT_T0_E_clISt17integral_constantIbLb0EES19_IbLb1EEEEDaS15_S16_EUlS15_E_NS1_11comp_targetILNS1_3genE3ELNS1_11target_archE908ELNS1_3gpuE7ELNS1_3repE0EEENS1_30default_config_static_selectorELNS0_4arch9wavefront6targetE0EEEvT1_
	.p2align	8
	.type	_ZN7rocprim17ROCPRIM_400000_NS6detail17trampoline_kernelINS0_14default_configENS1_25partition_config_selectorILNS1_17partition_subalgoE9EiibEEZZNS1_14partition_implILS5_9ELb0ES3_jPKiN6thrust23THRUST_200600_302600_NS17counting_iteratorIiNSB_11use_defaultESD_SD_EEPNS0_10empty_typeENS0_5tupleIJPiSF_EEENSH_IJSI_SG_EEENS0_18inequality_wrapperIN6hipcub16HIPCUB_304000_NS8EqualityEEEPlJSF_EEE10hipError_tPvRmT3_T4_T5_T6_T7_T9_mT8_P12ihipStream_tbDpT10_ENKUlT_T0_E_clISt17integral_constantIbLb0EES19_IbLb1EEEEDaS15_S16_EUlS15_E_NS1_11comp_targetILNS1_3genE3ELNS1_11target_archE908ELNS1_3gpuE7ELNS1_3repE0EEENS1_30default_config_static_selectorELNS0_4arch9wavefront6targetE0EEEvT1_,@function
_ZN7rocprim17ROCPRIM_400000_NS6detail17trampoline_kernelINS0_14default_configENS1_25partition_config_selectorILNS1_17partition_subalgoE9EiibEEZZNS1_14partition_implILS5_9ELb0ES3_jPKiN6thrust23THRUST_200600_302600_NS17counting_iteratorIiNSB_11use_defaultESD_SD_EEPNS0_10empty_typeENS0_5tupleIJPiSF_EEENSH_IJSI_SG_EEENS0_18inequality_wrapperIN6hipcub16HIPCUB_304000_NS8EqualityEEEPlJSF_EEE10hipError_tPvRmT3_T4_T5_T6_T7_T9_mT8_P12ihipStream_tbDpT10_ENKUlT_T0_E_clISt17integral_constantIbLb0EES19_IbLb1EEEEDaS15_S16_EUlS15_E_NS1_11comp_targetILNS1_3genE3ELNS1_11target_archE908ELNS1_3gpuE7ELNS1_3repE0EEENS1_30default_config_static_selectorELNS0_4arch9wavefront6targetE0EEEvT1_: ; @_ZN7rocprim17ROCPRIM_400000_NS6detail17trampoline_kernelINS0_14default_configENS1_25partition_config_selectorILNS1_17partition_subalgoE9EiibEEZZNS1_14partition_implILS5_9ELb0ES3_jPKiN6thrust23THRUST_200600_302600_NS17counting_iteratorIiNSB_11use_defaultESD_SD_EEPNS0_10empty_typeENS0_5tupleIJPiSF_EEENSH_IJSI_SG_EEENS0_18inequality_wrapperIN6hipcub16HIPCUB_304000_NS8EqualityEEEPlJSF_EEE10hipError_tPvRmT3_T4_T5_T6_T7_T9_mT8_P12ihipStream_tbDpT10_ENKUlT_T0_E_clISt17integral_constantIbLb0EES19_IbLb1EEEEDaS15_S16_EUlS15_E_NS1_11comp_targetILNS1_3genE3ELNS1_11target_archE908ELNS1_3gpuE7ELNS1_3repE0EEENS1_30default_config_static_selectorELNS0_4arch9wavefront6targetE0EEEvT1_
; %bb.0:
	.section	.rodata,"a",@progbits
	.p2align	6, 0x0
	.amdhsa_kernel _ZN7rocprim17ROCPRIM_400000_NS6detail17trampoline_kernelINS0_14default_configENS1_25partition_config_selectorILNS1_17partition_subalgoE9EiibEEZZNS1_14partition_implILS5_9ELb0ES3_jPKiN6thrust23THRUST_200600_302600_NS17counting_iteratorIiNSB_11use_defaultESD_SD_EEPNS0_10empty_typeENS0_5tupleIJPiSF_EEENSH_IJSI_SG_EEENS0_18inequality_wrapperIN6hipcub16HIPCUB_304000_NS8EqualityEEEPlJSF_EEE10hipError_tPvRmT3_T4_T5_T6_T7_T9_mT8_P12ihipStream_tbDpT10_ENKUlT_T0_E_clISt17integral_constantIbLb0EES19_IbLb1EEEEDaS15_S16_EUlS15_E_NS1_11comp_targetILNS1_3genE3ELNS1_11target_archE908ELNS1_3gpuE7ELNS1_3repE0EEENS1_30default_config_static_selectorELNS0_4arch9wavefront6targetE0EEEvT1_
		.amdhsa_group_segment_fixed_size 0
		.amdhsa_private_segment_fixed_size 0
		.amdhsa_kernarg_size 128
		.amdhsa_user_sgpr_count 2
		.amdhsa_user_sgpr_dispatch_ptr 0
		.amdhsa_user_sgpr_queue_ptr 0
		.amdhsa_user_sgpr_kernarg_segment_ptr 1
		.amdhsa_user_sgpr_dispatch_id 0
		.amdhsa_user_sgpr_private_segment_size 0
		.amdhsa_wavefront_size32 1
		.amdhsa_uses_dynamic_stack 0
		.amdhsa_enable_private_segment 0
		.amdhsa_system_sgpr_workgroup_id_x 1
		.amdhsa_system_sgpr_workgroup_id_y 0
		.amdhsa_system_sgpr_workgroup_id_z 0
		.amdhsa_system_sgpr_workgroup_info 0
		.amdhsa_system_vgpr_workitem_id 0
		.amdhsa_next_free_vgpr 1
		.amdhsa_next_free_sgpr 1
		.amdhsa_reserve_vcc 0
		.amdhsa_float_round_mode_32 0
		.amdhsa_float_round_mode_16_64 0
		.amdhsa_float_denorm_mode_32 3
		.amdhsa_float_denorm_mode_16_64 3
		.amdhsa_fp16_overflow 0
		.amdhsa_workgroup_processor_mode 1
		.amdhsa_memory_ordered 1
		.amdhsa_forward_progress 1
		.amdhsa_inst_pref_size 0
		.amdhsa_round_robin_scheduling 0
		.amdhsa_exception_fp_ieee_invalid_op 0
		.amdhsa_exception_fp_denorm_src 0
		.amdhsa_exception_fp_ieee_div_zero 0
		.amdhsa_exception_fp_ieee_overflow 0
		.amdhsa_exception_fp_ieee_underflow 0
		.amdhsa_exception_fp_ieee_inexact 0
		.amdhsa_exception_int_div_zero 0
	.end_amdhsa_kernel
	.section	.text._ZN7rocprim17ROCPRIM_400000_NS6detail17trampoline_kernelINS0_14default_configENS1_25partition_config_selectorILNS1_17partition_subalgoE9EiibEEZZNS1_14partition_implILS5_9ELb0ES3_jPKiN6thrust23THRUST_200600_302600_NS17counting_iteratorIiNSB_11use_defaultESD_SD_EEPNS0_10empty_typeENS0_5tupleIJPiSF_EEENSH_IJSI_SG_EEENS0_18inequality_wrapperIN6hipcub16HIPCUB_304000_NS8EqualityEEEPlJSF_EEE10hipError_tPvRmT3_T4_T5_T6_T7_T9_mT8_P12ihipStream_tbDpT10_ENKUlT_T0_E_clISt17integral_constantIbLb0EES19_IbLb1EEEEDaS15_S16_EUlS15_E_NS1_11comp_targetILNS1_3genE3ELNS1_11target_archE908ELNS1_3gpuE7ELNS1_3repE0EEENS1_30default_config_static_selectorELNS0_4arch9wavefront6targetE0EEEvT1_,"axG",@progbits,_ZN7rocprim17ROCPRIM_400000_NS6detail17trampoline_kernelINS0_14default_configENS1_25partition_config_selectorILNS1_17partition_subalgoE9EiibEEZZNS1_14partition_implILS5_9ELb0ES3_jPKiN6thrust23THRUST_200600_302600_NS17counting_iteratorIiNSB_11use_defaultESD_SD_EEPNS0_10empty_typeENS0_5tupleIJPiSF_EEENSH_IJSI_SG_EEENS0_18inequality_wrapperIN6hipcub16HIPCUB_304000_NS8EqualityEEEPlJSF_EEE10hipError_tPvRmT3_T4_T5_T6_T7_T9_mT8_P12ihipStream_tbDpT10_ENKUlT_T0_E_clISt17integral_constantIbLb0EES19_IbLb1EEEEDaS15_S16_EUlS15_E_NS1_11comp_targetILNS1_3genE3ELNS1_11target_archE908ELNS1_3gpuE7ELNS1_3repE0EEENS1_30default_config_static_selectorELNS0_4arch9wavefront6targetE0EEEvT1_,comdat
.Lfunc_end39:
	.size	_ZN7rocprim17ROCPRIM_400000_NS6detail17trampoline_kernelINS0_14default_configENS1_25partition_config_selectorILNS1_17partition_subalgoE9EiibEEZZNS1_14partition_implILS5_9ELb0ES3_jPKiN6thrust23THRUST_200600_302600_NS17counting_iteratorIiNSB_11use_defaultESD_SD_EEPNS0_10empty_typeENS0_5tupleIJPiSF_EEENSH_IJSI_SG_EEENS0_18inequality_wrapperIN6hipcub16HIPCUB_304000_NS8EqualityEEEPlJSF_EEE10hipError_tPvRmT3_T4_T5_T6_T7_T9_mT8_P12ihipStream_tbDpT10_ENKUlT_T0_E_clISt17integral_constantIbLb0EES19_IbLb1EEEEDaS15_S16_EUlS15_E_NS1_11comp_targetILNS1_3genE3ELNS1_11target_archE908ELNS1_3gpuE7ELNS1_3repE0EEENS1_30default_config_static_selectorELNS0_4arch9wavefront6targetE0EEEvT1_, .Lfunc_end39-_ZN7rocprim17ROCPRIM_400000_NS6detail17trampoline_kernelINS0_14default_configENS1_25partition_config_selectorILNS1_17partition_subalgoE9EiibEEZZNS1_14partition_implILS5_9ELb0ES3_jPKiN6thrust23THRUST_200600_302600_NS17counting_iteratorIiNSB_11use_defaultESD_SD_EEPNS0_10empty_typeENS0_5tupleIJPiSF_EEENSH_IJSI_SG_EEENS0_18inequality_wrapperIN6hipcub16HIPCUB_304000_NS8EqualityEEEPlJSF_EEE10hipError_tPvRmT3_T4_T5_T6_T7_T9_mT8_P12ihipStream_tbDpT10_ENKUlT_T0_E_clISt17integral_constantIbLb0EES19_IbLb1EEEEDaS15_S16_EUlS15_E_NS1_11comp_targetILNS1_3genE3ELNS1_11target_archE908ELNS1_3gpuE7ELNS1_3repE0EEENS1_30default_config_static_selectorELNS0_4arch9wavefront6targetE0EEEvT1_
                                        ; -- End function
	.set _ZN7rocprim17ROCPRIM_400000_NS6detail17trampoline_kernelINS0_14default_configENS1_25partition_config_selectorILNS1_17partition_subalgoE9EiibEEZZNS1_14partition_implILS5_9ELb0ES3_jPKiN6thrust23THRUST_200600_302600_NS17counting_iteratorIiNSB_11use_defaultESD_SD_EEPNS0_10empty_typeENS0_5tupleIJPiSF_EEENSH_IJSI_SG_EEENS0_18inequality_wrapperIN6hipcub16HIPCUB_304000_NS8EqualityEEEPlJSF_EEE10hipError_tPvRmT3_T4_T5_T6_T7_T9_mT8_P12ihipStream_tbDpT10_ENKUlT_T0_E_clISt17integral_constantIbLb0EES19_IbLb1EEEEDaS15_S16_EUlS15_E_NS1_11comp_targetILNS1_3genE3ELNS1_11target_archE908ELNS1_3gpuE7ELNS1_3repE0EEENS1_30default_config_static_selectorELNS0_4arch9wavefront6targetE0EEEvT1_.num_vgpr, 0
	.set _ZN7rocprim17ROCPRIM_400000_NS6detail17trampoline_kernelINS0_14default_configENS1_25partition_config_selectorILNS1_17partition_subalgoE9EiibEEZZNS1_14partition_implILS5_9ELb0ES3_jPKiN6thrust23THRUST_200600_302600_NS17counting_iteratorIiNSB_11use_defaultESD_SD_EEPNS0_10empty_typeENS0_5tupleIJPiSF_EEENSH_IJSI_SG_EEENS0_18inequality_wrapperIN6hipcub16HIPCUB_304000_NS8EqualityEEEPlJSF_EEE10hipError_tPvRmT3_T4_T5_T6_T7_T9_mT8_P12ihipStream_tbDpT10_ENKUlT_T0_E_clISt17integral_constantIbLb0EES19_IbLb1EEEEDaS15_S16_EUlS15_E_NS1_11comp_targetILNS1_3genE3ELNS1_11target_archE908ELNS1_3gpuE7ELNS1_3repE0EEENS1_30default_config_static_selectorELNS0_4arch9wavefront6targetE0EEEvT1_.num_agpr, 0
	.set _ZN7rocprim17ROCPRIM_400000_NS6detail17trampoline_kernelINS0_14default_configENS1_25partition_config_selectorILNS1_17partition_subalgoE9EiibEEZZNS1_14partition_implILS5_9ELb0ES3_jPKiN6thrust23THRUST_200600_302600_NS17counting_iteratorIiNSB_11use_defaultESD_SD_EEPNS0_10empty_typeENS0_5tupleIJPiSF_EEENSH_IJSI_SG_EEENS0_18inequality_wrapperIN6hipcub16HIPCUB_304000_NS8EqualityEEEPlJSF_EEE10hipError_tPvRmT3_T4_T5_T6_T7_T9_mT8_P12ihipStream_tbDpT10_ENKUlT_T0_E_clISt17integral_constantIbLb0EES19_IbLb1EEEEDaS15_S16_EUlS15_E_NS1_11comp_targetILNS1_3genE3ELNS1_11target_archE908ELNS1_3gpuE7ELNS1_3repE0EEENS1_30default_config_static_selectorELNS0_4arch9wavefront6targetE0EEEvT1_.numbered_sgpr, 0
	.set _ZN7rocprim17ROCPRIM_400000_NS6detail17trampoline_kernelINS0_14default_configENS1_25partition_config_selectorILNS1_17partition_subalgoE9EiibEEZZNS1_14partition_implILS5_9ELb0ES3_jPKiN6thrust23THRUST_200600_302600_NS17counting_iteratorIiNSB_11use_defaultESD_SD_EEPNS0_10empty_typeENS0_5tupleIJPiSF_EEENSH_IJSI_SG_EEENS0_18inequality_wrapperIN6hipcub16HIPCUB_304000_NS8EqualityEEEPlJSF_EEE10hipError_tPvRmT3_T4_T5_T6_T7_T9_mT8_P12ihipStream_tbDpT10_ENKUlT_T0_E_clISt17integral_constantIbLb0EES19_IbLb1EEEEDaS15_S16_EUlS15_E_NS1_11comp_targetILNS1_3genE3ELNS1_11target_archE908ELNS1_3gpuE7ELNS1_3repE0EEENS1_30default_config_static_selectorELNS0_4arch9wavefront6targetE0EEEvT1_.num_named_barrier, 0
	.set _ZN7rocprim17ROCPRIM_400000_NS6detail17trampoline_kernelINS0_14default_configENS1_25partition_config_selectorILNS1_17partition_subalgoE9EiibEEZZNS1_14partition_implILS5_9ELb0ES3_jPKiN6thrust23THRUST_200600_302600_NS17counting_iteratorIiNSB_11use_defaultESD_SD_EEPNS0_10empty_typeENS0_5tupleIJPiSF_EEENSH_IJSI_SG_EEENS0_18inequality_wrapperIN6hipcub16HIPCUB_304000_NS8EqualityEEEPlJSF_EEE10hipError_tPvRmT3_T4_T5_T6_T7_T9_mT8_P12ihipStream_tbDpT10_ENKUlT_T0_E_clISt17integral_constantIbLb0EES19_IbLb1EEEEDaS15_S16_EUlS15_E_NS1_11comp_targetILNS1_3genE3ELNS1_11target_archE908ELNS1_3gpuE7ELNS1_3repE0EEENS1_30default_config_static_selectorELNS0_4arch9wavefront6targetE0EEEvT1_.private_seg_size, 0
	.set _ZN7rocprim17ROCPRIM_400000_NS6detail17trampoline_kernelINS0_14default_configENS1_25partition_config_selectorILNS1_17partition_subalgoE9EiibEEZZNS1_14partition_implILS5_9ELb0ES3_jPKiN6thrust23THRUST_200600_302600_NS17counting_iteratorIiNSB_11use_defaultESD_SD_EEPNS0_10empty_typeENS0_5tupleIJPiSF_EEENSH_IJSI_SG_EEENS0_18inequality_wrapperIN6hipcub16HIPCUB_304000_NS8EqualityEEEPlJSF_EEE10hipError_tPvRmT3_T4_T5_T6_T7_T9_mT8_P12ihipStream_tbDpT10_ENKUlT_T0_E_clISt17integral_constantIbLb0EES19_IbLb1EEEEDaS15_S16_EUlS15_E_NS1_11comp_targetILNS1_3genE3ELNS1_11target_archE908ELNS1_3gpuE7ELNS1_3repE0EEENS1_30default_config_static_selectorELNS0_4arch9wavefront6targetE0EEEvT1_.uses_vcc, 0
	.set _ZN7rocprim17ROCPRIM_400000_NS6detail17trampoline_kernelINS0_14default_configENS1_25partition_config_selectorILNS1_17partition_subalgoE9EiibEEZZNS1_14partition_implILS5_9ELb0ES3_jPKiN6thrust23THRUST_200600_302600_NS17counting_iteratorIiNSB_11use_defaultESD_SD_EEPNS0_10empty_typeENS0_5tupleIJPiSF_EEENSH_IJSI_SG_EEENS0_18inequality_wrapperIN6hipcub16HIPCUB_304000_NS8EqualityEEEPlJSF_EEE10hipError_tPvRmT3_T4_T5_T6_T7_T9_mT8_P12ihipStream_tbDpT10_ENKUlT_T0_E_clISt17integral_constantIbLb0EES19_IbLb1EEEEDaS15_S16_EUlS15_E_NS1_11comp_targetILNS1_3genE3ELNS1_11target_archE908ELNS1_3gpuE7ELNS1_3repE0EEENS1_30default_config_static_selectorELNS0_4arch9wavefront6targetE0EEEvT1_.uses_flat_scratch, 0
	.set _ZN7rocprim17ROCPRIM_400000_NS6detail17trampoline_kernelINS0_14default_configENS1_25partition_config_selectorILNS1_17partition_subalgoE9EiibEEZZNS1_14partition_implILS5_9ELb0ES3_jPKiN6thrust23THRUST_200600_302600_NS17counting_iteratorIiNSB_11use_defaultESD_SD_EEPNS0_10empty_typeENS0_5tupleIJPiSF_EEENSH_IJSI_SG_EEENS0_18inequality_wrapperIN6hipcub16HIPCUB_304000_NS8EqualityEEEPlJSF_EEE10hipError_tPvRmT3_T4_T5_T6_T7_T9_mT8_P12ihipStream_tbDpT10_ENKUlT_T0_E_clISt17integral_constantIbLb0EES19_IbLb1EEEEDaS15_S16_EUlS15_E_NS1_11comp_targetILNS1_3genE3ELNS1_11target_archE908ELNS1_3gpuE7ELNS1_3repE0EEENS1_30default_config_static_selectorELNS0_4arch9wavefront6targetE0EEEvT1_.has_dyn_sized_stack, 0
	.set _ZN7rocprim17ROCPRIM_400000_NS6detail17trampoline_kernelINS0_14default_configENS1_25partition_config_selectorILNS1_17partition_subalgoE9EiibEEZZNS1_14partition_implILS5_9ELb0ES3_jPKiN6thrust23THRUST_200600_302600_NS17counting_iteratorIiNSB_11use_defaultESD_SD_EEPNS0_10empty_typeENS0_5tupleIJPiSF_EEENSH_IJSI_SG_EEENS0_18inequality_wrapperIN6hipcub16HIPCUB_304000_NS8EqualityEEEPlJSF_EEE10hipError_tPvRmT3_T4_T5_T6_T7_T9_mT8_P12ihipStream_tbDpT10_ENKUlT_T0_E_clISt17integral_constantIbLb0EES19_IbLb1EEEEDaS15_S16_EUlS15_E_NS1_11comp_targetILNS1_3genE3ELNS1_11target_archE908ELNS1_3gpuE7ELNS1_3repE0EEENS1_30default_config_static_selectorELNS0_4arch9wavefront6targetE0EEEvT1_.has_recursion, 0
	.set _ZN7rocprim17ROCPRIM_400000_NS6detail17trampoline_kernelINS0_14default_configENS1_25partition_config_selectorILNS1_17partition_subalgoE9EiibEEZZNS1_14partition_implILS5_9ELb0ES3_jPKiN6thrust23THRUST_200600_302600_NS17counting_iteratorIiNSB_11use_defaultESD_SD_EEPNS0_10empty_typeENS0_5tupleIJPiSF_EEENSH_IJSI_SG_EEENS0_18inequality_wrapperIN6hipcub16HIPCUB_304000_NS8EqualityEEEPlJSF_EEE10hipError_tPvRmT3_T4_T5_T6_T7_T9_mT8_P12ihipStream_tbDpT10_ENKUlT_T0_E_clISt17integral_constantIbLb0EES19_IbLb1EEEEDaS15_S16_EUlS15_E_NS1_11comp_targetILNS1_3genE3ELNS1_11target_archE908ELNS1_3gpuE7ELNS1_3repE0EEENS1_30default_config_static_selectorELNS0_4arch9wavefront6targetE0EEEvT1_.has_indirect_call, 0
	.section	.AMDGPU.csdata,"",@progbits
; Kernel info:
; codeLenInByte = 0
; TotalNumSgprs: 0
; NumVgprs: 0
; ScratchSize: 0
; MemoryBound: 0
; FloatMode: 240
; IeeeMode: 1
; LDSByteSize: 0 bytes/workgroup (compile time only)
; SGPRBlocks: 0
; VGPRBlocks: 0
; NumSGPRsForWavesPerEU: 1
; NumVGPRsForWavesPerEU: 1
; Occupancy: 16
; WaveLimiterHint : 0
; COMPUTE_PGM_RSRC2:SCRATCH_EN: 0
; COMPUTE_PGM_RSRC2:USER_SGPR: 2
; COMPUTE_PGM_RSRC2:TRAP_HANDLER: 0
; COMPUTE_PGM_RSRC2:TGID_X_EN: 1
; COMPUTE_PGM_RSRC2:TGID_Y_EN: 0
; COMPUTE_PGM_RSRC2:TGID_Z_EN: 0
; COMPUTE_PGM_RSRC2:TIDIG_COMP_CNT: 0
	.section	.text._ZN7rocprim17ROCPRIM_400000_NS6detail17trampoline_kernelINS0_14default_configENS1_25partition_config_selectorILNS1_17partition_subalgoE9EiibEEZZNS1_14partition_implILS5_9ELb0ES3_jPKiN6thrust23THRUST_200600_302600_NS17counting_iteratorIiNSB_11use_defaultESD_SD_EEPNS0_10empty_typeENS0_5tupleIJPiSF_EEENSH_IJSI_SG_EEENS0_18inequality_wrapperIN6hipcub16HIPCUB_304000_NS8EqualityEEEPlJSF_EEE10hipError_tPvRmT3_T4_T5_T6_T7_T9_mT8_P12ihipStream_tbDpT10_ENKUlT_T0_E_clISt17integral_constantIbLb0EES19_IbLb1EEEEDaS15_S16_EUlS15_E_NS1_11comp_targetILNS1_3genE2ELNS1_11target_archE906ELNS1_3gpuE6ELNS1_3repE0EEENS1_30default_config_static_selectorELNS0_4arch9wavefront6targetE0EEEvT1_,"axG",@progbits,_ZN7rocprim17ROCPRIM_400000_NS6detail17trampoline_kernelINS0_14default_configENS1_25partition_config_selectorILNS1_17partition_subalgoE9EiibEEZZNS1_14partition_implILS5_9ELb0ES3_jPKiN6thrust23THRUST_200600_302600_NS17counting_iteratorIiNSB_11use_defaultESD_SD_EEPNS0_10empty_typeENS0_5tupleIJPiSF_EEENSH_IJSI_SG_EEENS0_18inequality_wrapperIN6hipcub16HIPCUB_304000_NS8EqualityEEEPlJSF_EEE10hipError_tPvRmT3_T4_T5_T6_T7_T9_mT8_P12ihipStream_tbDpT10_ENKUlT_T0_E_clISt17integral_constantIbLb0EES19_IbLb1EEEEDaS15_S16_EUlS15_E_NS1_11comp_targetILNS1_3genE2ELNS1_11target_archE906ELNS1_3gpuE6ELNS1_3repE0EEENS1_30default_config_static_selectorELNS0_4arch9wavefront6targetE0EEEvT1_,comdat
	.protected	_ZN7rocprim17ROCPRIM_400000_NS6detail17trampoline_kernelINS0_14default_configENS1_25partition_config_selectorILNS1_17partition_subalgoE9EiibEEZZNS1_14partition_implILS5_9ELb0ES3_jPKiN6thrust23THRUST_200600_302600_NS17counting_iteratorIiNSB_11use_defaultESD_SD_EEPNS0_10empty_typeENS0_5tupleIJPiSF_EEENSH_IJSI_SG_EEENS0_18inequality_wrapperIN6hipcub16HIPCUB_304000_NS8EqualityEEEPlJSF_EEE10hipError_tPvRmT3_T4_T5_T6_T7_T9_mT8_P12ihipStream_tbDpT10_ENKUlT_T0_E_clISt17integral_constantIbLb0EES19_IbLb1EEEEDaS15_S16_EUlS15_E_NS1_11comp_targetILNS1_3genE2ELNS1_11target_archE906ELNS1_3gpuE6ELNS1_3repE0EEENS1_30default_config_static_selectorELNS0_4arch9wavefront6targetE0EEEvT1_ ; -- Begin function _ZN7rocprim17ROCPRIM_400000_NS6detail17trampoline_kernelINS0_14default_configENS1_25partition_config_selectorILNS1_17partition_subalgoE9EiibEEZZNS1_14partition_implILS5_9ELb0ES3_jPKiN6thrust23THRUST_200600_302600_NS17counting_iteratorIiNSB_11use_defaultESD_SD_EEPNS0_10empty_typeENS0_5tupleIJPiSF_EEENSH_IJSI_SG_EEENS0_18inequality_wrapperIN6hipcub16HIPCUB_304000_NS8EqualityEEEPlJSF_EEE10hipError_tPvRmT3_T4_T5_T6_T7_T9_mT8_P12ihipStream_tbDpT10_ENKUlT_T0_E_clISt17integral_constantIbLb0EES19_IbLb1EEEEDaS15_S16_EUlS15_E_NS1_11comp_targetILNS1_3genE2ELNS1_11target_archE906ELNS1_3gpuE6ELNS1_3repE0EEENS1_30default_config_static_selectorELNS0_4arch9wavefront6targetE0EEEvT1_
	.globl	_ZN7rocprim17ROCPRIM_400000_NS6detail17trampoline_kernelINS0_14default_configENS1_25partition_config_selectorILNS1_17partition_subalgoE9EiibEEZZNS1_14partition_implILS5_9ELb0ES3_jPKiN6thrust23THRUST_200600_302600_NS17counting_iteratorIiNSB_11use_defaultESD_SD_EEPNS0_10empty_typeENS0_5tupleIJPiSF_EEENSH_IJSI_SG_EEENS0_18inequality_wrapperIN6hipcub16HIPCUB_304000_NS8EqualityEEEPlJSF_EEE10hipError_tPvRmT3_T4_T5_T6_T7_T9_mT8_P12ihipStream_tbDpT10_ENKUlT_T0_E_clISt17integral_constantIbLb0EES19_IbLb1EEEEDaS15_S16_EUlS15_E_NS1_11comp_targetILNS1_3genE2ELNS1_11target_archE906ELNS1_3gpuE6ELNS1_3repE0EEENS1_30default_config_static_selectorELNS0_4arch9wavefront6targetE0EEEvT1_
	.p2align	8
	.type	_ZN7rocprim17ROCPRIM_400000_NS6detail17trampoline_kernelINS0_14default_configENS1_25partition_config_selectorILNS1_17partition_subalgoE9EiibEEZZNS1_14partition_implILS5_9ELb0ES3_jPKiN6thrust23THRUST_200600_302600_NS17counting_iteratorIiNSB_11use_defaultESD_SD_EEPNS0_10empty_typeENS0_5tupleIJPiSF_EEENSH_IJSI_SG_EEENS0_18inequality_wrapperIN6hipcub16HIPCUB_304000_NS8EqualityEEEPlJSF_EEE10hipError_tPvRmT3_T4_T5_T6_T7_T9_mT8_P12ihipStream_tbDpT10_ENKUlT_T0_E_clISt17integral_constantIbLb0EES19_IbLb1EEEEDaS15_S16_EUlS15_E_NS1_11comp_targetILNS1_3genE2ELNS1_11target_archE906ELNS1_3gpuE6ELNS1_3repE0EEENS1_30default_config_static_selectorELNS0_4arch9wavefront6targetE0EEEvT1_,@function
_ZN7rocprim17ROCPRIM_400000_NS6detail17trampoline_kernelINS0_14default_configENS1_25partition_config_selectorILNS1_17partition_subalgoE9EiibEEZZNS1_14partition_implILS5_9ELb0ES3_jPKiN6thrust23THRUST_200600_302600_NS17counting_iteratorIiNSB_11use_defaultESD_SD_EEPNS0_10empty_typeENS0_5tupleIJPiSF_EEENSH_IJSI_SG_EEENS0_18inequality_wrapperIN6hipcub16HIPCUB_304000_NS8EqualityEEEPlJSF_EEE10hipError_tPvRmT3_T4_T5_T6_T7_T9_mT8_P12ihipStream_tbDpT10_ENKUlT_T0_E_clISt17integral_constantIbLb0EES19_IbLb1EEEEDaS15_S16_EUlS15_E_NS1_11comp_targetILNS1_3genE2ELNS1_11target_archE906ELNS1_3gpuE6ELNS1_3repE0EEENS1_30default_config_static_selectorELNS0_4arch9wavefront6targetE0EEEvT1_: ; @_ZN7rocprim17ROCPRIM_400000_NS6detail17trampoline_kernelINS0_14default_configENS1_25partition_config_selectorILNS1_17partition_subalgoE9EiibEEZZNS1_14partition_implILS5_9ELb0ES3_jPKiN6thrust23THRUST_200600_302600_NS17counting_iteratorIiNSB_11use_defaultESD_SD_EEPNS0_10empty_typeENS0_5tupleIJPiSF_EEENSH_IJSI_SG_EEENS0_18inequality_wrapperIN6hipcub16HIPCUB_304000_NS8EqualityEEEPlJSF_EEE10hipError_tPvRmT3_T4_T5_T6_T7_T9_mT8_P12ihipStream_tbDpT10_ENKUlT_T0_E_clISt17integral_constantIbLb0EES19_IbLb1EEEEDaS15_S16_EUlS15_E_NS1_11comp_targetILNS1_3genE2ELNS1_11target_archE906ELNS1_3gpuE6ELNS1_3repE0EEENS1_30default_config_static_selectorELNS0_4arch9wavefront6targetE0EEEvT1_
; %bb.0:
	.section	.rodata,"a",@progbits
	.p2align	6, 0x0
	.amdhsa_kernel _ZN7rocprim17ROCPRIM_400000_NS6detail17trampoline_kernelINS0_14default_configENS1_25partition_config_selectorILNS1_17partition_subalgoE9EiibEEZZNS1_14partition_implILS5_9ELb0ES3_jPKiN6thrust23THRUST_200600_302600_NS17counting_iteratorIiNSB_11use_defaultESD_SD_EEPNS0_10empty_typeENS0_5tupleIJPiSF_EEENSH_IJSI_SG_EEENS0_18inequality_wrapperIN6hipcub16HIPCUB_304000_NS8EqualityEEEPlJSF_EEE10hipError_tPvRmT3_T4_T5_T6_T7_T9_mT8_P12ihipStream_tbDpT10_ENKUlT_T0_E_clISt17integral_constantIbLb0EES19_IbLb1EEEEDaS15_S16_EUlS15_E_NS1_11comp_targetILNS1_3genE2ELNS1_11target_archE906ELNS1_3gpuE6ELNS1_3repE0EEENS1_30default_config_static_selectorELNS0_4arch9wavefront6targetE0EEEvT1_
		.amdhsa_group_segment_fixed_size 0
		.amdhsa_private_segment_fixed_size 0
		.amdhsa_kernarg_size 128
		.amdhsa_user_sgpr_count 2
		.amdhsa_user_sgpr_dispatch_ptr 0
		.amdhsa_user_sgpr_queue_ptr 0
		.amdhsa_user_sgpr_kernarg_segment_ptr 1
		.amdhsa_user_sgpr_dispatch_id 0
		.amdhsa_user_sgpr_private_segment_size 0
		.amdhsa_wavefront_size32 1
		.amdhsa_uses_dynamic_stack 0
		.amdhsa_enable_private_segment 0
		.amdhsa_system_sgpr_workgroup_id_x 1
		.amdhsa_system_sgpr_workgroup_id_y 0
		.amdhsa_system_sgpr_workgroup_id_z 0
		.amdhsa_system_sgpr_workgroup_info 0
		.amdhsa_system_vgpr_workitem_id 0
		.amdhsa_next_free_vgpr 1
		.amdhsa_next_free_sgpr 1
		.amdhsa_reserve_vcc 0
		.amdhsa_float_round_mode_32 0
		.amdhsa_float_round_mode_16_64 0
		.amdhsa_float_denorm_mode_32 3
		.amdhsa_float_denorm_mode_16_64 3
		.amdhsa_fp16_overflow 0
		.amdhsa_workgroup_processor_mode 1
		.amdhsa_memory_ordered 1
		.amdhsa_forward_progress 1
		.amdhsa_inst_pref_size 0
		.amdhsa_round_robin_scheduling 0
		.amdhsa_exception_fp_ieee_invalid_op 0
		.amdhsa_exception_fp_denorm_src 0
		.amdhsa_exception_fp_ieee_div_zero 0
		.amdhsa_exception_fp_ieee_overflow 0
		.amdhsa_exception_fp_ieee_underflow 0
		.amdhsa_exception_fp_ieee_inexact 0
		.amdhsa_exception_int_div_zero 0
	.end_amdhsa_kernel
	.section	.text._ZN7rocprim17ROCPRIM_400000_NS6detail17trampoline_kernelINS0_14default_configENS1_25partition_config_selectorILNS1_17partition_subalgoE9EiibEEZZNS1_14partition_implILS5_9ELb0ES3_jPKiN6thrust23THRUST_200600_302600_NS17counting_iteratorIiNSB_11use_defaultESD_SD_EEPNS0_10empty_typeENS0_5tupleIJPiSF_EEENSH_IJSI_SG_EEENS0_18inequality_wrapperIN6hipcub16HIPCUB_304000_NS8EqualityEEEPlJSF_EEE10hipError_tPvRmT3_T4_T5_T6_T7_T9_mT8_P12ihipStream_tbDpT10_ENKUlT_T0_E_clISt17integral_constantIbLb0EES19_IbLb1EEEEDaS15_S16_EUlS15_E_NS1_11comp_targetILNS1_3genE2ELNS1_11target_archE906ELNS1_3gpuE6ELNS1_3repE0EEENS1_30default_config_static_selectorELNS0_4arch9wavefront6targetE0EEEvT1_,"axG",@progbits,_ZN7rocprim17ROCPRIM_400000_NS6detail17trampoline_kernelINS0_14default_configENS1_25partition_config_selectorILNS1_17partition_subalgoE9EiibEEZZNS1_14partition_implILS5_9ELb0ES3_jPKiN6thrust23THRUST_200600_302600_NS17counting_iteratorIiNSB_11use_defaultESD_SD_EEPNS0_10empty_typeENS0_5tupleIJPiSF_EEENSH_IJSI_SG_EEENS0_18inequality_wrapperIN6hipcub16HIPCUB_304000_NS8EqualityEEEPlJSF_EEE10hipError_tPvRmT3_T4_T5_T6_T7_T9_mT8_P12ihipStream_tbDpT10_ENKUlT_T0_E_clISt17integral_constantIbLb0EES19_IbLb1EEEEDaS15_S16_EUlS15_E_NS1_11comp_targetILNS1_3genE2ELNS1_11target_archE906ELNS1_3gpuE6ELNS1_3repE0EEENS1_30default_config_static_selectorELNS0_4arch9wavefront6targetE0EEEvT1_,comdat
.Lfunc_end40:
	.size	_ZN7rocprim17ROCPRIM_400000_NS6detail17trampoline_kernelINS0_14default_configENS1_25partition_config_selectorILNS1_17partition_subalgoE9EiibEEZZNS1_14partition_implILS5_9ELb0ES3_jPKiN6thrust23THRUST_200600_302600_NS17counting_iteratorIiNSB_11use_defaultESD_SD_EEPNS0_10empty_typeENS0_5tupleIJPiSF_EEENSH_IJSI_SG_EEENS0_18inequality_wrapperIN6hipcub16HIPCUB_304000_NS8EqualityEEEPlJSF_EEE10hipError_tPvRmT3_T4_T5_T6_T7_T9_mT8_P12ihipStream_tbDpT10_ENKUlT_T0_E_clISt17integral_constantIbLb0EES19_IbLb1EEEEDaS15_S16_EUlS15_E_NS1_11comp_targetILNS1_3genE2ELNS1_11target_archE906ELNS1_3gpuE6ELNS1_3repE0EEENS1_30default_config_static_selectorELNS0_4arch9wavefront6targetE0EEEvT1_, .Lfunc_end40-_ZN7rocprim17ROCPRIM_400000_NS6detail17trampoline_kernelINS0_14default_configENS1_25partition_config_selectorILNS1_17partition_subalgoE9EiibEEZZNS1_14partition_implILS5_9ELb0ES3_jPKiN6thrust23THRUST_200600_302600_NS17counting_iteratorIiNSB_11use_defaultESD_SD_EEPNS0_10empty_typeENS0_5tupleIJPiSF_EEENSH_IJSI_SG_EEENS0_18inequality_wrapperIN6hipcub16HIPCUB_304000_NS8EqualityEEEPlJSF_EEE10hipError_tPvRmT3_T4_T5_T6_T7_T9_mT8_P12ihipStream_tbDpT10_ENKUlT_T0_E_clISt17integral_constantIbLb0EES19_IbLb1EEEEDaS15_S16_EUlS15_E_NS1_11comp_targetILNS1_3genE2ELNS1_11target_archE906ELNS1_3gpuE6ELNS1_3repE0EEENS1_30default_config_static_selectorELNS0_4arch9wavefront6targetE0EEEvT1_
                                        ; -- End function
	.set _ZN7rocprim17ROCPRIM_400000_NS6detail17trampoline_kernelINS0_14default_configENS1_25partition_config_selectorILNS1_17partition_subalgoE9EiibEEZZNS1_14partition_implILS5_9ELb0ES3_jPKiN6thrust23THRUST_200600_302600_NS17counting_iteratorIiNSB_11use_defaultESD_SD_EEPNS0_10empty_typeENS0_5tupleIJPiSF_EEENSH_IJSI_SG_EEENS0_18inequality_wrapperIN6hipcub16HIPCUB_304000_NS8EqualityEEEPlJSF_EEE10hipError_tPvRmT3_T4_T5_T6_T7_T9_mT8_P12ihipStream_tbDpT10_ENKUlT_T0_E_clISt17integral_constantIbLb0EES19_IbLb1EEEEDaS15_S16_EUlS15_E_NS1_11comp_targetILNS1_3genE2ELNS1_11target_archE906ELNS1_3gpuE6ELNS1_3repE0EEENS1_30default_config_static_selectorELNS0_4arch9wavefront6targetE0EEEvT1_.num_vgpr, 0
	.set _ZN7rocprim17ROCPRIM_400000_NS6detail17trampoline_kernelINS0_14default_configENS1_25partition_config_selectorILNS1_17partition_subalgoE9EiibEEZZNS1_14partition_implILS5_9ELb0ES3_jPKiN6thrust23THRUST_200600_302600_NS17counting_iteratorIiNSB_11use_defaultESD_SD_EEPNS0_10empty_typeENS0_5tupleIJPiSF_EEENSH_IJSI_SG_EEENS0_18inequality_wrapperIN6hipcub16HIPCUB_304000_NS8EqualityEEEPlJSF_EEE10hipError_tPvRmT3_T4_T5_T6_T7_T9_mT8_P12ihipStream_tbDpT10_ENKUlT_T0_E_clISt17integral_constantIbLb0EES19_IbLb1EEEEDaS15_S16_EUlS15_E_NS1_11comp_targetILNS1_3genE2ELNS1_11target_archE906ELNS1_3gpuE6ELNS1_3repE0EEENS1_30default_config_static_selectorELNS0_4arch9wavefront6targetE0EEEvT1_.num_agpr, 0
	.set _ZN7rocprim17ROCPRIM_400000_NS6detail17trampoline_kernelINS0_14default_configENS1_25partition_config_selectorILNS1_17partition_subalgoE9EiibEEZZNS1_14partition_implILS5_9ELb0ES3_jPKiN6thrust23THRUST_200600_302600_NS17counting_iteratorIiNSB_11use_defaultESD_SD_EEPNS0_10empty_typeENS0_5tupleIJPiSF_EEENSH_IJSI_SG_EEENS0_18inequality_wrapperIN6hipcub16HIPCUB_304000_NS8EqualityEEEPlJSF_EEE10hipError_tPvRmT3_T4_T5_T6_T7_T9_mT8_P12ihipStream_tbDpT10_ENKUlT_T0_E_clISt17integral_constantIbLb0EES19_IbLb1EEEEDaS15_S16_EUlS15_E_NS1_11comp_targetILNS1_3genE2ELNS1_11target_archE906ELNS1_3gpuE6ELNS1_3repE0EEENS1_30default_config_static_selectorELNS0_4arch9wavefront6targetE0EEEvT1_.numbered_sgpr, 0
	.set _ZN7rocprim17ROCPRIM_400000_NS6detail17trampoline_kernelINS0_14default_configENS1_25partition_config_selectorILNS1_17partition_subalgoE9EiibEEZZNS1_14partition_implILS5_9ELb0ES3_jPKiN6thrust23THRUST_200600_302600_NS17counting_iteratorIiNSB_11use_defaultESD_SD_EEPNS0_10empty_typeENS0_5tupleIJPiSF_EEENSH_IJSI_SG_EEENS0_18inequality_wrapperIN6hipcub16HIPCUB_304000_NS8EqualityEEEPlJSF_EEE10hipError_tPvRmT3_T4_T5_T6_T7_T9_mT8_P12ihipStream_tbDpT10_ENKUlT_T0_E_clISt17integral_constantIbLb0EES19_IbLb1EEEEDaS15_S16_EUlS15_E_NS1_11comp_targetILNS1_3genE2ELNS1_11target_archE906ELNS1_3gpuE6ELNS1_3repE0EEENS1_30default_config_static_selectorELNS0_4arch9wavefront6targetE0EEEvT1_.num_named_barrier, 0
	.set _ZN7rocprim17ROCPRIM_400000_NS6detail17trampoline_kernelINS0_14default_configENS1_25partition_config_selectorILNS1_17partition_subalgoE9EiibEEZZNS1_14partition_implILS5_9ELb0ES3_jPKiN6thrust23THRUST_200600_302600_NS17counting_iteratorIiNSB_11use_defaultESD_SD_EEPNS0_10empty_typeENS0_5tupleIJPiSF_EEENSH_IJSI_SG_EEENS0_18inequality_wrapperIN6hipcub16HIPCUB_304000_NS8EqualityEEEPlJSF_EEE10hipError_tPvRmT3_T4_T5_T6_T7_T9_mT8_P12ihipStream_tbDpT10_ENKUlT_T0_E_clISt17integral_constantIbLb0EES19_IbLb1EEEEDaS15_S16_EUlS15_E_NS1_11comp_targetILNS1_3genE2ELNS1_11target_archE906ELNS1_3gpuE6ELNS1_3repE0EEENS1_30default_config_static_selectorELNS0_4arch9wavefront6targetE0EEEvT1_.private_seg_size, 0
	.set _ZN7rocprim17ROCPRIM_400000_NS6detail17trampoline_kernelINS0_14default_configENS1_25partition_config_selectorILNS1_17partition_subalgoE9EiibEEZZNS1_14partition_implILS5_9ELb0ES3_jPKiN6thrust23THRUST_200600_302600_NS17counting_iteratorIiNSB_11use_defaultESD_SD_EEPNS0_10empty_typeENS0_5tupleIJPiSF_EEENSH_IJSI_SG_EEENS0_18inequality_wrapperIN6hipcub16HIPCUB_304000_NS8EqualityEEEPlJSF_EEE10hipError_tPvRmT3_T4_T5_T6_T7_T9_mT8_P12ihipStream_tbDpT10_ENKUlT_T0_E_clISt17integral_constantIbLb0EES19_IbLb1EEEEDaS15_S16_EUlS15_E_NS1_11comp_targetILNS1_3genE2ELNS1_11target_archE906ELNS1_3gpuE6ELNS1_3repE0EEENS1_30default_config_static_selectorELNS0_4arch9wavefront6targetE0EEEvT1_.uses_vcc, 0
	.set _ZN7rocprim17ROCPRIM_400000_NS6detail17trampoline_kernelINS0_14default_configENS1_25partition_config_selectorILNS1_17partition_subalgoE9EiibEEZZNS1_14partition_implILS5_9ELb0ES3_jPKiN6thrust23THRUST_200600_302600_NS17counting_iteratorIiNSB_11use_defaultESD_SD_EEPNS0_10empty_typeENS0_5tupleIJPiSF_EEENSH_IJSI_SG_EEENS0_18inequality_wrapperIN6hipcub16HIPCUB_304000_NS8EqualityEEEPlJSF_EEE10hipError_tPvRmT3_T4_T5_T6_T7_T9_mT8_P12ihipStream_tbDpT10_ENKUlT_T0_E_clISt17integral_constantIbLb0EES19_IbLb1EEEEDaS15_S16_EUlS15_E_NS1_11comp_targetILNS1_3genE2ELNS1_11target_archE906ELNS1_3gpuE6ELNS1_3repE0EEENS1_30default_config_static_selectorELNS0_4arch9wavefront6targetE0EEEvT1_.uses_flat_scratch, 0
	.set _ZN7rocprim17ROCPRIM_400000_NS6detail17trampoline_kernelINS0_14default_configENS1_25partition_config_selectorILNS1_17partition_subalgoE9EiibEEZZNS1_14partition_implILS5_9ELb0ES3_jPKiN6thrust23THRUST_200600_302600_NS17counting_iteratorIiNSB_11use_defaultESD_SD_EEPNS0_10empty_typeENS0_5tupleIJPiSF_EEENSH_IJSI_SG_EEENS0_18inequality_wrapperIN6hipcub16HIPCUB_304000_NS8EqualityEEEPlJSF_EEE10hipError_tPvRmT3_T4_T5_T6_T7_T9_mT8_P12ihipStream_tbDpT10_ENKUlT_T0_E_clISt17integral_constantIbLb0EES19_IbLb1EEEEDaS15_S16_EUlS15_E_NS1_11comp_targetILNS1_3genE2ELNS1_11target_archE906ELNS1_3gpuE6ELNS1_3repE0EEENS1_30default_config_static_selectorELNS0_4arch9wavefront6targetE0EEEvT1_.has_dyn_sized_stack, 0
	.set _ZN7rocprim17ROCPRIM_400000_NS6detail17trampoline_kernelINS0_14default_configENS1_25partition_config_selectorILNS1_17partition_subalgoE9EiibEEZZNS1_14partition_implILS5_9ELb0ES3_jPKiN6thrust23THRUST_200600_302600_NS17counting_iteratorIiNSB_11use_defaultESD_SD_EEPNS0_10empty_typeENS0_5tupleIJPiSF_EEENSH_IJSI_SG_EEENS0_18inequality_wrapperIN6hipcub16HIPCUB_304000_NS8EqualityEEEPlJSF_EEE10hipError_tPvRmT3_T4_T5_T6_T7_T9_mT8_P12ihipStream_tbDpT10_ENKUlT_T0_E_clISt17integral_constantIbLb0EES19_IbLb1EEEEDaS15_S16_EUlS15_E_NS1_11comp_targetILNS1_3genE2ELNS1_11target_archE906ELNS1_3gpuE6ELNS1_3repE0EEENS1_30default_config_static_selectorELNS0_4arch9wavefront6targetE0EEEvT1_.has_recursion, 0
	.set _ZN7rocprim17ROCPRIM_400000_NS6detail17trampoline_kernelINS0_14default_configENS1_25partition_config_selectorILNS1_17partition_subalgoE9EiibEEZZNS1_14partition_implILS5_9ELb0ES3_jPKiN6thrust23THRUST_200600_302600_NS17counting_iteratorIiNSB_11use_defaultESD_SD_EEPNS0_10empty_typeENS0_5tupleIJPiSF_EEENSH_IJSI_SG_EEENS0_18inequality_wrapperIN6hipcub16HIPCUB_304000_NS8EqualityEEEPlJSF_EEE10hipError_tPvRmT3_T4_T5_T6_T7_T9_mT8_P12ihipStream_tbDpT10_ENKUlT_T0_E_clISt17integral_constantIbLb0EES19_IbLb1EEEEDaS15_S16_EUlS15_E_NS1_11comp_targetILNS1_3genE2ELNS1_11target_archE906ELNS1_3gpuE6ELNS1_3repE0EEENS1_30default_config_static_selectorELNS0_4arch9wavefront6targetE0EEEvT1_.has_indirect_call, 0
	.section	.AMDGPU.csdata,"",@progbits
; Kernel info:
; codeLenInByte = 0
; TotalNumSgprs: 0
; NumVgprs: 0
; ScratchSize: 0
; MemoryBound: 0
; FloatMode: 240
; IeeeMode: 1
; LDSByteSize: 0 bytes/workgroup (compile time only)
; SGPRBlocks: 0
; VGPRBlocks: 0
; NumSGPRsForWavesPerEU: 1
; NumVGPRsForWavesPerEU: 1
; Occupancy: 16
; WaveLimiterHint : 0
; COMPUTE_PGM_RSRC2:SCRATCH_EN: 0
; COMPUTE_PGM_RSRC2:USER_SGPR: 2
; COMPUTE_PGM_RSRC2:TRAP_HANDLER: 0
; COMPUTE_PGM_RSRC2:TGID_X_EN: 1
; COMPUTE_PGM_RSRC2:TGID_Y_EN: 0
; COMPUTE_PGM_RSRC2:TGID_Z_EN: 0
; COMPUTE_PGM_RSRC2:TIDIG_COMP_CNT: 0
	.section	.text._ZN7rocprim17ROCPRIM_400000_NS6detail17trampoline_kernelINS0_14default_configENS1_25partition_config_selectorILNS1_17partition_subalgoE9EiibEEZZNS1_14partition_implILS5_9ELb0ES3_jPKiN6thrust23THRUST_200600_302600_NS17counting_iteratorIiNSB_11use_defaultESD_SD_EEPNS0_10empty_typeENS0_5tupleIJPiSF_EEENSH_IJSI_SG_EEENS0_18inequality_wrapperIN6hipcub16HIPCUB_304000_NS8EqualityEEEPlJSF_EEE10hipError_tPvRmT3_T4_T5_T6_T7_T9_mT8_P12ihipStream_tbDpT10_ENKUlT_T0_E_clISt17integral_constantIbLb0EES19_IbLb1EEEEDaS15_S16_EUlS15_E_NS1_11comp_targetILNS1_3genE10ELNS1_11target_archE1200ELNS1_3gpuE4ELNS1_3repE0EEENS1_30default_config_static_selectorELNS0_4arch9wavefront6targetE0EEEvT1_,"axG",@progbits,_ZN7rocprim17ROCPRIM_400000_NS6detail17trampoline_kernelINS0_14default_configENS1_25partition_config_selectorILNS1_17partition_subalgoE9EiibEEZZNS1_14partition_implILS5_9ELb0ES3_jPKiN6thrust23THRUST_200600_302600_NS17counting_iteratorIiNSB_11use_defaultESD_SD_EEPNS0_10empty_typeENS0_5tupleIJPiSF_EEENSH_IJSI_SG_EEENS0_18inequality_wrapperIN6hipcub16HIPCUB_304000_NS8EqualityEEEPlJSF_EEE10hipError_tPvRmT3_T4_T5_T6_T7_T9_mT8_P12ihipStream_tbDpT10_ENKUlT_T0_E_clISt17integral_constantIbLb0EES19_IbLb1EEEEDaS15_S16_EUlS15_E_NS1_11comp_targetILNS1_3genE10ELNS1_11target_archE1200ELNS1_3gpuE4ELNS1_3repE0EEENS1_30default_config_static_selectorELNS0_4arch9wavefront6targetE0EEEvT1_,comdat
	.protected	_ZN7rocprim17ROCPRIM_400000_NS6detail17trampoline_kernelINS0_14default_configENS1_25partition_config_selectorILNS1_17partition_subalgoE9EiibEEZZNS1_14partition_implILS5_9ELb0ES3_jPKiN6thrust23THRUST_200600_302600_NS17counting_iteratorIiNSB_11use_defaultESD_SD_EEPNS0_10empty_typeENS0_5tupleIJPiSF_EEENSH_IJSI_SG_EEENS0_18inequality_wrapperIN6hipcub16HIPCUB_304000_NS8EqualityEEEPlJSF_EEE10hipError_tPvRmT3_T4_T5_T6_T7_T9_mT8_P12ihipStream_tbDpT10_ENKUlT_T0_E_clISt17integral_constantIbLb0EES19_IbLb1EEEEDaS15_S16_EUlS15_E_NS1_11comp_targetILNS1_3genE10ELNS1_11target_archE1200ELNS1_3gpuE4ELNS1_3repE0EEENS1_30default_config_static_selectorELNS0_4arch9wavefront6targetE0EEEvT1_ ; -- Begin function _ZN7rocprim17ROCPRIM_400000_NS6detail17trampoline_kernelINS0_14default_configENS1_25partition_config_selectorILNS1_17partition_subalgoE9EiibEEZZNS1_14partition_implILS5_9ELb0ES3_jPKiN6thrust23THRUST_200600_302600_NS17counting_iteratorIiNSB_11use_defaultESD_SD_EEPNS0_10empty_typeENS0_5tupleIJPiSF_EEENSH_IJSI_SG_EEENS0_18inequality_wrapperIN6hipcub16HIPCUB_304000_NS8EqualityEEEPlJSF_EEE10hipError_tPvRmT3_T4_T5_T6_T7_T9_mT8_P12ihipStream_tbDpT10_ENKUlT_T0_E_clISt17integral_constantIbLb0EES19_IbLb1EEEEDaS15_S16_EUlS15_E_NS1_11comp_targetILNS1_3genE10ELNS1_11target_archE1200ELNS1_3gpuE4ELNS1_3repE0EEENS1_30default_config_static_selectorELNS0_4arch9wavefront6targetE0EEEvT1_
	.globl	_ZN7rocprim17ROCPRIM_400000_NS6detail17trampoline_kernelINS0_14default_configENS1_25partition_config_selectorILNS1_17partition_subalgoE9EiibEEZZNS1_14partition_implILS5_9ELb0ES3_jPKiN6thrust23THRUST_200600_302600_NS17counting_iteratorIiNSB_11use_defaultESD_SD_EEPNS0_10empty_typeENS0_5tupleIJPiSF_EEENSH_IJSI_SG_EEENS0_18inequality_wrapperIN6hipcub16HIPCUB_304000_NS8EqualityEEEPlJSF_EEE10hipError_tPvRmT3_T4_T5_T6_T7_T9_mT8_P12ihipStream_tbDpT10_ENKUlT_T0_E_clISt17integral_constantIbLb0EES19_IbLb1EEEEDaS15_S16_EUlS15_E_NS1_11comp_targetILNS1_3genE10ELNS1_11target_archE1200ELNS1_3gpuE4ELNS1_3repE0EEENS1_30default_config_static_selectorELNS0_4arch9wavefront6targetE0EEEvT1_
	.p2align	8
	.type	_ZN7rocprim17ROCPRIM_400000_NS6detail17trampoline_kernelINS0_14default_configENS1_25partition_config_selectorILNS1_17partition_subalgoE9EiibEEZZNS1_14partition_implILS5_9ELb0ES3_jPKiN6thrust23THRUST_200600_302600_NS17counting_iteratorIiNSB_11use_defaultESD_SD_EEPNS0_10empty_typeENS0_5tupleIJPiSF_EEENSH_IJSI_SG_EEENS0_18inequality_wrapperIN6hipcub16HIPCUB_304000_NS8EqualityEEEPlJSF_EEE10hipError_tPvRmT3_T4_T5_T6_T7_T9_mT8_P12ihipStream_tbDpT10_ENKUlT_T0_E_clISt17integral_constantIbLb0EES19_IbLb1EEEEDaS15_S16_EUlS15_E_NS1_11comp_targetILNS1_3genE10ELNS1_11target_archE1200ELNS1_3gpuE4ELNS1_3repE0EEENS1_30default_config_static_selectorELNS0_4arch9wavefront6targetE0EEEvT1_,@function
_ZN7rocprim17ROCPRIM_400000_NS6detail17trampoline_kernelINS0_14default_configENS1_25partition_config_selectorILNS1_17partition_subalgoE9EiibEEZZNS1_14partition_implILS5_9ELb0ES3_jPKiN6thrust23THRUST_200600_302600_NS17counting_iteratorIiNSB_11use_defaultESD_SD_EEPNS0_10empty_typeENS0_5tupleIJPiSF_EEENSH_IJSI_SG_EEENS0_18inequality_wrapperIN6hipcub16HIPCUB_304000_NS8EqualityEEEPlJSF_EEE10hipError_tPvRmT3_T4_T5_T6_T7_T9_mT8_P12ihipStream_tbDpT10_ENKUlT_T0_E_clISt17integral_constantIbLb0EES19_IbLb1EEEEDaS15_S16_EUlS15_E_NS1_11comp_targetILNS1_3genE10ELNS1_11target_archE1200ELNS1_3gpuE4ELNS1_3repE0EEENS1_30default_config_static_selectorELNS0_4arch9wavefront6targetE0EEEvT1_: ; @_ZN7rocprim17ROCPRIM_400000_NS6detail17trampoline_kernelINS0_14default_configENS1_25partition_config_selectorILNS1_17partition_subalgoE9EiibEEZZNS1_14partition_implILS5_9ELb0ES3_jPKiN6thrust23THRUST_200600_302600_NS17counting_iteratorIiNSB_11use_defaultESD_SD_EEPNS0_10empty_typeENS0_5tupleIJPiSF_EEENSH_IJSI_SG_EEENS0_18inequality_wrapperIN6hipcub16HIPCUB_304000_NS8EqualityEEEPlJSF_EEE10hipError_tPvRmT3_T4_T5_T6_T7_T9_mT8_P12ihipStream_tbDpT10_ENKUlT_T0_E_clISt17integral_constantIbLb0EES19_IbLb1EEEEDaS15_S16_EUlS15_E_NS1_11comp_targetILNS1_3genE10ELNS1_11target_archE1200ELNS1_3gpuE4ELNS1_3repE0EEENS1_30default_config_static_selectorELNS0_4arch9wavefront6targetE0EEEvT1_
; %bb.0:
	s_clause 0x2
	s_load_b128 s[12:15], s[0:1], 0x40
	s_load_b64 s[8:9], s[0:1], 0x50
	s_load_b64 s[20:21], s[0:1], 0x60
	v_cmp_ne_u32_e64 s3, 0, v0
	v_cmp_eq_u32_e64 s2, 0, v0
	s_and_saveexec_b32 s4, s2
	s_cbranch_execz .LBB41_4
; %bb.1:
	s_mov_b32 s6, exec_lo
	s_mov_b32 s5, exec_lo
	v_mbcnt_lo_u32_b32 v1, s6, 0
                                        ; implicit-def: $vgpr2
	s_delay_alu instid0(VALU_DEP_1)
	v_cmpx_eq_u32_e32 0, v1
	s_cbranch_execz .LBB41_3
; %bb.2:
	s_load_b64 s[10:11], s[0:1], 0x70
	s_bcnt1_i32_b32 s6, s6
	s_wait_alu 0xfffe
	v_dual_mov_b32 v2, 0 :: v_dual_mov_b32 v3, s6
	s_wait_kmcnt 0x0
	global_atomic_add_u32 v2, v2, v3, s[10:11] th:TH_ATOMIC_RETURN scope:SCOPE_DEV
.LBB41_3:
	s_or_b32 exec_lo, exec_lo, s5
	s_wait_loadcnt 0x0
	v_readfirstlane_b32 s5, v2
	s_delay_alu instid0(VALU_DEP_1)
	v_dual_mov_b32 v2, 0 :: v_dual_add_nc_u32 v1, s5, v1
	ds_store_b32 v2, v1
.LBB41_4:
	s_or_b32 exec_lo, exec_lo, s4
	v_dual_mov_b32 v1, 0 :: v_dual_lshlrev_b32 v34, 2, v0
	s_clause 0x3
	s_load_b128 s[4:7], s[0:1], 0x8
	s_load_b32 s24, s[0:1], 0x18
	s_load_b128 s[16:19], s[0:1], 0x28
	s_load_b32 s0, s[0:1], 0x68
	s_wait_dscnt 0x0
	s_barrier_signal -1
	s_barrier_wait -1
	global_inv scope:SCOPE_SE
	ds_load_b32 v3, v1
	s_wait_loadcnt_dscnt 0x0
	s_barrier_signal -1
	s_barrier_wait -1
	global_inv scope:SCOPE_SE
	s_wait_kmcnt 0x0
	global_load_b64 v[1:2], v1, s[14:15]
	s_mov_b32 s1, 0
	s_mov_b32 s25, -1
	s_lshl_b64 s[10:11], s[6:7], 2
	s_delay_alu instid0(SALU_CYCLE_1)
	s_add_nc_u64 s[26:27], s[4:5], s[10:11]
	s_add_co_i32 s14, s0, -1
	s_mulk_i32 s0, 0xa80
	s_mov_b32 s5, s1
	s_add_nc_u64 s[22:23], s[6:7], s[0:1]
	s_add_co_i32 s0, s0, s6
	v_readfirstlane_b32 s15, v3
	v_cmp_le_u64_e64 s23, s[8:9], s[22:23]
	s_sub_co_i32 s22, s8, s0
	s_cmp_eq_u32 s15, s14
	s_mul_i32 s4, s15, 0xa80
	s_cselect_b32 s9, -1, 0
	s_wait_alu 0xfffe
	s_lshl_b64 s[0:1], s[4:5], 2
	s_and_b32 s23, s23, s9
	s_add_nc_u64 s[0:1], s[26:27], s[0:1]
	s_wait_alu 0xfffe
	s_xor_b32 s14, s23, -1
	s_delay_alu instid0(SALU_CYCLE_1)
	s_and_b32 vcc_lo, exec_lo, s14
	s_wait_loadcnt 0x0
	v_readfirstlane_b32 s10, v1
	v_readfirstlane_b32 s11, v2
	s_cbranch_vccz .LBB41_6
; %bb.5:
	v_lshlrev_b32_e32 v1, 2, v0
	s_mov_b32 s25, 0
	s_clause 0x6
	global_load_b32 v2, v1, s[0:1]
	global_load_b32 v3, v1, s[0:1] offset:1536
	global_load_b32 v4, v1, s[0:1] offset:3072
	global_load_b32 v5, v1, s[0:1] offset:4608
	global_load_b32 v6, v1, s[0:1] offset:6144
	global_load_b32 v7, v1, s[0:1] offset:7680
	global_load_b32 v8, v1, s[0:1] offset:9216
	s_wait_loadcnt 0x5
	ds_store_2addr_stride64_b32 v1, v2, v3 offset1:6
	s_wait_loadcnt 0x3
	ds_store_2addr_stride64_b32 v1, v4, v5 offset0:12 offset1:18
	s_wait_loadcnt 0x1
	ds_store_2addr_stride64_b32 v1, v6, v7 offset0:24 offset1:30
	s_wait_loadcnt 0x0
	ds_store_b32 v1, v8 offset:9216
	s_wait_dscnt 0x0
	s_barrier_signal -1
	s_barrier_wait -1
.LBB41_6:
	s_and_not1_b32 vcc_lo, exec_lo, s25
	s_addk_co_i32 s22, 0xa80
	s_cbranch_vccnz .LBB41_22
; %bb.7:
	v_mov_b32_e32 v1, 0
	s_mov_b32 s5, exec_lo
	s_delay_alu instid0(VALU_DEP_1)
	v_dual_mov_b32 v2, v1 :: v_dual_mov_b32 v3, v1
	v_dual_mov_b32 v4, v1 :: v_dual_mov_b32 v5, v1
	;; [unrolled: 1-line block ×3, first 2 shown]
	s_wait_alu 0xfffe
	v_cmpx_gt_u32_e64 s22, v0
	s_cbranch_execz .LBB41_9
; %bb.8:
	v_dual_mov_b32 v3, v1 :: v_dual_lshlrev_b32 v2, 2, v0
	v_mov_b32_e32 v8, v1
	v_dual_mov_b32 v4, v1 :: v_dual_mov_b32 v5, v1
	global_load_b32 v2, v2, s[0:1]
	v_dual_mov_b32 v6, v1 :: v_dual_mov_b32 v7, v1
	s_wait_loadcnt 0x0
	v_mov_b32_e32 v1, v2
	v_mov_b32_e32 v2, v3
	;; [unrolled: 1-line block ×7, first 2 shown]
.LBB41_9:
	s_or_b32 exec_lo, exec_lo, s5
	v_add_nc_u32_e32 v8, 0x180, v0
	s_mov_b32 s5, exec_lo
	s_delay_alu instid0(VALU_DEP_1)
	v_cmpx_gt_u32_e64 s22, v8
	s_cbranch_execz .LBB41_11
; %bb.10:
	v_lshlrev_b32_e32 v2, 2, v0
	global_load_b32 v2, v2, s[0:1] offset:1536
.LBB41_11:
	s_wait_alu 0xfffe
	s_or_b32 exec_lo, exec_lo, s5
	v_add_nc_u32_e32 v8, 0x300, v0
	s_mov_b32 s5, exec_lo
	s_delay_alu instid0(VALU_DEP_1)
	v_cmpx_gt_u32_e64 s22, v8
	s_cbranch_execz .LBB41_13
; %bb.12:
	v_lshlrev_b32_e32 v3, 2, v0
	global_load_b32 v3, v3, s[0:1] offset:3072
.LBB41_13:
	s_wait_alu 0xfffe
	;; [unrolled: 11-line block ×3, first 2 shown]
	s_or_b32 exec_lo, exec_lo, s5
	v_or_b32_e32 v8, 0x600, v0
	s_mov_b32 s5, exec_lo
	s_delay_alu instid0(VALU_DEP_1)
	v_cmpx_gt_u32_e64 s22, v8
	s_cbranch_execz .LBB41_17
; %bb.16:
	v_lshlrev_b32_e32 v5, 2, v0
	global_load_b32 v5, v5, s[0:1] offset:6144
.LBB41_17:
	s_wait_alu 0xfffe
	s_or_b32 exec_lo, exec_lo, s5
	v_add_nc_u32_e32 v8, 0x780, v0
	s_mov_b32 s5, exec_lo
	s_delay_alu instid0(VALU_DEP_1)
	v_cmpx_gt_u32_e64 s22, v8
	s_cbranch_execz .LBB41_19
; %bb.18:
	v_lshlrev_b32_e32 v6, 2, v0
	global_load_b32 v6, v6, s[0:1] offset:7680
.LBB41_19:
	s_wait_alu 0xfffe
	s_or_b32 exec_lo, exec_lo, s5
	v_add_nc_u32_e32 v8, 0x900, v0
	s_mov_b32 s5, exec_lo
	s_delay_alu instid0(VALU_DEP_1)
	v_cmpx_gt_u32_e64 s22, v8
	s_cbranch_execz .LBB41_21
; %bb.20:
	v_lshlrev_b32_e32 v7, 2, v0
	global_load_b32 v7, v7, s[0:1] offset:9216
.LBB41_21:
	s_wait_alu 0xfffe
	s_or_b32 exec_lo, exec_lo, s5
	v_lshlrev_b32_e32 v8, 2, v0
	s_wait_loadcnt 0x0
	ds_store_2addr_stride64_b32 v8, v1, v2 offset1:6
	ds_store_2addr_stride64_b32 v8, v3, v4 offset0:12 offset1:18
	ds_store_2addr_stride64_b32 v8, v5, v6 offset0:24 offset1:30
	ds_store_b32 v8, v7 offset:9216
	s_wait_dscnt 0x0
	s_barrier_signal -1
	s_barrier_wait -1
.LBB41_22:
	v_mul_u32_u24_e32 v20, 7, v0
	global_inv scope:SCOPE_SE
	s_add_co_i32 s5, s24, s6
	s_and_b32 vcc_lo, exec_lo, s14
	s_wait_alu 0xfffe
	s_add_co_i32 s5, s5, s4
	v_lshlrev_b32_e32 v5, 2, v20
	s_wait_alu 0xfffe
	v_add_nc_u32_e32 v1, s5, v0
	s_mov_b32 s4, -1
	ds_load_2addr_b32 v[11:12], v5 offset0:2 offset1:3
	ds_load_2addr_b32 v[13:14], v5 offset1:1
	ds_load_2addr_b32 v[9:10], v5 offset0:3 offset1:4
	ds_load_2addr_b32 v[18:19], v5 offset0:1 offset1:2
	;; [unrolled: 1-line block ×3, first 2 shown]
	v_add_nc_u32_e32 v2, 0x180, v1
	v_add_nc_u32_e32 v3, 0x300, v1
	;; [unrolled: 1-line block ×6, first 2 shown]
	s_wait_loadcnt_dscnt 0x0
	s_barrier_signal -1
	s_barrier_wait -1
	global_inv scope:SCOPE_SE
	s_cbranch_vccz .LBB41_24
; %bb.23:
	v_lshlrev_b32_e32 v17, 2, v0
	s_mov_b32 s4, 0
	ds_store_2addr_stride64_b32 v17, v1, v2 offset1:6
	ds_store_2addr_stride64_b32 v17, v3, v4 offset0:12 offset1:18
	ds_store_2addr_stride64_b32 v17, v6, v15 offset0:24 offset1:30
	ds_store_b32 v17, v16 offset:9216
	s_wait_loadcnt_dscnt 0x0
	s_barrier_signal -1
	s_barrier_wait -1
.LBB41_24:
	v_mad_i32_i24 v21, 0xffffffe8, v0, v5
	s_wait_alu 0xfffe
	s_and_not1_b32 vcc_lo, exec_lo, s4
	s_cbranch_vccnz .LBB41_26
; %bb.25:
	ds_store_2addr_stride64_b32 v21, v1, v2 offset1:6
	ds_store_2addr_stride64_b32 v21, v3, v4 offset0:12 offset1:18
	ds_store_2addr_stride64_b32 v21, v6, v15 offset0:24 offset1:30
	ds_store_b32 v21, v16 offset:9216
	s_wait_loadcnt_dscnt 0x0
	s_barrier_signal -1
	s_barrier_wait -1
.LBB41_26:
	s_wait_loadcnt 0x0
	global_inv scope:SCOPE_SE
	ds_load_b32 v35, v5 offset:24
	ds_load_2addr_b32 v[1:2], v5 offset0:4 offset1:5
	ds_load_2addr_b32 v[3:4], v5 offset0:2 offset1:3
	ds_load_2addr_b32 v[5:6], v5 offset1:1
	s_cmp_lg_u32 s15, 0
	s_mov_b32 s8, 0
	s_cselect_b32 s24, -1, 0
	s_cmp_lg_u64 s[6:7], 0
	s_wait_loadcnt_dscnt 0x0
	s_cselect_b32 s4, -1, 0
	s_barrier_signal -1
	s_wait_alu 0xfffe
	s_or_b32 s4, s4, s24
	s_barrier_wait -1
	s_wait_alu 0xfffe
	s_and_b32 vcc_lo, exec_lo, s4
	global_inv scope:SCOPE_SE
	s_cbranch_vccz .LBB41_31
; %bb.27:
	v_dual_mov_b32 v15, 0 :: v_dual_lshlrev_b32 v16, 2, v0
	s_and_b32 vcc_lo, exec_lo, s14
	global_load_b32 v15, v15, s[0:1] offset:-4
	ds_store_b32 v16, v8
	s_cbranch_vccz .LBB41_33
; %bb.28:
	s_wait_loadcnt 0x0
	v_mov_b32_e32 v17, v15
	s_wait_dscnt 0x0
	s_barrier_signal -1
	s_barrier_wait -1
	global_inv scope:SCOPE_SE
	s_and_saveexec_b32 s0, s3
; %bb.29:
	v_add_nc_u32_e32 v17, -4, v16
	ds_load_b32 v17, v17
; %bb.30:
	s_or_b32 exec_lo, exec_lo, s0
	v_cmp_ne_u32_e32 vcc_lo, v11, v12
	s_wait_dscnt 0x0
	v_cmp_ne_u32_e64 s0, v17, v13
	v_cndmask_b32_e64 v22, 0, 1, vcc_lo
	v_cmp_ne_u32_e32 vcc_lo, v14, v11
	s_delay_alu instid0(VALU_DEP_2) | instskip(SKIP_3) | instid1(VALU_DEP_2)
	v_lshlrev_b16 v22, 8, v22
	s_wait_alu 0xfffd
	v_cndmask_b32_e64 v23, 0, 1, vcc_lo
	v_cmp_ne_u32_e32 vcc_lo, v13, v14
	v_or_b32_e32 v22, v23, v22
	s_wait_alu 0xfffd
	v_cndmask_b32_e64 v24, 0, 1, vcc_lo
	v_cmp_ne_u32_e32 vcc_lo, v7, v8
	s_delay_alu instid0(VALU_DEP_3) | instskip(NEXT) | instid1(VALU_DEP_3)
	v_lshlrev_b32_e32 v22, 16, v22
	v_lshlrev_b16 v24, 8, v24
	s_wait_alu 0xfffd
	v_cndmask_b32_e64 v36, 0, 1, vcc_lo
	v_cmp_ne_u32_e32 vcc_lo, v10, v7
	s_delay_alu instid0(VALU_DEP_3) | instskip(SKIP_3) | instid1(VALU_DEP_3)
	v_and_b32_e32 v24, 0xffff, v24
	s_wait_alu 0xfffd
	v_cndmask_b32_e64 v37, 0, 1, vcc_lo
	v_cmp_ne_u32_e32 vcc_lo, v12, v10
	v_or_b32_e32 v22, v24, v22
	s_wait_alu 0xfffd
	v_cndmask_b32_e64 v23, 0, 1, vcc_lo
	s_branch .LBB41_37
.LBB41_31:
                                        ; implicit-def: $sgpr0
                                        ; implicit-def: $vgpr36
                                        ; implicit-def: $vgpr37
                                        ; implicit-def: $vgpr23
                                        ; implicit-def: $vgpr22
	s_branch .LBB41_38
.LBB41_32:
                                        ; implicit-def: $vgpr15
                                        ; implicit-def: $vgpr39
                                        ; implicit-def: $vgpr38
                                        ; implicit-def: $vgpr17
	s_branch .LBB41_46
.LBB41_33:
                                        ; implicit-def: $sgpr0
                                        ; implicit-def: $vgpr36
                                        ; implicit-def: $vgpr37
                                        ; implicit-def: $vgpr23
                                        ; implicit-def: $vgpr22
	s_cbranch_execz .LBB41_37
; %bb.34:
	s_wait_loadcnt_dscnt 0x0
	s_barrier_signal -1
	s_barrier_wait -1
	global_inv scope:SCOPE_SE
	s_and_saveexec_b32 s0, s3
; %bb.35:
	v_add_nc_u32_e32 v15, -4, v16
	ds_load_b32 v15, v15
; %bb.36:
	s_or_b32 exec_lo, exec_lo, s0
	v_add_nc_u32_e32 v17, 3, v20
	v_add_nc_u32_e32 v16, 6, v20
	v_cmp_ne_u32_e64 s4, v11, v12
	v_add_nc_u32_e32 v23, 2, v20
	v_cmp_ne_u32_e64 s7, v14, v11
	v_cmp_gt_u32_e64 s1, s22, v17
	v_cmp_gt_u32_e64 s0, s22, v16
	v_add_nc_u32_e32 v16, 1, v20
	v_cmp_gt_u32_e64 s6, s22, v23
	v_add_nc_u32_e32 v22, 5, v20
	s_and_b32 s1, s1, s4
	v_cmp_ne_u32_e64 s4, v13, v14
	v_cndmask_b32_e64 v17, 0, 1, s1
	v_cmp_gt_u32_e64 s1, s22, v16
	s_and_b32 s6, s6, s7
	v_cmp_ne_u32_e32 vcc_lo, v7, v8
	v_cmp_gt_u32_e64 s5, s22, v22
	s_wait_alu 0xfffe
	v_cndmask_b32_e64 v16, 0, 1, s6
	s_and_b32 s1, s1, s4
	v_lshlrev_b16 v17, 8, v17
	s_wait_alu 0xfffe
	v_cndmask_b32_e64 v22, 0, 1, s1
	v_cmp_ne_u32_e64 s8, v10, v7
	v_add_nc_u32_e32 v23, 4, v20
	s_and_b32 s0, s0, vcc_lo
	v_or_b32_e32 v16, v16, v17
	v_lshlrev_b16 v17, 8, v22
	s_wait_alu 0xfffe
	v_cndmask_b32_e64 v36, 0, 1, s0
	s_and_b32 s0, s5, s8
	v_cmp_gt_u32_e32 vcc_lo, s22, v23
	s_wait_alu 0xfffe
	v_cndmask_b32_e64 v37, 0, 1, s0
	v_cmp_ne_u32_e64 s0, v12, v10
	v_lshlrev_b32_e32 v16, 16, v16
	v_and_b32_e32 v17, 0xffff, v17
	v_cmp_gt_u32_e64 s1, s22, v20
	s_wait_dscnt 0x0
	v_cmp_ne_u32_e64 s4, v15, v13
	s_and_b32 s0, vcc_lo, s0
	s_wait_alu 0xfffe
	v_cndmask_b32_e64 v23, 0, 1, s0
	v_or_b32_e32 v22, v17, v16
	s_and_b32 s0, s1, s4
.LBB41_37:
	s_mov_b32 s8, -1
	s_cbranch_execnz .LBB41_32
.LBB41_38:
	v_cmp_ne_u32_e64 s0, v7, v8
	v_cmp_ne_u32_e64 s1, v10, v7
	;; [unrolled: 1-line block ×3, first 2 shown]
	s_and_b32 vcc_lo, exec_lo, s14
	ds_store_b32 v21, v8
	s_wait_alu 0xfffe
	s_cbranch_vccz .LBB41_42
; %bb.39:
	v_cmp_ne_u32_e32 vcc_lo, v13, v14
	s_wait_alu 0xf1ff
	v_cndmask_b32_e64 v36, 0, 1, s0
	v_cndmask_b32_e64 v37, 0, 1, s1
	;; [unrolled: 1-line block ×3, first 2 shown]
	s_wait_loadcnt 0x0
	v_mov_b32_e32 v15, 1
	s_wait_alu 0xfffd
	v_cndmask_b32_e64 v39, 0, 1, vcc_lo
	v_cmp_ne_u32_e32 vcc_lo, v14, v11
	s_wait_dscnt 0x0
	s_barrier_signal -1
	s_barrier_wait -1
	global_inv scope:SCOPE_SE
	s_wait_alu 0xfffd
	v_cndmask_b32_e64 v38, 0, 1, vcc_lo
	v_cmp_ne_u32_e32 vcc_lo, v11, v12
                                        ; implicit-def: $sgpr0
                                        ; implicit-def: $vgpr22
	s_wait_alu 0xfffd
	v_cndmask_b32_e64 v17, 0, 1, vcc_lo
	s_and_saveexec_b32 s1, s3
	s_wait_alu 0xfffe
	s_xor_b32 s1, exec_lo, s1
	s_cbranch_execz .LBB41_41
; %bb.40:
	v_add_nc_u32_e32 v22, -4, v21
	v_lshlrev_b16 v23, 8, v17
	v_lshlrev_b16 v24, 8, v39
	s_or_b32 s8, s8, exec_lo
	ds_load_b32 v22, v22
	v_or_b32_e32 v23, v38, v23
	v_or_b32_e32 v24, 1, v24
	s_delay_alu instid0(VALU_DEP_2) | instskip(NEXT) | instid1(VALU_DEP_2)
	v_lshlrev_b32_e32 v23, 16, v23
	v_and_b32_e32 v24, 0xffff, v24
	s_delay_alu instid0(VALU_DEP_1) | instskip(SKIP_2) | instid1(VALU_DEP_2)
	v_or_b32_e32 v23, v24, v23
	s_wait_dscnt 0x0
	v_cmp_ne_u32_e64 s0, v22, v13
	v_perm_b32 v22, v23, v23, 0x3020104
.LBB41_41:
	s_wait_alu 0xfffe
	s_or_b32 exec_lo, exec_lo, s1
	v_mov_b32_e32 v23, v16
	s_branch .LBB41_46
.LBB41_42:
                                        ; implicit-def: $sgpr0
                                        ; implicit-def: $vgpr36
                                        ; implicit-def: $vgpr37
                                        ; implicit-def: $vgpr23
                                        ; implicit-def: $vgpr22
                                        ; implicit-def: $vgpr15
                                        ; implicit-def: $vgpr39
                                        ; implicit-def: $vgpr38
                                        ; implicit-def: $vgpr17
	s_cbranch_execz .LBB41_46
; %bb.43:
	v_add_nc_u32_e32 v16, 4, v20
	s_wait_loadcnt 0x0
	v_add_nc_u32_e32 v15, 6, v20
	v_cmp_ne_u32_e64 s0, v12, v10
	v_add_nc_u32_e32 v17, 2, v20
	v_cmp_ne_u32_e64 s5, v14, v19
	v_cmp_gt_u32_e64 s4, s22, v16
	v_cmp_gt_u32_e64 s1, s22, v15
	v_add_nc_u32_e32 v15, 3, v20
	v_cmp_ne_u32_e64 s6, v11, v9
	v_cmp_gt_u32_e64 s7, s22, v17
	s_and_b32 s0, s4, s0
	v_cmp_ne_u32_e32 vcc_lo, v7, v8
	s_wait_alu 0xfffe
	v_cndmask_b32_e64 v24, 0, 1, s0
	v_cmp_gt_u32_e64 s0, s22, v15
	s_and_b32 s4, s7, s5
	v_add_nc_u32_e32 v9, 5, v20
	s_wait_alu 0xfffe
	v_cndmask_b32_e64 v25, 0, 1, s4
	v_lshlrev_b16 v15, 8, v24
	s_and_b32 s0, s0, s6
	v_add_nc_u32_e32 v16, 1, v20
	s_wait_alu 0xfffe
	v_cndmask_b32_e64 v26, 0, 1, s0
	s_and_b32 s0, s1, vcc_lo
	v_cmp_gt_u32_e32 vcc_lo, s22, v9
	v_lshlrev_b16 v9, 8, v25
	s_wait_alu 0xfffe
	v_cndmask_b32_e64 v36, 0, 1, s0
	v_or_b32_e32 v17, v26, v15
	v_cmp_ne_u32_e64 s0, v10, v7
	v_cmp_ne_u32_e64 s1, v13, v18
	v_cmp_gt_u32_e64 s4, s22, v16
	v_and_b32_e32 v15, 0xffff, v9
	v_lshlrev_b32_e32 v16, 16, v17
	s_and_b32 s0, vcc_lo, s0
	s_wait_dscnt 0x0
	s_wait_alu 0xfffe
	v_cndmask_b32_e64 v37, 0, 1, s0
	s_and_b32 s0, s4, s1
	v_or_b32_e32 v18, v15, v16
	s_wait_alu 0xfffe
	v_cndmask_b32_e64 v19, 0, 1, s0
	v_mov_b32_e32 v15, 1
	s_barrier_signal -1
	s_barrier_wait -1
	global_inv scope:SCOPE_SE
                                        ; implicit-def: $sgpr0
                                        ; implicit-def: $vgpr23
                                        ; implicit-def: $vgpr22
	s_and_saveexec_b32 s1, s3
	s_cbranch_execz .LBB41_45
; %bb.44:
	v_lshlrev_b16 v22, 8, v26
	v_lshlrev_b16 v23, 8, v19
	v_add_nc_u32_e32 v21, -4, v21
	v_lshlrev_b16 v26, 8, v37
	v_cmp_gt_u32_e32 vcc_lo, s22, v20
	v_lshrrev_b32_e32 v22, 8, v22
	v_lshrrev_b32_e32 v23, 8, v23
	ds_load_b32 v21, v21
	v_or_b32_e32 v24, v24, v26
	s_or_b32 s8, s8, exec_lo
	v_lshlrev_b16 v22, 8, v22
	v_lshlrev_b16 v23, 8, v23
	s_delay_alu instid0(VALU_DEP_3) | instskip(NEXT) | instid1(VALU_DEP_3)
	v_and_b32_e32 v24, 0xffff, v24
	v_or_b32_e32 v22, v25, v22
	s_delay_alu instid0(VALU_DEP_3) | instskip(NEXT) | instid1(VALU_DEP_2)
	v_or_b32_e32 v23, 1, v23
	v_lshlrev_b32_e32 v22, 16, v22
	s_delay_alu instid0(VALU_DEP_2) | instskip(NEXT) | instid1(VALU_DEP_1)
	v_and_b32_e32 v23, 0xffff, v23
	v_or_b32_e32 v22, v23, v22
	s_wait_dscnt 0x0
	v_cmp_ne_u32_e64 s0, v21, v13
	v_lshl_or_b32 v23, v36, 16, v24
	s_delay_alu instid0(VALU_DEP_3)
	v_perm_b32 v22, v22, v22, 0x3020104
	s_and_b32 s0, vcc_lo, s0
.LBB41_45:
	s_wait_alu 0xfffe
	s_or_b32 exec_lo, exec_lo, s1
	v_or_b32_e32 v39, v19, v9
	v_lshrrev_b32_e32 v16, 24, v16
	v_lshrrev_b32_e32 v38, 8, v18
.LBB41_46:
	s_wait_alu 0xfffe
	s_and_saveexec_b32 s1, s8
	s_cbranch_execz .LBB41_48
; %bb.47:
	v_lshrrev_b32_e32 v17, 24, v22
	v_lshrrev_b32_e32 v38, 16, v22
	;; [unrolled: 1-line block ×3, first 2 shown]
	s_wait_loadcnt 0x0
	v_cndmask_b32_e64 v15, 0, 1, s0
	v_mov_b32_e32 v16, v23
.LBB41_48:
	s_wait_alu 0xfffe
	s_or_b32 exec_lo, exec_lo, s1
	s_delay_alu instid0(SALU_CYCLE_1)
	s_and_not1_b32 vcc_lo, exec_lo, s23
	s_wait_alu 0xfffe
	s_cbranch_vccnz .LBB41_52
; %bb.49:
	s_wait_loadcnt 0x0
	v_perm_b32 v9, v15, v39, 0xc0c0004
	v_perm_b32 v15, v38, v17, 0xc0c0004
	v_cmp_gt_u32_e32 vcc_lo, s22, v20
	v_and_b32_e32 v17, 0xff, v36
	v_perm_b32 v16, v16, v37, 0xc0c0004
	v_add_nc_u32_e32 v18, 1, v20
	v_lshl_or_b32 v9, v15, 16, v9
	s_delay_alu instid0(VALU_DEP_4) | instskip(SKIP_1) | instid1(VALU_DEP_2)
	v_lshlrev_b32_e32 v17, 16, v17
	s_wait_alu 0xfffd
	v_cndmask_b32_e32 v15, 0, v9, vcc_lo
	v_cmp_gt_u32_e32 vcc_lo, s22, v18
	s_delay_alu instid0(VALU_DEP_3) | instskip(SKIP_3) | instid1(VALU_DEP_4)
	v_or_b32_e32 v16, v16, v17
	v_add_nc_u32_e32 v17, 2, v20
	v_add_nc_u32_e32 v18, 4, v20
	v_and_b32_e32 v15, 0xff, v15
	v_and_b32_e32 v19, 0xffff00, v16
	s_wait_alu 0xfffd
	s_delay_alu instid0(VALU_DEP_2) | instskip(SKIP_1) | instid1(VALU_DEP_2)
	v_cndmask_b32_e32 v15, v15, v9, vcc_lo
	v_cmp_gt_u32_e32 vcc_lo, s22, v17
	v_and_b32_e32 v15, 0xffff, v15
	s_wait_alu 0xfffd
	s_delay_alu instid0(VALU_DEP_1) | instskip(SKIP_2) | instid1(VALU_DEP_3)
	v_cndmask_b32_e32 v15, v15, v9, vcc_lo
	v_cmp_gt_u32_e32 vcc_lo, s22, v18
	v_add_nc_u32_e32 v18, 5, v20
	v_and_b32_e32 v15, 0xffffff, v15
	s_wait_alu 0xfffd
	v_cndmask_b32_e32 v17, v19, v16, vcc_lo
	v_add_nc_u32_e32 v19, 3, v20
	v_cmp_gt_u32_e64 s0, s22, v18
	s_delay_alu instid0(VALU_DEP_3) | instskip(NEXT) | instid1(VALU_DEP_3)
	v_and_b32_e32 v17, 0xffff00ff, v17
	v_cmp_gt_u32_e64 s1, s22, v19
	s_or_b32 vcc_lo, s0, vcc_lo
	v_cndmask_b32_e64 v16, v17, v16, s0
	v_cndmask_b32_e64 v15, v15, v9, s1
	s_mov_b32 s0, exec_lo
	s_delay_alu instid0(VALU_DEP_2) | instskip(SKIP_1) | instid1(VALU_DEP_2)
	v_lshrrev_b32_e32 v36, 16, v16
	s_wait_alu 0xfffe
	v_cndmask_b32_e32 v15, v15, v9, vcc_lo
	v_add_nc_u32_e32 v9, 6, v20
	v_lshrrev_b32_e32 v37, 8, v16
	s_delay_alu instid0(VALU_DEP_3)
	v_lshrrev_b64 v[17:18], 24, v[15:16]
	v_lshrrev_b32_e32 v38, 16, v15
	v_lshrrev_b32_e32 v39, 8, v15
	v_cmpx_le_u32_e64 s22, v9
; %bb.50:
	v_mov_b32_e32 v36, 0
; %bb.51:
	s_or_b32 exec_lo, exec_lo, s0
.LBB41_52:
	s_wait_loadcnt 0x0
	v_and_b32_e32 v27, 0xff, v15
	v_and_b32_e32 v29, 0xff, v39
	;; [unrolled: 1-line block ×6, first 2 shown]
	v_mbcnt_lo_u32_b32 v42, -1, 0
	v_add3_u32 v9, v29, v27, v31
	v_and_b32_e32 v41, 0xff, v37
	v_and_b32_e32 v18, 0xff, v36
	v_min_u32_e32 v19, 0x160, v19
	v_and_b32_e32 v20, 15, v42
	v_add3_u32 v9, v9, v33, v40
	v_lshrrev_b32_e32 v43, 5, v0
	s_and_b32 vcc_lo, exec_lo, s24
	s_mov_b32 s7, -1
	v_cmp_eq_u32_e64 s4, 0, v20
	v_add3_u32 v44, v9, v41, v18
	v_and_b32_e32 v9, 16, v42
	v_or_b32_e32 v18, 31, v19
	v_cmp_lt_u32_e64 s3, 1, v20
	v_cmp_lt_u32_e64 s1, 3, v20
	v_cmp_lt_u32_e64 s0, 7, v20
	v_cmp_eq_u32_e64 s6, 0, v9
	v_cmp_eq_u32_e64 s5, v0, v18
	s_wait_dscnt 0x0
	s_barrier_signal -1
	s_barrier_wait -1
	global_inv scope:SCOPE_SE
                                        ; implicit-def: $vgpr20
                                        ; implicit-def: $vgpr22
                                        ; implicit-def: $vgpr24
                                        ; implicit-def: $vgpr26
                                        ; implicit-def: $vgpr28
                                        ; implicit-def: $vgpr30
                                        ; implicit-def: $vgpr32
                                        ; implicit-def: $vgpr9
                                        ; implicit-def: $vgpr18
	s_wait_alu 0xfffe
	s_cbranch_vccz .LBB41_78
; %bb.53:
	v_mov_b32_dpp v9, v44 row_shr:1 row_mask:0xf bank_mask:0xf
	s_wait_alu 0xf1ff
	s_delay_alu instid0(VALU_DEP_1) | instskip(NEXT) | instid1(VALU_DEP_1)
	v_cndmask_b32_e64 v9, v9, 0, s4
	v_add_nc_u32_e32 v9, v9, v44
	s_delay_alu instid0(VALU_DEP_1) | instskip(NEXT) | instid1(VALU_DEP_1)
	v_mov_b32_dpp v18, v9 row_shr:2 row_mask:0xf bank_mask:0xf
	v_cndmask_b32_e64 v18, 0, v18, s3
	s_delay_alu instid0(VALU_DEP_1) | instskip(NEXT) | instid1(VALU_DEP_1)
	v_add_nc_u32_e32 v9, v9, v18
	v_mov_b32_dpp v18, v9 row_shr:4 row_mask:0xf bank_mask:0xf
	s_delay_alu instid0(VALU_DEP_1) | instskip(NEXT) | instid1(VALU_DEP_1)
	v_cndmask_b32_e64 v18, 0, v18, s1
	v_add_nc_u32_e32 v9, v9, v18
	s_delay_alu instid0(VALU_DEP_1) | instskip(NEXT) | instid1(VALU_DEP_1)
	v_mov_b32_dpp v18, v9 row_shr:8 row_mask:0xf bank_mask:0xf
	v_cndmask_b32_e64 v18, 0, v18, s0
	s_delay_alu instid0(VALU_DEP_1) | instskip(SKIP_3) | instid1(VALU_DEP_1)
	v_add_nc_u32_e32 v9, v9, v18
	ds_swizzle_b32 v18, v9 offset:swizzle(BROADCAST,32,15)
	s_wait_dscnt 0x0
	v_cndmask_b32_e64 v18, v18, 0, s6
	v_add_nc_u32_e32 v18, v9, v18
	s_and_saveexec_b32 s7, s5
; %bb.54:
	v_lshlrev_b32_e32 v9, 2, v43
	ds_store_b32 v9, v18
; %bb.55:
	s_wait_alu 0xfffe
	s_or_b32 exec_lo, exec_lo, s7
	s_delay_alu instid0(SALU_CYCLE_1)
	s_mov_b32 s7, exec_lo
	s_wait_loadcnt_dscnt 0x0
	s_barrier_signal -1
	s_barrier_wait -1
	global_inv scope:SCOPE_SE
	v_cmpx_gt_u32_e32 12, v0
	s_cbranch_execz .LBB41_57
; %bb.56:
	v_lshlrev_b32_e32 v9, 2, v0
	ds_load_b32 v19, v9
	s_wait_dscnt 0x0
	v_mov_b32_dpp v20, v19 row_shr:1 row_mask:0xf bank_mask:0xf
	s_delay_alu instid0(VALU_DEP_1) | instskip(NEXT) | instid1(VALU_DEP_1)
	v_cndmask_b32_e64 v20, v20, 0, s4
	v_add_nc_u32_e32 v19, v20, v19
	s_delay_alu instid0(VALU_DEP_1) | instskip(NEXT) | instid1(VALU_DEP_1)
	v_mov_b32_dpp v20, v19 row_shr:2 row_mask:0xf bank_mask:0xf
	v_cndmask_b32_e64 v20, 0, v20, s3
	s_delay_alu instid0(VALU_DEP_1) | instskip(NEXT) | instid1(VALU_DEP_1)
	v_add_nc_u32_e32 v19, v19, v20
	v_mov_b32_dpp v20, v19 row_shr:4 row_mask:0xf bank_mask:0xf
	s_delay_alu instid0(VALU_DEP_1) | instskip(NEXT) | instid1(VALU_DEP_1)
	v_cndmask_b32_e64 v20, 0, v20, s1
	v_add_nc_u32_e32 v19, v19, v20
	s_delay_alu instid0(VALU_DEP_1) | instskip(NEXT) | instid1(VALU_DEP_1)
	v_mov_b32_dpp v20, v19 row_shr:8 row_mask:0xf bank_mask:0xf
	v_cndmask_b32_e64 v20, 0, v20, s0
	s_delay_alu instid0(VALU_DEP_1)
	v_add_nc_u32_e32 v19, v19, v20
	ds_store_b32 v9, v19
.LBB41_57:
	s_wait_alu 0xfffe
	s_or_b32 exec_lo, exec_lo, s7
	s_delay_alu instid0(SALU_CYCLE_1)
	s_mov_b32 s8, exec_lo
	v_cmp_gt_u32_e32 vcc_lo, 32, v0
	s_wait_loadcnt_dscnt 0x0
	s_barrier_signal -1
	s_barrier_wait -1
	global_inv scope:SCOPE_SE
                                        ; implicit-def: $vgpr9
	v_cmpx_lt_u32_e32 31, v0
	s_cbranch_execz .LBB41_59
; %bb.58:
	v_lshl_add_u32 v9, v43, 2, -4
	ds_load_b32 v9, v9
	s_wait_dscnt 0x0
	v_add_nc_u32_e32 v18, v9, v18
.LBB41_59:
	s_wait_alu 0xfffe
	s_or_b32 exec_lo, exec_lo, s8
	v_sub_co_u32 v19, s7, v42, 1
	s_delay_alu instid0(VALU_DEP_1) | instskip(SKIP_1) | instid1(VALU_DEP_1)
	v_cmp_gt_i32_e64 s8, 0, v19
	s_wait_alu 0xf1ff
	v_cndmask_b32_e64 v19, v19, v42, s8
	s_delay_alu instid0(VALU_DEP_1)
	v_lshlrev_b32_e32 v19, 2, v19
	ds_bpermute_b32 v26, v19, v18
	s_and_saveexec_b32 s8, vcc_lo
	s_cbranch_execz .LBB41_77
; %bb.60:
	v_mov_b32_e32 v22, 0
	ds_load_b32 v18, v22 offset:44
	s_and_saveexec_b32 s22, s7
	s_cbranch_execz .LBB41_62
; %bb.61:
	s_add_co_i32 s24, s15, 32
	s_mov_b32 s25, 0
	v_mov_b32_e32 v19, 1
	s_lshl_b64 s[24:25], s[24:25], 3
	s_delay_alu instid0(SALU_CYCLE_1)
	s_add_nc_u64 s[24:25], s[20:21], s[24:25]
	s_wait_dscnt 0x0
	global_store_b64 v22, v[18:19], s[24:25] scope:SCOPE_DEV
.LBB41_62:
	s_wait_alu 0xfffe
	s_or_b32 exec_lo, exec_lo, s22
	v_xad_u32 v20, v42, -1, s15
	s_mov_b32 s23, 0
	s_mov_b32 s22, exec_lo
	s_delay_alu instid0(VALU_DEP_1) | instskip(NEXT) | instid1(VALU_DEP_1)
	v_add_nc_u32_e32 v21, 32, v20
	v_lshlrev_b64_e32 v[21:22], 3, v[21:22]
	s_delay_alu instid0(VALU_DEP_1) | instskip(SKIP_1) | instid1(VALU_DEP_2)
	v_add_co_u32 v24, vcc_lo, s20, v21
	s_wait_alu 0xfffd
	v_add_co_ci_u32_e64 v25, null, s21, v22, vcc_lo
	global_load_b64 v[22:23], v[24:25], off scope:SCOPE_DEV
	s_wait_loadcnt 0x0
	v_and_b32_e32 v19, 0xff, v23
	s_delay_alu instid0(VALU_DEP_1)
	v_cmpx_eq_u16_e32 0, v19
	s_cbranch_execz .LBB41_65
.LBB41_63:                              ; =>This Inner Loop Header: Depth=1
	global_load_b64 v[22:23], v[24:25], off scope:SCOPE_DEV
	s_wait_loadcnt 0x0
	v_and_b32_e32 v19, 0xff, v23
	s_delay_alu instid0(VALU_DEP_1)
	v_cmp_ne_u16_e32 vcc_lo, 0, v19
	s_wait_alu 0xfffe
	s_or_b32 s23, vcc_lo, s23
	s_wait_alu 0xfffe
	s_and_not1_b32 exec_lo, exec_lo, s23
	s_cbranch_execnz .LBB41_63
; %bb.64:
	s_or_b32 exec_lo, exec_lo, s23
.LBB41_65:
	s_wait_alu 0xfffe
	s_or_b32 exec_lo, exec_lo, s22
	v_cmp_ne_u32_e32 vcc_lo, 31, v42
	v_lshlrev_b32_e64 v30, v42, -1
	v_add_nc_u32_e32 v45, 2, v42
	v_add_nc_u32_e32 v47, 4, v42
	;; [unrolled: 1-line block ×3, first 2 shown]
	s_wait_alu 0xfffd
	v_add_co_ci_u32_e64 v19, null, 0, v42, vcc_lo
	v_lshl_or_b32 v50, v42, 2, 64
	v_add_nc_u32_e32 v51, 16, v42
	s_delay_alu instid0(VALU_DEP_3)
	v_lshlrev_b32_e32 v28, 2, v19
	v_and_b32_e32 v19, 0xff, v23
	ds_bpermute_b32 v21, v28, v22
	v_cmp_eq_u16_e32 vcc_lo, 2, v19
	s_wait_alu 0xfffd
	v_and_or_b32 v19, vcc_lo, v30, 0x80000000
	v_cmp_gt_u32_e32 vcc_lo, 30, v42
	s_delay_alu instid0(VALU_DEP_2) | instskip(SKIP_2) | instid1(VALU_DEP_2)
	v_ctz_i32_b32_e32 v19, v19
	s_wait_alu 0xfffd
	v_cndmask_b32_e64 v24, 0, 2, vcc_lo
	v_cmp_lt_u32_e32 vcc_lo, v42, v19
	s_delay_alu instid0(VALU_DEP_2) | instskip(SKIP_4) | instid1(VALU_DEP_2)
	v_add_lshl_u32 v32, v24, v42, 2
	s_wait_dscnt 0x0
	s_wait_alu 0xfffd
	v_cndmask_b32_e32 v21, 0, v21, vcc_lo
	v_cmp_gt_u32_e32 vcc_lo, 28, v42
	v_add_nc_u32_e32 v21, v21, v22
	s_wait_alu 0xfffd
	v_cndmask_b32_e64 v24, 0, 4, vcc_lo
	v_cmp_le_u32_e32 vcc_lo, v45, v19
	ds_bpermute_b32 v22, v32, v21
	v_add_lshl_u32 v46, v24, v42, 2
	s_wait_dscnt 0x0
	s_wait_alu 0xfffd
	v_cndmask_b32_e32 v22, 0, v22, vcc_lo
	v_cmp_gt_u32_e32 vcc_lo, 24, v42
	s_delay_alu instid0(VALU_DEP_2)
	v_add_nc_u32_e32 v21, v21, v22
	s_wait_alu 0xfffd
	v_cndmask_b32_e64 v24, 0, 8, vcc_lo
	v_cmp_le_u32_e32 vcc_lo, v47, v19
	ds_bpermute_b32 v22, v46, v21
	v_add_lshl_u32 v48, v24, v42, 2
	s_wait_dscnt 0x0
	s_wait_alu 0xfffd
	v_cndmask_b32_e32 v22, 0, v22, vcc_lo
	v_cmp_le_u32_e32 vcc_lo, v49, v19
	s_delay_alu instid0(VALU_DEP_2)
	v_add_nc_u32_e32 v21, v21, v22
	ds_bpermute_b32 v22, v48, v21
	s_wait_dscnt 0x0
	s_wait_alu 0xfffd
	v_cndmask_b32_e32 v22, 0, v22, vcc_lo
	v_cmp_le_u32_e32 vcc_lo, v51, v19
	s_delay_alu instid0(VALU_DEP_2) | instskip(SKIP_4) | instid1(VALU_DEP_1)
	v_add_nc_u32_e32 v21, v21, v22
	ds_bpermute_b32 v22, v50, v21
	s_wait_dscnt 0x0
	s_wait_alu 0xfffd
	v_cndmask_b32_e32 v19, 0, v22, vcc_lo
	v_dual_mov_b32 v21, 0 :: v_dual_add_nc_u32 v22, v21, v19
	s_branch .LBB41_68
.LBB41_66:                              ;   in Loop: Header=BB41_68 Depth=1
	s_wait_alu 0xfffe
	s_or_b32 exec_lo, exec_lo, s22
	ds_bpermute_b32 v25, v28, v22
	v_and_b32_e32 v24, 0xff, v23
	v_subrev_nc_u32_e32 v20, 32, v20
	s_mov_b32 s22, 0
	s_delay_alu instid0(VALU_DEP_2) | instskip(SKIP_2) | instid1(VALU_DEP_1)
	v_cmp_eq_u16_e32 vcc_lo, 2, v24
	s_wait_alu 0xfffd
	v_and_or_b32 v24, vcc_lo, v30, 0x80000000
	v_ctz_i32_b32_e32 v24, v24
	s_delay_alu instid0(VALU_DEP_1) | instskip(SKIP_4) | instid1(VALU_DEP_2)
	v_cmp_lt_u32_e32 vcc_lo, v42, v24
	s_wait_dscnt 0x0
	s_wait_alu 0xfffd
	v_cndmask_b32_e32 v25, 0, v25, vcc_lo
	v_cmp_le_u32_e32 vcc_lo, v45, v24
	v_add_nc_u32_e32 v22, v25, v22
	ds_bpermute_b32 v25, v32, v22
	s_wait_dscnt 0x0
	s_wait_alu 0xfffd
	v_cndmask_b32_e32 v25, 0, v25, vcc_lo
	v_cmp_le_u32_e32 vcc_lo, v47, v24
	s_delay_alu instid0(VALU_DEP_2)
	v_add_nc_u32_e32 v22, v22, v25
	ds_bpermute_b32 v25, v46, v22
	s_wait_dscnt 0x0
	s_wait_alu 0xfffd
	v_cndmask_b32_e32 v25, 0, v25, vcc_lo
	v_cmp_le_u32_e32 vcc_lo, v49, v24
	s_delay_alu instid0(VALU_DEP_2)
	v_add_nc_u32_e32 v22, v22, v25
	ds_bpermute_b32 v25, v48, v22
	s_wait_dscnt 0x0
	s_wait_alu 0xfffd
	v_cndmask_b32_e32 v25, 0, v25, vcc_lo
	v_cmp_le_u32_e32 vcc_lo, v51, v24
	s_delay_alu instid0(VALU_DEP_2) | instskip(SKIP_4) | instid1(VALU_DEP_1)
	v_add_nc_u32_e32 v22, v22, v25
	ds_bpermute_b32 v25, v50, v22
	s_wait_dscnt 0x0
	s_wait_alu 0xfffd
	v_cndmask_b32_e32 v24, 0, v25, vcc_lo
	v_add3_u32 v22, v24, v19, v22
.LBB41_67:                              ;   in Loop: Header=BB41_68 Depth=1
	s_wait_alu 0xfffe
	s_and_b32 vcc_lo, exec_lo, s22
	s_wait_alu 0xfffe
	s_cbranch_vccnz .LBB41_73
.LBB41_68:                              ; =>This Loop Header: Depth=1
                                        ;     Child Loop BB41_71 Depth 2
	v_and_b32_e32 v19, 0xff, v23
	s_mov_b32 s22, -1
                                        ; implicit-def: $vgpr23
	s_delay_alu instid0(VALU_DEP_1)
	v_cmp_ne_u16_e32 vcc_lo, 2, v19
	v_mov_b32_e32 v19, v22
                                        ; implicit-def: $vgpr22
	s_cmp_lg_u32 vcc_lo, exec_lo
	s_cbranch_scc1 .LBB41_67
; %bb.69:                               ;   in Loop: Header=BB41_68 Depth=1
	v_lshlrev_b64_e32 v[22:23], 3, v[20:21]
	s_mov_b32 s22, exec_lo
	s_delay_alu instid0(VALU_DEP_1) | instskip(SKIP_1) | instid1(VALU_DEP_2)
	v_add_co_u32 v24, vcc_lo, s20, v22
	s_wait_alu 0xfffd
	v_add_co_ci_u32_e64 v25, null, s21, v23, vcc_lo
	global_load_b64 v[22:23], v[24:25], off scope:SCOPE_DEV
	s_wait_loadcnt 0x0
	v_and_b32_e32 v52, 0xff, v23
	s_delay_alu instid0(VALU_DEP_1)
	v_cmpx_eq_u16_e32 0, v52
	s_cbranch_execz .LBB41_66
; %bb.70:                               ;   in Loop: Header=BB41_68 Depth=1
	s_mov_b32 s23, 0
.LBB41_71:                              ;   Parent Loop BB41_68 Depth=1
                                        ; =>  This Inner Loop Header: Depth=2
	global_load_b64 v[22:23], v[24:25], off scope:SCOPE_DEV
	s_wait_loadcnt 0x0
	v_and_b32_e32 v52, 0xff, v23
	s_delay_alu instid0(VALU_DEP_1)
	v_cmp_ne_u16_e32 vcc_lo, 0, v52
	s_wait_alu 0xfffe
	s_or_b32 s23, vcc_lo, s23
	s_wait_alu 0xfffe
	s_and_not1_b32 exec_lo, exec_lo, s23
	s_cbranch_execnz .LBB41_71
; %bb.72:                               ;   in Loop: Header=BB41_68 Depth=1
	s_or_b32 exec_lo, exec_lo, s23
	s_branch .LBB41_66
.LBB41_73:
	s_and_saveexec_b32 s22, s7
	s_cbranch_execz .LBB41_75
; %bb.74:
	s_add_co_i32 s24, s15, 32
	s_mov_b32 s25, 0
	v_dual_mov_b32 v21, 2 :: v_dual_add_nc_u32 v20, v19, v18
	v_mov_b32_e32 v22, 0
	s_lshl_b64 s[24:25], s[24:25], 3
	s_delay_alu instid0(SALU_CYCLE_1)
	s_add_nc_u64 s[24:25], s[20:21], s[24:25]
	global_store_b64 v22, v[20:21], s[24:25] scope:SCOPE_DEV
	ds_store_b64 v22, v[18:19] offset:10752
.LBB41_75:
	s_wait_alu 0xfffe
	s_or_b32 exec_lo, exec_lo, s22
	s_delay_alu instid0(SALU_CYCLE_1)
	s_and_b32 exec_lo, exec_lo, s2
; %bb.76:
	v_mov_b32_e32 v18, 0
	ds_store_b32 v18, v19 offset:44
.LBB41_77:
	s_wait_alu 0xfffe
	s_or_b32 exec_lo, exec_lo, s8
	v_mov_b32_e32 v18, 0
	s_wait_storecnt 0x0
	s_wait_loadcnt_dscnt 0x0
	s_barrier_signal -1
	s_barrier_wait -1
	global_inv scope:SCOPE_SE
	ds_load_b32 v19, v18 offset:44
	v_cndmask_b32_e64 v9, v26, v9, s7
	s_wait_loadcnt_dscnt 0x0
	s_barrier_signal -1
	s_barrier_wait -1
	global_inv scope:SCOPE_SE
	v_cndmask_b32_e64 v9, v9, 0, s2
	s_mov_b32 s7, 0
	s_delay_alu instid0(VALU_DEP_1) | instskip(SKIP_2) | instid1(VALU_DEP_1)
	v_add_nc_u32_e32 v32, v19, v9
	ds_load_b64 v[18:19], v18 offset:10752
	v_add_nc_u32_e32 v30, v32, v27
	v_add_nc_u32_e32 v28, v30, v29
	s_delay_alu instid0(VALU_DEP_1) | instskip(SKIP_1) | instid1(VALU_DEP_1)
	v_add_nc_u32_e32 v26, v28, v31
	s_wait_dscnt 0x0
	v_dual_mov_b32 v9, v19 :: v_dual_add_nc_u32 v24, v26, v33
	s_delay_alu instid0(VALU_DEP_1) | instskip(NEXT) | instid1(VALU_DEP_1)
	v_add_nc_u32_e32 v22, v24, v40
	v_add_nc_u32_e32 v20, v22, v41
.LBB41_78:
	s_wait_alu 0xfffe
	s_and_b32 vcc_lo, exec_lo, s7
	s_wait_alu 0xfffe
	s_cbranch_vccz .LBB41_88
; %bb.79:
	v_mov_b32_dpp v9, v44 row_shr:1 row_mask:0xf bank_mask:0xf
	s_delay_alu instid0(VALU_DEP_1) | instskip(NEXT) | instid1(VALU_DEP_1)
	v_cndmask_b32_e64 v9, v9, 0, s4
	v_add_nc_u32_e32 v9, v9, v44
	s_delay_alu instid0(VALU_DEP_1) | instskip(NEXT) | instid1(VALU_DEP_1)
	v_mov_b32_dpp v18, v9 row_shr:2 row_mask:0xf bank_mask:0xf
	v_cndmask_b32_e64 v18, 0, v18, s3
	s_delay_alu instid0(VALU_DEP_1) | instskip(NEXT) | instid1(VALU_DEP_1)
	v_add_nc_u32_e32 v9, v9, v18
	v_mov_b32_dpp v18, v9 row_shr:4 row_mask:0xf bank_mask:0xf
	s_delay_alu instid0(VALU_DEP_1) | instskip(NEXT) | instid1(VALU_DEP_1)
	v_cndmask_b32_e64 v18, 0, v18, s1
	v_add_nc_u32_e32 v9, v9, v18
	s_delay_alu instid0(VALU_DEP_1) | instskip(NEXT) | instid1(VALU_DEP_1)
	v_mov_b32_dpp v18, v9 row_shr:8 row_mask:0xf bank_mask:0xf
	v_cndmask_b32_e64 v18, 0, v18, s0
	s_delay_alu instid0(VALU_DEP_1) | instskip(SKIP_3) | instid1(VALU_DEP_1)
	v_add_nc_u32_e32 v9, v9, v18
	ds_swizzle_b32 v18, v9 offset:swizzle(BROADCAST,32,15)
	s_wait_dscnt 0x0
	v_cndmask_b32_e64 v18, v18, 0, s6
	v_add_nc_u32_e32 v9, v9, v18
	s_and_saveexec_b32 s6, s5
; %bb.80:
	v_lshlrev_b32_e32 v18, 2, v43
	ds_store_b32 v18, v9
; %bb.81:
	s_wait_alu 0xfffe
	s_or_b32 exec_lo, exec_lo, s6
	s_delay_alu instid0(SALU_CYCLE_1)
	s_mov_b32 s5, exec_lo
	s_wait_loadcnt_dscnt 0x0
	s_barrier_signal -1
	s_barrier_wait -1
	global_inv scope:SCOPE_SE
	v_cmpx_gt_u32_e32 12, v0
	s_cbranch_execz .LBB41_83
; %bb.82:
	v_lshlrev_b32_e32 v18, 2, v0
	ds_load_b32 v19, v18
	s_wait_dscnt 0x0
	v_mov_b32_dpp v20, v19 row_shr:1 row_mask:0xf bank_mask:0xf
	s_delay_alu instid0(VALU_DEP_1) | instskip(NEXT) | instid1(VALU_DEP_1)
	v_cndmask_b32_e64 v20, v20, 0, s4
	v_add_nc_u32_e32 v19, v20, v19
	s_delay_alu instid0(VALU_DEP_1) | instskip(NEXT) | instid1(VALU_DEP_1)
	v_mov_b32_dpp v20, v19 row_shr:2 row_mask:0xf bank_mask:0xf
	v_cndmask_b32_e64 v20, 0, v20, s3
	s_delay_alu instid0(VALU_DEP_1) | instskip(NEXT) | instid1(VALU_DEP_1)
	v_add_nc_u32_e32 v19, v19, v20
	v_mov_b32_dpp v20, v19 row_shr:4 row_mask:0xf bank_mask:0xf
	s_delay_alu instid0(VALU_DEP_1) | instskip(NEXT) | instid1(VALU_DEP_1)
	v_cndmask_b32_e64 v20, 0, v20, s1
	v_add_nc_u32_e32 v19, v19, v20
	s_delay_alu instid0(VALU_DEP_1) | instskip(NEXT) | instid1(VALU_DEP_1)
	v_mov_b32_dpp v20, v19 row_shr:8 row_mask:0xf bank_mask:0xf
	v_cndmask_b32_e64 v20, 0, v20, s0
	s_delay_alu instid0(VALU_DEP_1)
	v_add_nc_u32_e32 v19, v19, v20
	ds_store_b32 v18, v19
.LBB41_83:
	s_wait_alu 0xfffe
	s_or_b32 exec_lo, exec_lo, s5
	v_mov_b32_e32 v18, 0
	v_mov_b32_e32 v20, 0
	s_mov_b32 s0, exec_lo
	s_wait_loadcnt_dscnt 0x0
	s_barrier_signal -1
	s_barrier_wait -1
	global_inv scope:SCOPE_SE
	v_cmpx_lt_u32_e32 31, v0
; %bb.84:
	v_lshl_add_u32 v19, v43, 2, -4
	ds_load_b32 v20, v19
; %bb.85:
	s_wait_alu 0xfffe
	s_or_b32 exec_lo, exec_lo, s0
	v_sub_co_u32 v19, vcc_lo, v42, 1
	s_wait_dscnt 0x0
	v_add_nc_u32_e32 v9, v20, v9
	ds_load_b32 v18, v18 offset:44
	v_cmp_gt_i32_e64 s0, 0, v19
	s_wait_alu 0xf1ff
	s_delay_alu instid0(VALU_DEP_1) | instskip(NEXT) | instid1(VALU_DEP_1)
	v_cndmask_b32_e64 v19, v19, v42, s0
	v_lshlrev_b32_e32 v19, 2, v19
	ds_bpermute_b32 v9, v19, v9
	s_and_saveexec_b32 s0, s2
	s_cbranch_execz .LBB41_87
; %bb.86:
	v_mov_b32_e32 v21, 0
	v_mov_b32_e32 v19, 2
	s_wait_dscnt 0x1
	global_store_b64 v21, v[18:19], s[20:21] offset:256 scope:SCOPE_DEV
.LBB41_87:
	s_wait_alu 0xfffe
	s_or_b32 exec_lo, exec_lo, s0
	s_wait_dscnt 0x0
	s_wait_alu 0xfffd
	v_cndmask_b32_e32 v9, v9, v20, vcc_lo
	s_wait_loadcnt 0x0
	s_wait_storecnt 0x0
	s_barrier_signal -1
	s_barrier_wait -1
	global_inv scope:SCOPE_SE
	v_cndmask_b32_e64 v32, v9, 0, s2
	s_delay_alu instid0(VALU_DEP_1) | instskip(NEXT) | instid1(VALU_DEP_1)
	v_dual_mov_b32 v9, 0 :: v_dual_add_nc_u32 v30, v32, v27
	v_add_nc_u32_e32 v28, v30, v29
	s_delay_alu instid0(VALU_DEP_1) | instskip(NEXT) | instid1(VALU_DEP_1)
	v_add_nc_u32_e32 v26, v28, v31
	v_add_nc_u32_e32 v24, v26, v33
	s_delay_alu instid0(VALU_DEP_1) | instskip(NEXT) | instid1(VALU_DEP_1)
	v_add_nc_u32_e32 v22, v24, v40
	v_add_nc_u32_e32 v20, v22, v41
.LBB41_88:
	v_add_nc_u32_e32 v19, v9, v18
	v_and_b32_e32 v15, 1, v15
	v_cmp_gt_u32_e64 s0, 0x181, v18
	s_mov_b32 s4, -1
	v_cmp_lt_u32_e64 s3, v32, v19
	v_cmp_eq_u32_e64 s1, 1, v15
	s_and_b32 vcc_lo, exec_lo, s0
	s_wait_alu 0xfffe
	s_cbranch_vccz .LBB41_104
; %bb.89:
	s_lshl_b64 s[4:5], s[10:11], 2
	s_or_b32 s3, s14, s3
	s_wait_alu 0xfffe
	s_add_nc_u64 s[4:5], s[16:17], s[4:5]
	s_and_b32 s3, s3, s1
	s_wait_alu 0xfffe
	s_and_saveexec_b32 s1, s3
	s_cbranch_execz .LBB41_91
; %bb.90:
	v_mov_b32_e32 v33, 0
	s_delay_alu instid0(VALU_DEP_1) | instskip(NEXT) | instid1(VALU_DEP_1)
	v_lshlrev_b64_e32 v[40:41], 2, v[32:33]
	v_add_co_u32 v40, vcc_lo, s4, v40
	s_wait_alu 0xfffd
	s_delay_alu instid0(VALU_DEP_2)
	v_add_co_ci_u32_e64 v41, null, s5, v41, vcc_lo
	global_store_b32 v[40:41], v13, off
.LBB41_91:
	s_wait_alu 0xfffe
	s_or_b32 exec_lo, exec_lo, s1
	v_and_b32_e32 v21, 1, v39
	v_cmp_lt_u32_e32 vcc_lo, v30, v19
	s_delay_alu instid0(VALU_DEP_2)
	v_cmp_eq_u32_e64 s1, 1, v21
	s_or_b32 s3, s14, vcc_lo
	s_wait_alu 0xfffe
	s_and_b32 s3, s3, s1
	s_wait_alu 0xfffe
	s_and_saveexec_b32 s1, s3
	s_cbranch_execz .LBB41_93
; %bb.92:
	v_mov_b32_e32 v31, 0
	s_delay_alu instid0(VALU_DEP_1) | instskip(NEXT) | instid1(VALU_DEP_1)
	v_lshlrev_b64_e32 v[40:41], 2, v[30:31]
	v_add_co_u32 v40, vcc_lo, s4, v40
	s_wait_alu 0xfffd
	s_delay_alu instid0(VALU_DEP_2)
	v_add_co_ci_u32_e64 v41, null, s5, v41, vcc_lo
	global_store_b32 v[40:41], v14, off
.LBB41_93:
	s_wait_alu 0xfffe
	s_or_b32 exec_lo, exec_lo, s1
	v_and_b32_e32 v21, 1, v38
	v_cmp_lt_u32_e32 vcc_lo, v28, v19
	s_delay_alu instid0(VALU_DEP_2)
	v_cmp_eq_u32_e64 s1, 1, v21
	s_or_b32 s3, s14, vcc_lo
	s_wait_alu 0xfffe
	;; [unrolled: 22-line block ×6, first 2 shown]
	s_and_b32 s3, s3, s1
	s_wait_alu 0xfffe
	s_and_saveexec_b32 s1, s3
	s_cbranch_execz .LBB41_103
; %bb.102:
	v_mov_b32_e32 v21, 0
	s_delay_alu instid0(VALU_DEP_1) | instskip(NEXT) | instid1(VALU_DEP_1)
	v_lshlrev_b64_e32 v[40:41], 2, v[20:21]
	v_add_co_u32 v40, vcc_lo, s4, v40
	s_wait_alu 0xfffd
	s_delay_alu instid0(VALU_DEP_2)
	v_add_co_ci_u32_e64 v41, null, s5, v41, vcc_lo
	global_store_b32 v[40:41], v8, off
.LBB41_103:
	s_wait_alu 0xfffe
	s_or_b32 exec_lo, exec_lo, s1
	s_mov_b32 s4, 0
.LBB41_104:
	s_wait_alu 0xfffe
	s_and_b32 vcc_lo, exec_lo, s4
	s_wait_alu 0xfffe
	s_cbranch_vccz .LBB41_122
; %bb.105:
	s_mov_b32 s1, exec_lo
	v_cmpx_eq_u32_e32 1, v15
; %bb.106:
	v_sub_nc_u32_e32 v21, v32, v9
	s_delay_alu instid0(VALU_DEP_1)
	v_lshlrev_b32_e32 v21, 2, v21
	ds_store_b32 v21, v13
; %bb.107:
	s_wait_alu 0xfffe
	s_or_b32 exec_lo, exec_lo, s1
	v_and_b32_e32 v13, 1, v39
	s_mov_b32 s1, exec_lo
	s_delay_alu instid0(VALU_DEP_1)
	v_cmpx_eq_u32_e32 1, v13
; %bb.108:
	v_sub_nc_u32_e32 v13, v30, v9
	s_delay_alu instid0(VALU_DEP_1)
	v_lshlrev_b32_e32 v13, 2, v13
	ds_store_b32 v13, v14
; %bb.109:
	s_wait_alu 0xfffe
	s_or_b32 exec_lo, exec_lo, s1
	v_and_b32_e32 v13, 1, v38
	s_mov_b32 s1, exec_lo
	s_delay_alu instid0(VALU_DEP_1)
	;; [unrolled: 12-line block ×6, first 2 shown]
	v_cmpx_eq_u32_e32 1, v7
; %bb.118:
	v_sub_nc_u32_e32 v7, v20, v9
	s_delay_alu instid0(VALU_DEP_1)
	v_lshlrev_b32_e32 v7, 2, v7
	ds_store_b32 v7, v8
; %bb.119:
	s_wait_alu 0xfffe
	s_or_b32 exec_lo, exec_lo, s1
	v_dual_mov_b32 v8, 0 :: v_dual_mov_b32 v7, v0
	s_lshl_b64 s[4:5], s[10:11], 2
	s_mov_b32 s3, 0
	s_wait_alu 0xfffe
	s_add_nc_u64 s[4:5], s[16:17], s[4:5]
	v_mov_b32_e32 v10, v8
	s_wait_storecnt 0x0
	s_wait_loadcnt_dscnt 0x0
	s_barrier_signal -1
	s_barrier_wait -1
	global_inv scope:SCOPE_SE
	v_lshlrev_b64_e32 v[11:12], 2, v[9:10]
	v_lshlrev_b32_e32 v10, 2, v0
	s_wait_alu 0xfffe
	s_delay_alu instid0(VALU_DEP_2) | instskip(SKIP_1) | instid1(VALU_DEP_3)
	v_add_co_u32 v11, vcc_lo, s4, v11
	s_wait_alu 0xfffd
	v_add_co_ci_u32_e64 v12, null, s5, v12, vcc_lo
.LBB41_120:                             ; =>This Inner Loop Header: Depth=1
	ds_load_b32 v21, v10
	v_lshlrev_b64_e32 v[13:14], 2, v[7:8]
	v_add_nc_u32_e32 v7, 0x180, v7
	v_add_nc_u32_e32 v10, 0x600, v10
	s_delay_alu instid0(VALU_DEP_2) | instskip(NEXT) | instid1(VALU_DEP_4)
	v_cmp_ge_u32_e32 vcc_lo, v7, v18
	v_add_co_u32 v13, s1, v11, v13
	s_wait_alu 0xf1ff
	v_add_co_ci_u32_e64 v14, null, v12, v14, s1
	s_or_b32 s3, vcc_lo, s3
	s_wait_dscnt 0x0
	global_store_b32 v[13:14], v21, off
	s_wait_alu 0xfffe
	s_and_not1_b32 exec_lo, exec_lo, s3
	s_cbranch_execnz .LBB41_120
; %bb.121:
	s_or_b32 exec_lo, exec_lo, s3
.LBB41_122:
	s_delay_alu instid0(SALU_CYCLE_1)
	s_and_b32 vcc_lo, exec_lo, s0
	s_mov_b32 s0, -1
	s_wait_loadcnt 0x0
	s_wait_storecnt 0x0
	s_barrier_signal -1
	s_barrier_wait -1
	global_inv scope:SCOPE_SE
	s_wait_alu 0xfffe
	s_cbranch_vccnz .LBB41_126
; %bb.123:
	s_and_b32 vcc_lo, exec_lo, s0
	s_wait_alu 0xfffe
	s_cbranch_vccnz .LBB41_141
.LBB41_124:
	s_and_b32 s0, s2, s9
	s_wait_alu 0xfffe
	s_and_saveexec_b32 s1, s0
	s_cbranch_execnz .LBB41_158
.LBB41_125:
	s_endpgm
.LBB41_126:
	v_cmp_lt_u32_e32 vcc_lo, v32, v19
	v_cmp_eq_u32_e64 s0, 1, v15
	s_lshl_b64 s[4:5], s[10:11], 2
	s_wait_alu 0xfffe
	s_add_nc_u64 s[4:5], s[18:19], s[4:5]
	s_or_b32 s1, s14, vcc_lo
	s_wait_alu 0xfffe
	s_and_b32 s1, s1, s0
	s_wait_alu 0xfffe
	s_and_saveexec_b32 s0, s1
	s_cbranch_execz .LBB41_128
; %bb.127:
	v_mov_b32_e32 v33, 0
	s_delay_alu instid0(VALU_DEP_1) | instskip(NEXT) | instid1(VALU_DEP_1)
	v_lshlrev_b64_e32 v[7:8], 2, v[32:33]
	v_add_co_u32 v7, vcc_lo, s4, v7
	s_wait_alu 0xfffd
	s_delay_alu instid0(VALU_DEP_2)
	v_add_co_ci_u32_e64 v8, null, s5, v8, vcc_lo
	global_store_b32 v[7:8], v5, off
.LBB41_128:
	s_wait_alu 0xfffe
	s_or_b32 exec_lo, exec_lo, s0
	v_and_b32_e32 v7, 1, v39
	v_cmp_lt_u32_e32 vcc_lo, v30, v19
	s_delay_alu instid0(VALU_DEP_2)
	v_cmp_eq_u32_e64 s0, 1, v7
	s_or_b32 s1, s14, vcc_lo
	s_wait_alu 0xfffe
	s_and_b32 s1, s1, s0
	s_wait_alu 0xfffe
	s_and_saveexec_b32 s0, s1
	s_cbranch_execz .LBB41_130
; %bb.129:
	v_mov_b32_e32 v31, 0
	s_delay_alu instid0(VALU_DEP_1) | instskip(NEXT) | instid1(VALU_DEP_1)
	v_lshlrev_b64_e32 v[7:8], 2, v[30:31]
	v_add_co_u32 v7, vcc_lo, s4, v7
	s_wait_alu 0xfffd
	s_delay_alu instid0(VALU_DEP_2)
	v_add_co_ci_u32_e64 v8, null, s5, v8, vcc_lo
	global_store_b32 v[7:8], v6, off
.LBB41_130:
	s_wait_alu 0xfffe
	s_or_b32 exec_lo, exec_lo, s0
	v_and_b32_e32 v7, 1, v38
	v_cmp_lt_u32_e32 vcc_lo, v28, v19
	s_delay_alu instid0(VALU_DEP_2)
	v_cmp_eq_u32_e64 s0, 1, v7
	;; [unrolled: 22-line block ×6, first 2 shown]
	s_or_b32 s1, s14, vcc_lo
	s_wait_alu 0xfffe
	s_and_b32 s1, s1, s0
	s_wait_alu 0xfffe
	s_and_saveexec_b32 s0, s1
	s_cbranch_execz .LBB41_140
; %bb.139:
	v_mov_b32_e32 v21, 0
	s_delay_alu instid0(VALU_DEP_1) | instskip(NEXT) | instid1(VALU_DEP_1)
	v_lshlrev_b64_e32 v[7:8], 2, v[20:21]
	v_add_co_u32 v7, vcc_lo, s4, v7
	s_wait_alu 0xfffd
	s_delay_alu instid0(VALU_DEP_2)
	v_add_co_ci_u32_e64 v8, null, s5, v8, vcc_lo
	global_store_b32 v[7:8], v35, off
.LBB41_140:
	s_wait_alu 0xfffe
	s_or_b32 exec_lo, exec_lo, s0
	s_branch .LBB41_124
.LBB41_141:
	s_mov_b32 s0, exec_lo
	v_cmpx_eq_u32_e32 1, v15
; %bb.142:
	v_sub_nc_u32_e32 v7, v32, v9
	s_delay_alu instid0(VALU_DEP_1)
	v_lshlrev_b32_e32 v7, 2, v7
	ds_store_b32 v7, v5
; %bb.143:
	s_wait_alu 0xfffe
	s_or_b32 exec_lo, exec_lo, s0
	v_and_b32_e32 v5, 1, v39
	s_mov_b32 s0, exec_lo
	s_delay_alu instid0(VALU_DEP_1)
	v_cmpx_eq_u32_e32 1, v5
; %bb.144:
	v_sub_nc_u32_e32 v5, v30, v9
	s_delay_alu instid0(VALU_DEP_1)
	v_lshlrev_b32_e32 v5, 2, v5
	ds_store_b32 v5, v6
; %bb.145:
	s_wait_alu 0xfffe
	s_or_b32 exec_lo, exec_lo, s0
	v_and_b32_e32 v5, 1, v38
	s_mov_b32 s0, exec_lo
	s_delay_alu instid0(VALU_DEP_1)
	v_cmpx_eq_u32_e32 1, v5
; %bb.146:
	v_sub_nc_u32_e32 v5, v28, v9
	s_delay_alu instid0(VALU_DEP_1)
	v_lshlrev_b32_e32 v5, 2, v5
	ds_store_b32 v5, v3
; %bb.147:
	s_wait_alu 0xfffe
	s_or_b32 exec_lo, exec_lo, s0
	v_and_b32_e32 v3, 1, v17
	s_mov_b32 s0, exec_lo
	s_delay_alu instid0(VALU_DEP_1)
	v_cmpx_eq_u32_e32 1, v3
; %bb.148:
	v_sub_nc_u32_e32 v3, v26, v9
	s_delay_alu instid0(VALU_DEP_1)
	v_lshlrev_b32_e32 v3, 2, v3
	ds_store_b32 v3, v4
; %bb.149:
	s_wait_alu 0xfffe
	s_or_b32 exec_lo, exec_lo, s0
	v_and_b32_e32 v3, 1, v16
	s_mov_b32 s0, exec_lo
	s_delay_alu instid0(VALU_DEP_1)
	v_cmpx_eq_u32_e32 1, v3
; %bb.150:
	v_sub_nc_u32_e32 v3, v24, v9
	s_delay_alu instid0(VALU_DEP_1)
	v_lshlrev_b32_e32 v3, 2, v3
	ds_store_b32 v3, v1
; %bb.151:
	s_wait_alu 0xfffe
	s_or_b32 exec_lo, exec_lo, s0
	v_and_b32_e32 v1, 1, v37
	s_mov_b32 s0, exec_lo
	s_delay_alu instid0(VALU_DEP_1)
	v_cmpx_eq_u32_e32 1, v1
; %bb.152:
	v_sub_nc_u32_e32 v1, v22, v9
	s_delay_alu instid0(VALU_DEP_1)
	v_lshlrev_b32_e32 v1, 2, v1
	ds_store_b32 v1, v2
; %bb.153:
	s_wait_alu 0xfffe
	s_or_b32 exec_lo, exec_lo, s0
	v_and_b32_e32 v1, 1, v36
	s_mov_b32 s0, exec_lo
	s_delay_alu instid0(VALU_DEP_1)
	v_cmpx_eq_u32_e32 1, v1
; %bb.154:
	v_sub_nc_u32_e32 v1, v20, v9
	s_delay_alu instid0(VALU_DEP_1)
	v_lshlrev_b32_e32 v1, 2, v1
	ds_store_b32 v1, v35
; %bb.155:
	s_wait_alu 0xfffe
	s_or_b32 exec_lo, exec_lo, s0
	v_mov_b32_e32 v1, 0
	s_lshl_b64 s[0:1], s[10:11], 2
	s_wait_storecnt 0x0
	s_wait_loadcnt_dscnt 0x0
	s_wait_alu 0xfffe
	s_add_nc_u64 s[0:1], s[18:19], s[0:1]
	s_barrier_signal -1
	v_mov_b32_e32 v10, v1
	s_barrier_wait -1
	global_inv scope:SCOPE_SE
	v_lshlrev_b64_e32 v[2:3], 2, v[9:10]
	s_wait_alu 0xfffe
	s_delay_alu instid0(VALU_DEP_1) | instskip(SKIP_1) | instid1(VALU_DEP_2)
	v_add_co_u32 v2, vcc_lo, s0, v2
	s_wait_alu 0xfffd
	v_add_co_ci_u32_e64 v3, null, s1, v3, vcc_lo
	s_mov_b32 s1, 0
.LBB41_156:                             ; =>This Inner Loop Header: Depth=1
	ds_load_b32 v6, v34
	v_lshlrev_b64_e32 v[4:5], 2, v[0:1]
	v_add_nc_u32_e32 v0, 0x180, v0
	v_add_nc_u32_e32 v34, 0x600, v34
	s_delay_alu instid0(VALU_DEP_2) | instskip(NEXT) | instid1(VALU_DEP_4)
	v_cmp_ge_u32_e32 vcc_lo, v0, v18
	v_add_co_u32 v4, s0, v2, v4
	s_wait_alu 0xf1ff
	v_add_co_ci_u32_e64 v5, null, v3, v5, s0
	s_wait_alu 0xfffe
	s_or_b32 s1, vcc_lo, s1
	s_wait_dscnt 0x0
	global_store_b32 v[4:5], v6, off
	s_wait_alu 0xfffe
	s_and_not1_b32 exec_lo, exec_lo, s1
	s_cbranch_execnz .LBB41_156
; %bb.157:
	s_or_b32 exec_lo, exec_lo, s1
	s_and_b32 s0, s2, s9
	s_wait_alu 0xfffe
	s_and_saveexec_b32 s1, s0
	s_cbranch_execz .LBB41_125
.LBB41_158:
	v_add_co_u32 v0, s0, s10, v18
	s_wait_alu 0xf1ff
	v_add_co_ci_u32_e64 v1, null, s11, 0, s0
	v_mov_b32_e32 v2, 0
	s_delay_alu instid0(VALU_DEP_3) | instskip(SKIP_1) | instid1(VALU_DEP_3)
	v_add_co_u32 v0, vcc_lo, v0, v9
	s_wait_alu 0xfffd
	v_add_co_ci_u32_e64 v1, null, 0, v1, vcc_lo
	global_store_b64 v2, v[0:1], s[12:13]
	s_endpgm
	.section	.rodata,"a",@progbits
	.p2align	6, 0x0
	.amdhsa_kernel _ZN7rocprim17ROCPRIM_400000_NS6detail17trampoline_kernelINS0_14default_configENS1_25partition_config_selectorILNS1_17partition_subalgoE9EiibEEZZNS1_14partition_implILS5_9ELb0ES3_jPKiN6thrust23THRUST_200600_302600_NS17counting_iteratorIiNSB_11use_defaultESD_SD_EEPNS0_10empty_typeENS0_5tupleIJPiSF_EEENSH_IJSI_SG_EEENS0_18inequality_wrapperIN6hipcub16HIPCUB_304000_NS8EqualityEEEPlJSF_EEE10hipError_tPvRmT3_T4_T5_T6_T7_T9_mT8_P12ihipStream_tbDpT10_ENKUlT_T0_E_clISt17integral_constantIbLb0EES19_IbLb1EEEEDaS15_S16_EUlS15_E_NS1_11comp_targetILNS1_3genE10ELNS1_11target_archE1200ELNS1_3gpuE4ELNS1_3repE0EEENS1_30default_config_static_selectorELNS0_4arch9wavefront6targetE0EEEvT1_
		.amdhsa_group_segment_fixed_size 10760
		.amdhsa_private_segment_fixed_size 0
		.amdhsa_kernarg_size 128
		.amdhsa_user_sgpr_count 2
		.amdhsa_user_sgpr_dispatch_ptr 0
		.amdhsa_user_sgpr_queue_ptr 0
		.amdhsa_user_sgpr_kernarg_segment_ptr 1
		.amdhsa_user_sgpr_dispatch_id 0
		.amdhsa_user_sgpr_private_segment_size 0
		.amdhsa_wavefront_size32 1
		.amdhsa_uses_dynamic_stack 0
		.amdhsa_enable_private_segment 0
		.amdhsa_system_sgpr_workgroup_id_x 1
		.amdhsa_system_sgpr_workgroup_id_y 0
		.amdhsa_system_sgpr_workgroup_id_z 0
		.amdhsa_system_sgpr_workgroup_info 0
		.amdhsa_system_vgpr_workitem_id 0
		.amdhsa_next_free_vgpr 53
		.amdhsa_next_free_sgpr 28
		.amdhsa_reserve_vcc 1
		.amdhsa_float_round_mode_32 0
		.amdhsa_float_round_mode_16_64 0
		.amdhsa_float_denorm_mode_32 3
		.amdhsa_float_denorm_mode_16_64 3
		.amdhsa_fp16_overflow 0
		.amdhsa_workgroup_processor_mode 1
		.amdhsa_memory_ordered 1
		.amdhsa_forward_progress 1
		.amdhsa_inst_pref_size 64
		.amdhsa_round_robin_scheduling 0
		.amdhsa_exception_fp_ieee_invalid_op 0
		.amdhsa_exception_fp_denorm_src 0
		.amdhsa_exception_fp_ieee_div_zero 0
		.amdhsa_exception_fp_ieee_overflow 0
		.amdhsa_exception_fp_ieee_underflow 0
		.amdhsa_exception_fp_ieee_inexact 0
		.amdhsa_exception_int_div_zero 0
	.end_amdhsa_kernel
	.section	.text._ZN7rocprim17ROCPRIM_400000_NS6detail17trampoline_kernelINS0_14default_configENS1_25partition_config_selectorILNS1_17partition_subalgoE9EiibEEZZNS1_14partition_implILS5_9ELb0ES3_jPKiN6thrust23THRUST_200600_302600_NS17counting_iteratorIiNSB_11use_defaultESD_SD_EEPNS0_10empty_typeENS0_5tupleIJPiSF_EEENSH_IJSI_SG_EEENS0_18inequality_wrapperIN6hipcub16HIPCUB_304000_NS8EqualityEEEPlJSF_EEE10hipError_tPvRmT3_T4_T5_T6_T7_T9_mT8_P12ihipStream_tbDpT10_ENKUlT_T0_E_clISt17integral_constantIbLb0EES19_IbLb1EEEEDaS15_S16_EUlS15_E_NS1_11comp_targetILNS1_3genE10ELNS1_11target_archE1200ELNS1_3gpuE4ELNS1_3repE0EEENS1_30default_config_static_selectorELNS0_4arch9wavefront6targetE0EEEvT1_,"axG",@progbits,_ZN7rocprim17ROCPRIM_400000_NS6detail17trampoline_kernelINS0_14default_configENS1_25partition_config_selectorILNS1_17partition_subalgoE9EiibEEZZNS1_14partition_implILS5_9ELb0ES3_jPKiN6thrust23THRUST_200600_302600_NS17counting_iteratorIiNSB_11use_defaultESD_SD_EEPNS0_10empty_typeENS0_5tupleIJPiSF_EEENSH_IJSI_SG_EEENS0_18inequality_wrapperIN6hipcub16HIPCUB_304000_NS8EqualityEEEPlJSF_EEE10hipError_tPvRmT3_T4_T5_T6_T7_T9_mT8_P12ihipStream_tbDpT10_ENKUlT_T0_E_clISt17integral_constantIbLb0EES19_IbLb1EEEEDaS15_S16_EUlS15_E_NS1_11comp_targetILNS1_3genE10ELNS1_11target_archE1200ELNS1_3gpuE4ELNS1_3repE0EEENS1_30default_config_static_selectorELNS0_4arch9wavefront6targetE0EEEvT1_,comdat
.Lfunc_end41:
	.size	_ZN7rocprim17ROCPRIM_400000_NS6detail17trampoline_kernelINS0_14default_configENS1_25partition_config_selectorILNS1_17partition_subalgoE9EiibEEZZNS1_14partition_implILS5_9ELb0ES3_jPKiN6thrust23THRUST_200600_302600_NS17counting_iteratorIiNSB_11use_defaultESD_SD_EEPNS0_10empty_typeENS0_5tupleIJPiSF_EEENSH_IJSI_SG_EEENS0_18inequality_wrapperIN6hipcub16HIPCUB_304000_NS8EqualityEEEPlJSF_EEE10hipError_tPvRmT3_T4_T5_T6_T7_T9_mT8_P12ihipStream_tbDpT10_ENKUlT_T0_E_clISt17integral_constantIbLb0EES19_IbLb1EEEEDaS15_S16_EUlS15_E_NS1_11comp_targetILNS1_3genE10ELNS1_11target_archE1200ELNS1_3gpuE4ELNS1_3repE0EEENS1_30default_config_static_selectorELNS0_4arch9wavefront6targetE0EEEvT1_, .Lfunc_end41-_ZN7rocprim17ROCPRIM_400000_NS6detail17trampoline_kernelINS0_14default_configENS1_25partition_config_selectorILNS1_17partition_subalgoE9EiibEEZZNS1_14partition_implILS5_9ELb0ES3_jPKiN6thrust23THRUST_200600_302600_NS17counting_iteratorIiNSB_11use_defaultESD_SD_EEPNS0_10empty_typeENS0_5tupleIJPiSF_EEENSH_IJSI_SG_EEENS0_18inequality_wrapperIN6hipcub16HIPCUB_304000_NS8EqualityEEEPlJSF_EEE10hipError_tPvRmT3_T4_T5_T6_T7_T9_mT8_P12ihipStream_tbDpT10_ENKUlT_T0_E_clISt17integral_constantIbLb0EES19_IbLb1EEEEDaS15_S16_EUlS15_E_NS1_11comp_targetILNS1_3genE10ELNS1_11target_archE1200ELNS1_3gpuE4ELNS1_3repE0EEENS1_30default_config_static_selectorELNS0_4arch9wavefront6targetE0EEEvT1_
                                        ; -- End function
	.set _ZN7rocprim17ROCPRIM_400000_NS6detail17trampoline_kernelINS0_14default_configENS1_25partition_config_selectorILNS1_17partition_subalgoE9EiibEEZZNS1_14partition_implILS5_9ELb0ES3_jPKiN6thrust23THRUST_200600_302600_NS17counting_iteratorIiNSB_11use_defaultESD_SD_EEPNS0_10empty_typeENS0_5tupleIJPiSF_EEENSH_IJSI_SG_EEENS0_18inequality_wrapperIN6hipcub16HIPCUB_304000_NS8EqualityEEEPlJSF_EEE10hipError_tPvRmT3_T4_T5_T6_T7_T9_mT8_P12ihipStream_tbDpT10_ENKUlT_T0_E_clISt17integral_constantIbLb0EES19_IbLb1EEEEDaS15_S16_EUlS15_E_NS1_11comp_targetILNS1_3genE10ELNS1_11target_archE1200ELNS1_3gpuE4ELNS1_3repE0EEENS1_30default_config_static_selectorELNS0_4arch9wavefront6targetE0EEEvT1_.num_vgpr, 53
	.set _ZN7rocprim17ROCPRIM_400000_NS6detail17trampoline_kernelINS0_14default_configENS1_25partition_config_selectorILNS1_17partition_subalgoE9EiibEEZZNS1_14partition_implILS5_9ELb0ES3_jPKiN6thrust23THRUST_200600_302600_NS17counting_iteratorIiNSB_11use_defaultESD_SD_EEPNS0_10empty_typeENS0_5tupleIJPiSF_EEENSH_IJSI_SG_EEENS0_18inequality_wrapperIN6hipcub16HIPCUB_304000_NS8EqualityEEEPlJSF_EEE10hipError_tPvRmT3_T4_T5_T6_T7_T9_mT8_P12ihipStream_tbDpT10_ENKUlT_T0_E_clISt17integral_constantIbLb0EES19_IbLb1EEEEDaS15_S16_EUlS15_E_NS1_11comp_targetILNS1_3genE10ELNS1_11target_archE1200ELNS1_3gpuE4ELNS1_3repE0EEENS1_30default_config_static_selectorELNS0_4arch9wavefront6targetE0EEEvT1_.num_agpr, 0
	.set _ZN7rocprim17ROCPRIM_400000_NS6detail17trampoline_kernelINS0_14default_configENS1_25partition_config_selectorILNS1_17partition_subalgoE9EiibEEZZNS1_14partition_implILS5_9ELb0ES3_jPKiN6thrust23THRUST_200600_302600_NS17counting_iteratorIiNSB_11use_defaultESD_SD_EEPNS0_10empty_typeENS0_5tupleIJPiSF_EEENSH_IJSI_SG_EEENS0_18inequality_wrapperIN6hipcub16HIPCUB_304000_NS8EqualityEEEPlJSF_EEE10hipError_tPvRmT3_T4_T5_T6_T7_T9_mT8_P12ihipStream_tbDpT10_ENKUlT_T0_E_clISt17integral_constantIbLb0EES19_IbLb1EEEEDaS15_S16_EUlS15_E_NS1_11comp_targetILNS1_3genE10ELNS1_11target_archE1200ELNS1_3gpuE4ELNS1_3repE0EEENS1_30default_config_static_selectorELNS0_4arch9wavefront6targetE0EEEvT1_.numbered_sgpr, 28
	.set _ZN7rocprim17ROCPRIM_400000_NS6detail17trampoline_kernelINS0_14default_configENS1_25partition_config_selectorILNS1_17partition_subalgoE9EiibEEZZNS1_14partition_implILS5_9ELb0ES3_jPKiN6thrust23THRUST_200600_302600_NS17counting_iteratorIiNSB_11use_defaultESD_SD_EEPNS0_10empty_typeENS0_5tupleIJPiSF_EEENSH_IJSI_SG_EEENS0_18inequality_wrapperIN6hipcub16HIPCUB_304000_NS8EqualityEEEPlJSF_EEE10hipError_tPvRmT3_T4_T5_T6_T7_T9_mT8_P12ihipStream_tbDpT10_ENKUlT_T0_E_clISt17integral_constantIbLb0EES19_IbLb1EEEEDaS15_S16_EUlS15_E_NS1_11comp_targetILNS1_3genE10ELNS1_11target_archE1200ELNS1_3gpuE4ELNS1_3repE0EEENS1_30default_config_static_selectorELNS0_4arch9wavefront6targetE0EEEvT1_.num_named_barrier, 0
	.set _ZN7rocprim17ROCPRIM_400000_NS6detail17trampoline_kernelINS0_14default_configENS1_25partition_config_selectorILNS1_17partition_subalgoE9EiibEEZZNS1_14partition_implILS5_9ELb0ES3_jPKiN6thrust23THRUST_200600_302600_NS17counting_iteratorIiNSB_11use_defaultESD_SD_EEPNS0_10empty_typeENS0_5tupleIJPiSF_EEENSH_IJSI_SG_EEENS0_18inequality_wrapperIN6hipcub16HIPCUB_304000_NS8EqualityEEEPlJSF_EEE10hipError_tPvRmT3_T4_T5_T6_T7_T9_mT8_P12ihipStream_tbDpT10_ENKUlT_T0_E_clISt17integral_constantIbLb0EES19_IbLb1EEEEDaS15_S16_EUlS15_E_NS1_11comp_targetILNS1_3genE10ELNS1_11target_archE1200ELNS1_3gpuE4ELNS1_3repE0EEENS1_30default_config_static_selectorELNS0_4arch9wavefront6targetE0EEEvT1_.private_seg_size, 0
	.set _ZN7rocprim17ROCPRIM_400000_NS6detail17trampoline_kernelINS0_14default_configENS1_25partition_config_selectorILNS1_17partition_subalgoE9EiibEEZZNS1_14partition_implILS5_9ELb0ES3_jPKiN6thrust23THRUST_200600_302600_NS17counting_iteratorIiNSB_11use_defaultESD_SD_EEPNS0_10empty_typeENS0_5tupleIJPiSF_EEENSH_IJSI_SG_EEENS0_18inequality_wrapperIN6hipcub16HIPCUB_304000_NS8EqualityEEEPlJSF_EEE10hipError_tPvRmT3_T4_T5_T6_T7_T9_mT8_P12ihipStream_tbDpT10_ENKUlT_T0_E_clISt17integral_constantIbLb0EES19_IbLb1EEEEDaS15_S16_EUlS15_E_NS1_11comp_targetILNS1_3genE10ELNS1_11target_archE1200ELNS1_3gpuE4ELNS1_3repE0EEENS1_30default_config_static_selectorELNS0_4arch9wavefront6targetE0EEEvT1_.uses_vcc, 1
	.set _ZN7rocprim17ROCPRIM_400000_NS6detail17trampoline_kernelINS0_14default_configENS1_25partition_config_selectorILNS1_17partition_subalgoE9EiibEEZZNS1_14partition_implILS5_9ELb0ES3_jPKiN6thrust23THRUST_200600_302600_NS17counting_iteratorIiNSB_11use_defaultESD_SD_EEPNS0_10empty_typeENS0_5tupleIJPiSF_EEENSH_IJSI_SG_EEENS0_18inequality_wrapperIN6hipcub16HIPCUB_304000_NS8EqualityEEEPlJSF_EEE10hipError_tPvRmT3_T4_T5_T6_T7_T9_mT8_P12ihipStream_tbDpT10_ENKUlT_T0_E_clISt17integral_constantIbLb0EES19_IbLb1EEEEDaS15_S16_EUlS15_E_NS1_11comp_targetILNS1_3genE10ELNS1_11target_archE1200ELNS1_3gpuE4ELNS1_3repE0EEENS1_30default_config_static_selectorELNS0_4arch9wavefront6targetE0EEEvT1_.uses_flat_scratch, 0
	.set _ZN7rocprim17ROCPRIM_400000_NS6detail17trampoline_kernelINS0_14default_configENS1_25partition_config_selectorILNS1_17partition_subalgoE9EiibEEZZNS1_14partition_implILS5_9ELb0ES3_jPKiN6thrust23THRUST_200600_302600_NS17counting_iteratorIiNSB_11use_defaultESD_SD_EEPNS0_10empty_typeENS0_5tupleIJPiSF_EEENSH_IJSI_SG_EEENS0_18inequality_wrapperIN6hipcub16HIPCUB_304000_NS8EqualityEEEPlJSF_EEE10hipError_tPvRmT3_T4_T5_T6_T7_T9_mT8_P12ihipStream_tbDpT10_ENKUlT_T0_E_clISt17integral_constantIbLb0EES19_IbLb1EEEEDaS15_S16_EUlS15_E_NS1_11comp_targetILNS1_3genE10ELNS1_11target_archE1200ELNS1_3gpuE4ELNS1_3repE0EEENS1_30default_config_static_selectorELNS0_4arch9wavefront6targetE0EEEvT1_.has_dyn_sized_stack, 0
	.set _ZN7rocprim17ROCPRIM_400000_NS6detail17trampoline_kernelINS0_14default_configENS1_25partition_config_selectorILNS1_17partition_subalgoE9EiibEEZZNS1_14partition_implILS5_9ELb0ES3_jPKiN6thrust23THRUST_200600_302600_NS17counting_iteratorIiNSB_11use_defaultESD_SD_EEPNS0_10empty_typeENS0_5tupleIJPiSF_EEENSH_IJSI_SG_EEENS0_18inequality_wrapperIN6hipcub16HIPCUB_304000_NS8EqualityEEEPlJSF_EEE10hipError_tPvRmT3_T4_T5_T6_T7_T9_mT8_P12ihipStream_tbDpT10_ENKUlT_T0_E_clISt17integral_constantIbLb0EES19_IbLb1EEEEDaS15_S16_EUlS15_E_NS1_11comp_targetILNS1_3genE10ELNS1_11target_archE1200ELNS1_3gpuE4ELNS1_3repE0EEENS1_30default_config_static_selectorELNS0_4arch9wavefront6targetE0EEEvT1_.has_recursion, 0
	.set _ZN7rocprim17ROCPRIM_400000_NS6detail17trampoline_kernelINS0_14default_configENS1_25partition_config_selectorILNS1_17partition_subalgoE9EiibEEZZNS1_14partition_implILS5_9ELb0ES3_jPKiN6thrust23THRUST_200600_302600_NS17counting_iteratorIiNSB_11use_defaultESD_SD_EEPNS0_10empty_typeENS0_5tupleIJPiSF_EEENSH_IJSI_SG_EEENS0_18inequality_wrapperIN6hipcub16HIPCUB_304000_NS8EqualityEEEPlJSF_EEE10hipError_tPvRmT3_T4_T5_T6_T7_T9_mT8_P12ihipStream_tbDpT10_ENKUlT_T0_E_clISt17integral_constantIbLb0EES19_IbLb1EEEEDaS15_S16_EUlS15_E_NS1_11comp_targetILNS1_3genE10ELNS1_11target_archE1200ELNS1_3gpuE4ELNS1_3repE0EEENS1_30default_config_static_selectorELNS0_4arch9wavefront6targetE0EEEvT1_.has_indirect_call, 0
	.section	.AMDGPU.csdata,"",@progbits
; Kernel info:
; codeLenInByte = 8152
; TotalNumSgprs: 30
; NumVgprs: 53
; ScratchSize: 0
; MemoryBound: 0
; FloatMode: 240
; IeeeMode: 1
; LDSByteSize: 10760 bytes/workgroup (compile time only)
; SGPRBlocks: 0
; VGPRBlocks: 6
; NumSGPRsForWavesPerEU: 30
; NumVGPRsForWavesPerEU: 53
; Occupancy: 15
; WaveLimiterHint : 1
; COMPUTE_PGM_RSRC2:SCRATCH_EN: 0
; COMPUTE_PGM_RSRC2:USER_SGPR: 2
; COMPUTE_PGM_RSRC2:TRAP_HANDLER: 0
; COMPUTE_PGM_RSRC2:TGID_X_EN: 1
; COMPUTE_PGM_RSRC2:TGID_Y_EN: 0
; COMPUTE_PGM_RSRC2:TGID_Z_EN: 0
; COMPUTE_PGM_RSRC2:TIDIG_COMP_CNT: 0
	.section	.text._ZN7rocprim17ROCPRIM_400000_NS6detail17trampoline_kernelINS0_14default_configENS1_25partition_config_selectorILNS1_17partition_subalgoE9EiibEEZZNS1_14partition_implILS5_9ELb0ES3_jPKiN6thrust23THRUST_200600_302600_NS17counting_iteratorIiNSB_11use_defaultESD_SD_EEPNS0_10empty_typeENS0_5tupleIJPiSF_EEENSH_IJSI_SG_EEENS0_18inequality_wrapperIN6hipcub16HIPCUB_304000_NS8EqualityEEEPlJSF_EEE10hipError_tPvRmT3_T4_T5_T6_T7_T9_mT8_P12ihipStream_tbDpT10_ENKUlT_T0_E_clISt17integral_constantIbLb0EES19_IbLb1EEEEDaS15_S16_EUlS15_E_NS1_11comp_targetILNS1_3genE9ELNS1_11target_archE1100ELNS1_3gpuE3ELNS1_3repE0EEENS1_30default_config_static_selectorELNS0_4arch9wavefront6targetE0EEEvT1_,"axG",@progbits,_ZN7rocprim17ROCPRIM_400000_NS6detail17trampoline_kernelINS0_14default_configENS1_25partition_config_selectorILNS1_17partition_subalgoE9EiibEEZZNS1_14partition_implILS5_9ELb0ES3_jPKiN6thrust23THRUST_200600_302600_NS17counting_iteratorIiNSB_11use_defaultESD_SD_EEPNS0_10empty_typeENS0_5tupleIJPiSF_EEENSH_IJSI_SG_EEENS0_18inequality_wrapperIN6hipcub16HIPCUB_304000_NS8EqualityEEEPlJSF_EEE10hipError_tPvRmT3_T4_T5_T6_T7_T9_mT8_P12ihipStream_tbDpT10_ENKUlT_T0_E_clISt17integral_constantIbLb0EES19_IbLb1EEEEDaS15_S16_EUlS15_E_NS1_11comp_targetILNS1_3genE9ELNS1_11target_archE1100ELNS1_3gpuE3ELNS1_3repE0EEENS1_30default_config_static_selectorELNS0_4arch9wavefront6targetE0EEEvT1_,comdat
	.protected	_ZN7rocprim17ROCPRIM_400000_NS6detail17trampoline_kernelINS0_14default_configENS1_25partition_config_selectorILNS1_17partition_subalgoE9EiibEEZZNS1_14partition_implILS5_9ELb0ES3_jPKiN6thrust23THRUST_200600_302600_NS17counting_iteratorIiNSB_11use_defaultESD_SD_EEPNS0_10empty_typeENS0_5tupleIJPiSF_EEENSH_IJSI_SG_EEENS0_18inequality_wrapperIN6hipcub16HIPCUB_304000_NS8EqualityEEEPlJSF_EEE10hipError_tPvRmT3_T4_T5_T6_T7_T9_mT8_P12ihipStream_tbDpT10_ENKUlT_T0_E_clISt17integral_constantIbLb0EES19_IbLb1EEEEDaS15_S16_EUlS15_E_NS1_11comp_targetILNS1_3genE9ELNS1_11target_archE1100ELNS1_3gpuE3ELNS1_3repE0EEENS1_30default_config_static_selectorELNS0_4arch9wavefront6targetE0EEEvT1_ ; -- Begin function _ZN7rocprim17ROCPRIM_400000_NS6detail17trampoline_kernelINS0_14default_configENS1_25partition_config_selectorILNS1_17partition_subalgoE9EiibEEZZNS1_14partition_implILS5_9ELb0ES3_jPKiN6thrust23THRUST_200600_302600_NS17counting_iteratorIiNSB_11use_defaultESD_SD_EEPNS0_10empty_typeENS0_5tupleIJPiSF_EEENSH_IJSI_SG_EEENS0_18inequality_wrapperIN6hipcub16HIPCUB_304000_NS8EqualityEEEPlJSF_EEE10hipError_tPvRmT3_T4_T5_T6_T7_T9_mT8_P12ihipStream_tbDpT10_ENKUlT_T0_E_clISt17integral_constantIbLb0EES19_IbLb1EEEEDaS15_S16_EUlS15_E_NS1_11comp_targetILNS1_3genE9ELNS1_11target_archE1100ELNS1_3gpuE3ELNS1_3repE0EEENS1_30default_config_static_selectorELNS0_4arch9wavefront6targetE0EEEvT1_
	.globl	_ZN7rocprim17ROCPRIM_400000_NS6detail17trampoline_kernelINS0_14default_configENS1_25partition_config_selectorILNS1_17partition_subalgoE9EiibEEZZNS1_14partition_implILS5_9ELb0ES3_jPKiN6thrust23THRUST_200600_302600_NS17counting_iteratorIiNSB_11use_defaultESD_SD_EEPNS0_10empty_typeENS0_5tupleIJPiSF_EEENSH_IJSI_SG_EEENS0_18inequality_wrapperIN6hipcub16HIPCUB_304000_NS8EqualityEEEPlJSF_EEE10hipError_tPvRmT3_T4_T5_T6_T7_T9_mT8_P12ihipStream_tbDpT10_ENKUlT_T0_E_clISt17integral_constantIbLb0EES19_IbLb1EEEEDaS15_S16_EUlS15_E_NS1_11comp_targetILNS1_3genE9ELNS1_11target_archE1100ELNS1_3gpuE3ELNS1_3repE0EEENS1_30default_config_static_selectorELNS0_4arch9wavefront6targetE0EEEvT1_
	.p2align	8
	.type	_ZN7rocprim17ROCPRIM_400000_NS6detail17trampoline_kernelINS0_14default_configENS1_25partition_config_selectorILNS1_17partition_subalgoE9EiibEEZZNS1_14partition_implILS5_9ELb0ES3_jPKiN6thrust23THRUST_200600_302600_NS17counting_iteratorIiNSB_11use_defaultESD_SD_EEPNS0_10empty_typeENS0_5tupleIJPiSF_EEENSH_IJSI_SG_EEENS0_18inequality_wrapperIN6hipcub16HIPCUB_304000_NS8EqualityEEEPlJSF_EEE10hipError_tPvRmT3_T4_T5_T6_T7_T9_mT8_P12ihipStream_tbDpT10_ENKUlT_T0_E_clISt17integral_constantIbLb0EES19_IbLb1EEEEDaS15_S16_EUlS15_E_NS1_11comp_targetILNS1_3genE9ELNS1_11target_archE1100ELNS1_3gpuE3ELNS1_3repE0EEENS1_30default_config_static_selectorELNS0_4arch9wavefront6targetE0EEEvT1_,@function
_ZN7rocprim17ROCPRIM_400000_NS6detail17trampoline_kernelINS0_14default_configENS1_25partition_config_selectorILNS1_17partition_subalgoE9EiibEEZZNS1_14partition_implILS5_9ELb0ES3_jPKiN6thrust23THRUST_200600_302600_NS17counting_iteratorIiNSB_11use_defaultESD_SD_EEPNS0_10empty_typeENS0_5tupleIJPiSF_EEENSH_IJSI_SG_EEENS0_18inequality_wrapperIN6hipcub16HIPCUB_304000_NS8EqualityEEEPlJSF_EEE10hipError_tPvRmT3_T4_T5_T6_T7_T9_mT8_P12ihipStream_tbDpT10_ENKUlT_T0_E_clISt17integral_constantIbLb0EES19_IbLb1EEEEDaS15_S16_EUlS15_E_NS1_11comp_targetILNS1_3genE9ELNS1_11target_archE1100ELNS1_3gpuE3ELNS1_3repE0EEENS1_30default_config_static_selectorELNS0_4arch9wavefront6targetE0EEEvT1_: ; @_ZN7rocprim17ROCPRIM_400000_NS6detail17trampoline_kernelINS0_14default_configENS1_25partition_config_selectorILNS1_17partition_subalgoE9EiibEEZZNS1_14partition_implILS5_9ELb0ES3_jPKiN6thrust23THRUST_200600_302600_NS17counting_iteratorIiNSB_11use_defaultESD_SD_EEPNS0_10empty_typeENS0_5tupleIJPiSF_EEENSH_IJSI_SG_EEENS0_18inequality_wrapperIN6hipcub16HIPCUB_304000_NS8EqualityEEEPlJSF_EEE10hipError_tPvRmT3_T4_T5_T6_T7_T9_mT8_P12ihipStream_tbDpT10_ENKUlT_T0_E_clISt17integral_constantIbLb0EES19_IbLb1EEEEDaS15_S16_EUlS15_E_NS1_11comp_targetILNS1_3genE9ELNS1_11target_archE1100ELNS1_3gpuE3ELNS1_3repE0EEENS1_30default_config_static_selectorELNS0_4arch9wavefront6targetE0EEEvT1_
; %bb.0:
	.section	.rodata,"a",@progbits
	.p2align	6, 0x0
	.amdhsa_kernel _ZN7rocprim17ROCPRIM_400000_NS6detail17trampoline_kernelINS0_14default_configENS1_25partition_config_selectorILNS1_17partition_subalgoE9EiibEEZZNS1_14partition_implILS5_9ELb0ES3_jPKiN6thrust23THRUST_200600_302600_NS17counting_iteratorIiNSB_11use_defaultESD_SD_EEPNS0_10empty_typeENS0_5tupleIJPiSF_EEENSH_IJSI_SG_EEENS0_18inequality_wrapperIN6hipcub16HIPCUB_304000_NS8EqualityEEEPlJSF_EEE10hipError_tPvRmT3_T4_T5_T6_T7_T9_mT8_P12ihipStream_tbDpT10_ENKUlT_T0_E_clISt17integral_constantIbLb0EES19_IbLb1EEEEDaS15_S16_EUlS15_E_NS1_11comp_targetILNS1_3genE9ELNS1_11target_archE1100ELNS1_3gpuE3ELNS1_3repE0EEENS1_30default_config_static_selectorELNS0_4arch9wavefront6targetE0EEEvT1_
		.amdhsa_group_segment_fixed_size 0
		.amdhsa_private_segment_fixed_size 0
		.amdhsa_kernarg_size 128
		.amdhsa_user_sgpr_count 2
		.amdhsa_user_sgpr_dispatch_ptr 0
		.amdhsa_user_sgpr_queue_ptr 0
		.amdhsa_user_sgpr_kernarg_segment_ptr 1
		.amdhsa_user_sgpr_dispatch_id 0
		.amdhsa_user_sgpr_private_segment_size 0
		.amdhsa_wavefront_size32 1
		.amdhsa_uses_dynamic_stack 0
		.amdhsa_enable_private_segment 0
		.amdhsa_system_sgpr_workgroup_id_x 1
		.amdhsa_system_sgpr_workgroup_id_y 0
		.amdhsa_system_sgpr_workgroup_id_z 0
		.amdhsa_system_sgpr_workgroup_info 0
		.amdhsa_system_vgpr_workitem_id 0
		.amdhsa_next_free_vgpr 1
		.amdhsa_next_free_sgpr 1
		.amdhsa_reserve_vcc 0
		.amdhsa_float_round_mode_32 0
		.amdhsa_float_round_mode_16_64 0
		.amdhsa_float_denorm_mode_32 3
		.amdhsa_float_denorm_mode_16_64 3
		.amdhsa_fp16_overflow 0
		.amdhsa_workgroup_processor_mode 1
		.amdhsa_memory_ordered 1
		.amdhsa_forward_progress 1
		.amdhsa_inst_pref_size 0
		.amdhsa_round_robin_scheduling 0
		.amdhsa_exception_fp_ieee_invalid_op 0
		.amdhsa_exception_fp_denorm_src 0
		.amdhsa_exception_fp_ieee_div_zero 0
		.amdhsa_exception_fp_ieee_overflow 0
		.amdhsa_exception_fp_ieee_underflow 0
		.amdhsa_exception_fp_ieee_inexact 0
		.amdhsa_exception_int_div_zero 0
	.end_amdhsa_kernel
	.section	.text._ZN7rocprim17ROCPRIM_400000_NS6detail17trampoline_kernelINS0_14default_configENS1_25partition_config_selectorILNS1_17partition_subalgoE9EiibEEZZNS1_14partition_implILS5_9ELb0ES3_jPKiN6thrust23THRUST_200600_302600_NS17counting_iteratorIiNSB_11use_defaultESD_SD_EEPNS0_10empty_typeENS0_5tupleIJPiSF_EEENSH_IJSI_SG_EEENS0_18inequality_wrapperIN6hipcub16HIPCUB_304000_NS8EqualityEEEPlJSF_EEE10hipError_tPvRmT3_T4_T5_T6_T7_T9_mT8_P12ihipStream_tbDpT10_ENKUlT_T0_E_clISt17integral_constantIbLb0EES19_IbLb1EEEEDaS15_S16_EUlS15_E_NS1_11comp_targetILNS1_3genE9ELNS1_11target_archE1100ELNS1_3gpuE3ELNS1_3repE0EEENS1_30default_config_static_selectorELNS0_4arch9wavefront6targetE0EEEvT1_,"axG",@progbits,_ZN7rocprim17ROCPRIM_400000_NS6detail17trampoline_kernelINS0_14default_configENS1_25partition_config_selectorILNS1_17partition_subalgoE9EiibEEZZNS1_14partition_implILS5_9ELb0ES3_jPKiN6thrust23THRUST_200600_302600_NS17counting_iteratorIiNSB_11use_defaultESD_SD_EEPNS0_10empty_typeENS0_5tupleIJPiSF_EEENSH_IJSI_SG_EEENS0_18inequality_wrapperIN6hipcub16HIPCUB_304000_NS8EqualityEEEPlJSF_EEE10hipError_tPvRmT3_T4_T5_T6_T7_T9_mT8_P12ihipStream_tbDpT10_ENKUlT_T0_E_clISt17integral_constantIbLb0EES19_IbLb1EEEEDaS15_S16_EUlS15_E_NS1_11comp_targetILNS1_3genE9ELNS1_11target_archE1100ELNS1_3gpuE3ELNS1_3repE0EEENS1_30default_config_static_selectorELNS0_4arch9wavefront6targetE0EEEvT1_,comdat
.Lfunc_end42:
	.size	_ZN7rocprim17ROCPRIM_400000_NS6detail17trampoline_kernelINS0_14default_configENS1_25partition_config_selectorILNS1_17partition_subalgoE9EiibEEZZNS1_14partition_implILS5_9ELb0ES3_jPKiN6thrust23THRUST_200600_302600_NS17counting_iteratorIiNSB_11use_defaultESD_SD_EEPNS0_10empty_typeENS0_5tupleIJPiSF_EEENSH_IJSI_SG_EEENS0_18inequality_wrapperIN6hipcub16HIPCUB_304000_NS8EqualityEEEPlJSF_EEE10hipError_tPvRmT3_T4_T5_T6_T7_T9_mT8_P12ihipStream_tbDpT10_ENKUlT_T0_E_clISt17integral_constantIbLb0EES19_IbLb1EEEEDaS15_S16_EUlS15_E_NS1_11comp_targetILNS1_3genE9ELNS1_11target_archE1100ELNS1_3gpuE3ELNS1_3repE0EEENS1_30default_config_static_selectorELNS0_4arch9wavefront6targetE0EEEvT1_, .Lfunc_end42-_ZN7rocprim17ROCPRIM_400000_NS6detail17trampoline_kernelINS0_14default_configENS1_25partition_config_selectorILNS1_17partition_subalgoE9EiibEEZZNS1_14partition_implILS5_9ELb0ES3_jPKiN6thrust23THRUST_200600_302600_NS17counting_iteratorIiNSB_11use_defaultESD_SD_EEPNS0_10empty_typeENS0_5tupleIJPiSF_EEENSH_IJSI_SG_EEENS0_18inequality_wrapperIN6hipcub16HIPCUB_304000_NS8EqualityEEEPlJSF_EEE10hipError_tPvRmT3_T4_T5_T6_T7_T9_mT8_P12ihipStream_tbDpT10_ENKUlT_T0_E_clISt17integral_constantIbLb0EES19_IbLb1EEEEDaS15_S16_EUlS15_E_NS1_11comp_targetILNS1_3genE9ELNS1_11target_archE1100ELNS1_3gpuE3ELNS1_3repE0EEENS1_30default_config_static_selectorELNS0_4arch9wavefront6targetE0EEEvT1_
                                        ; -- End function
	.set _ZN7rocprim17ROCPRIM_400000_NS6detail17trampoline_kernelINS0_14default_configENS1_25partition_config_selectorILNS1_17partition_subalgoE9EiibEEZZNS1_14partition_implILS5_9ELb0ES3_jPKiN6thrust23THRUST_200600_302600_NS17counting_iteratorIiNSB_11use_defaultESD_SD_EEPNS0_10empty_typeENS0_5tupleIJPiSF_EEENSH_IJSI_SG_EEENS0_18inequality_wrapperIN6hipcub16HIPCUB_304000_NS8EqualityEEEPlJSF_EEE10hipError_tPvRmT3_T4_T5_T6_T7_T9_mT8_P12ihipStream_tbDpT10_ENKUlT_T0_E_clISt17integral_constantIbLb0EES19_IbLb1EEEEDaS15_S16_EUlS15_E_NS1_11comp_targetILNS1_3genE9ELNS1_11target_archE1100ELNS1_3gpuE3ELNS1_3repE0EEENS1_30default_config_static_selectorELNS0_4arch9wavefront6targetE0EEEvT1_.num_vgpr, 0
	.set _ZN7rocprim17ROCPRIM_400000_NS6detail17trampoline_kernelINS0_14default_configENS1_25partition_config_selectorILNS1_17partition_subalgoE9EiibEEZZNS1_14partition_implILS5_9ELb0ES3_jPKiN6thrust23THRUST_200600_302600_NS17counting_iteratorIiNSB_11use_defaultESD_SD_EEPNS0_10empty_typeENS0_5tupleIJPiSF_EEENSH_IJSI_SG_EEENS0_18inequality_wrapperIN6hipcub16HIPCUB_304000_NS8EqualityEEEPlJSF_EEE10hipError_tPvRmT3_T4_T5_T6_T7_T9_mT8_P12ihipStream_tbDpT10_ENKUlT_T0_E_clISt17integral_constantIbLb0EES19_IbLb1EEEEDaS15_S16_EUlS15_E_NS1_11comp_targetILNS1_3genE9ELNS1_11target_archE1100ELNS1_3gpuE3ELNS1_3repE0EEENS1_30default_config_static_selectorELNS0_4arch9wavefront6targetE0EEEvT1_.num_agpr, 0
	.set _ZN7rocprim17ROCPRIM_400000_NS6detail17trampoline_kernelINS0_14default_configENS1_25partition_config_selectorILNS1_17partition_subalgoE9EiibEEZZNS1_14partition_implILS5_9ELb0ES3_jPKiN6thrust23THRUST_200600_302600_NS17counting_iteratorIiNSB_11use_defaultESD_SD_EEPNS0_10empty_typeENS0_5tupleIJPiSF_EEENSH_IJSI_SG_EEENS0_18inequality_wrapperIN6hipcub16HIPCUB_304000_NS8EqualityEEEPlJSF_EEE10hipError_tPvRmT3_T4_T5_T6_T7_T9_mT8_P12ihipStream_tbDpT10_ENKUlT_T0_E_clISt17integral_constantIbLb0EES19_IbLb1EEEEDaS15_S16_EUlS15_E_NS1_11comp_targetILNS1_3genE9ELNS1_11target_archE1100ELNS1_3gpuE3ELNS1_3repE0EEENS1_30default_config_static_selectorELNS0_4arch9wavefront6targetE0EEEvT1_.numbered_sgpr, 0
	.set _ZN7rocprim17ROCPRIM_400000_NS6detail17trampoline_kernelINS0_14default_configENS1_25partition_config_selectorILNS1_17partition_subalgoE9EiibEEZZNS1_14partition_implILS5_9ELb0ES3_jPKiN6thrust23THRUST_200600_302600_NS17counting_iteratorIiNSB_11use_defaultESD_SD_EEPNS0_10empty_typeENS0_5tupleIJPiSF_EEENSH_IJSI_SG_EEENS0_18inequality_wrapperIN6hipcub16HIPCUB_304000_NS8EqualityEEEPlJSF_EEE10hipError_tPvRmT3_T4_T5_T6_T7_T9_mT8_P12ihipStream_tbDpT10_ENKUlT_T0_E_clISt17integral_constantIbLb0EES19_IbLb1EEEEDaS15_S16_EUlS15_E_NS1_11comp_targetILNS1_3genE9ELNS1_11target_archE1100ELNS1_3gpuE3ELNS1_3repE0EEENS1_30default_config_static_selectorELNS0_4arch9wavefront6targetE0EEEvT1_.num_named_barrier, 0
	.set _ZN7rocprim17ROCPRIM_400000_NS6detail17trampoline_kernelINS0_14default_configENS1_25partition_config_selectorILNS1_17partition_subalgoE9EiibEEZZNS1_14partition_implILS5_9ELb0ES3_jPKiN6thrust23THRUST_200600_302600_NS17counting_iteratorIiNSB_11use_defaultESD_SD_EEPNS0_10empty_typeENS0_5tupleIJPiSF_EEENSH_IJSI_SG_EEENS0_18inequality_wrapperIN6hipcub16HIPCUB_304000_NS8EqualityEEEPlJSF_EEE10hipError_tPvRmT3_T4_T5_T6_T7_T9_mT8_P12ihipStream_tbDpT10_ENKUlT_T0_E_clISt17integral_constantIbLb0EES19_IbLb1EEEEDaS15_S16_EUlS15_E_NS1_11comp_targetILNS1_3genE9ELNS1_11target_archE1100ELNS1_3gpuE3ELNS1_3repE0EEENS1_30default_config_static_selectorELNS0_4arch9wavefront6targetE0EEEvT1_.private_seg_size, 0
	.set _ZN7rocprim17ROCPRIM_400000_NS6detail17trampoline_kernelINS0_14default_configENS1_25partition_config_selectorILNS1_17partition_subalgoE9EiibEEZZNS1_14partition_implILS5_9ELb0ES3_jPKiN6thrust23THRUST_200600_302600_NS17counting_iteratorIiNSB_11use_defaultESD_SD_EEPNS0_10empty_typeENS0_5tupleIJPiSF_EEENSH_IJSI_SG_EEENS0_18inequality_wrapperIN6hipcub16HIPCUB_304000_NS8EqualityEEEPlJSF_EEE10hipError_tPvRmT3_T4_T5_T6_T7_T9_mT8_P12ihipStream_tbDpT10_ENKUlT_T0_E_clISt17integral_constantIbLb0EES19_IbLb1EEEEDaS15_S16_EUlS15_E_NS1_11comp_targetILNS1_3genE9ELNS1_11target_archE1100ELNS1_3gpuE3ELNS1_3repE0EEENS1_30default_config_static_selectorELNS0_4arch9wavefront6targetE0EEEvT1_.uses_vcc, 0
	.set _ZN7rocprim17ROCPRIM_400000_NS6detail17trampoline_kernelINS0_14default_configENS1_25partition_config_selectorILNS1_17partition_subalgoE9EiibEEZZNS1_14partition_implILS5_9ELb0ES3_jPKiN6thrust23THRUST_200600_302600_NS17counting_iteratorIiNSB_11use_defaultESD_SD_EEPNS0_10empty_typeENS0_5tupleIJPiSF_EEENSH_IJSI_SG_EEENS0_18inequality_wrapperIN6hipcub16HIPCUB_304000_NS8EqualityEEEPlJSF_EEE10hipError_tPvRmT3_T4_T5_T6_T7_T9_mT8_P12ihipStream_tbDpT10_ENKUlT_T0_E_clISt17integral_constantIbLb0EES19_IbLb1EEEEDaS15_S16_EUlS15_E_NS1_11comp_targetILNS1_3genE9ELNS1_11target_archE1100ELNS1_3gpuE3ELNS1_3repE0EEENS1_30default_config_static_selectorELNS0_4arch9wavefront6targetE0EEEvT1_.uses_flat_scratch, 0
	.set _ZN7rocprim17ROCPRIM_400000_NS6detail17trampoline_kernelINS0_14default_configENS1_25partition_config_selectorILNS1_17partition_subalgoE9EiibEEZZNS1_14partition_implILS5_9ELb0ES3_jPKiN6thrust23THRUST_200600_302600_NS17counting_iteratorIiNSB_11use_defaultESD_SD_EEPNS0_10empty_typeENS0_5tupleIJPiSF_EEENSH_IJSI_SG_EEENS0_18inequality_wrapperIN6hipcub16HIPCUB_304000_NS8EqualityEEEPlJSF_EEE10hipError_tPvRmT3_T4_T5_T6_T7_T9_mT8_P12ihipStream_tbDpT10_ENKUlT_T0_E_clISt17integral_constantIbLb0EES19_IbLb1EEEEDaS15_S16_EUlS15_E_NS1_11comp_targetILNS1_3genE9ELNS1_11target_archE1100ELNS1_3gpuE3ELNS1_3repE0EEENS1_30default_config_static_selectorELNS0_4arch9wavefront6targetE0EEEvT1_.has_dyn_sized_stack, 0
	.set _ZN7rocprim17ROCPRIM_400000_NS6detail17trampoline_kernelINS0_14default_configENS1_25partition_config_selectorILNS1_17partition_subalgoE9EiibEEZZNS1_14partition_implILS5_9ELb0ES3_jPKiN6thrust23THRUST_200600_302600_NS17counting_iteratorIiNSB_11use_defaultESD_SD_EEPNS0_10empty_typeENS0_5tupleIJPiSF_EEENSH_IJSI_SG_EEENS0_18inequality_wrapperIN6hipcub16HIPCUB_304000_NS8EqualityEEEPlJSF_EEE10hipError_tPvRmT3_T4_T5_T6_T7_T9_mT8_P12ihipStream_tbDpT10_ENKUlT_T0_E_clISt17integral_constantIbLb0EES19_IbLb1EEEEDaS15_S16_EUlS15_E_NS1_11comp_targetILNS1_3genE9ELNS1_11target_archE1100ELNS1_3gpuE3ELNS1_3repE0EEENS1_30default_config_static_selectorELNS0_4arch9wavefront6targetE0EEEvT1_.has_recursion, 0
	.set _ZN7rocprim17ROCPRIM_400000_NS6detail17trampoline_kernelINS0_14default_configENS1_25partition_config_selectorILNS1_17partition_subalgoE9EiibEEZZNS1_14partition_implILS5_9ELb0ES3_jPKiN6thrust23THRUST_200600_302600_NS17counting_iteratorIiNSB_11use_defaultESD_SD_EEPNS0_10empty_typeENS0_5tupleIJPiSF_EEENSH_IJSI_SG_EEENS0_18inequality_wrapperIN6hipcub16HIPCUB_304000_NS8EqualityEEEPlJSF_EEE10hipError_tPvRmT3_T4_T5_T6_T7_T9_mT8_P12ihipStream_tbDpT10_ENKUlT_T0_E_clISt17integral_constantIbLb0EES19_IbLb1EEEEDaS15_S16_EUlS15_E_NS1_11comp_targetILNS1_3genE9ELNS1_11target_archE1100ELNS1_3gpuE3ELNS1_3repE0EEENS1_30default_config_static_selectorELNS0_4arch9wavefront6targetE0EEEvT1_.has_indirect_call, 0
	.section	.AMDGPU.csdata,"",@progbits
; Kernel info:
; codeLenInByte = 0
; TotalNumSgprs: 0
; NumVgprs: 0
; ScratchSize: 0
; MemoryBound: 0
; FloatMode: 240
; IeeeMode: 1
; LDSByteSize: 0 bytes/workgroup (compile time only)
; SGPRBlocks: 0
; VGPRBlocks: 0
; NumSGPRsForWavesPerEU: 1
; NumVGPRsForWavesPerEU: 1
; Occupancy: 16
; WaveLimiterHint : 0
; COMPUTE_PGM_RSRC2:SCRATCH_EN: 0
; COMPUTE_PGM_RSRC2:USER_SGPR: 2
; COMPUTE_PGM_RSRC2:TRAP_HANDLER: 0
; COMPUTE_PGM_RSRC2:TGID_X_EN: 1
; COMPUTE_PGM_RSRC2:TGID_Y_EN: 0
; COMPUTE_PGM_RSRC2:TGID_Z_EN: 0
; COMPUTE_PGM_RSRC2:TIDIG_COMP_CNT: 0
	.section	.text._ZN7rocprim17ROCPRIM_400000_NS6detail17trampoline_kernelINS0_14default_configENS1_25partition_config_selectorILNS1_17partition_subalgoE9EiibEEZZNS1_14partition_implILS5_9ELb0ES3_jPKiN6thrust23THRUST_200600_302600_NS17counting_iteratorIiNSB_11use_defaultESD_SD_EEPNS0_10empty_typeENS0_5tupleIJPiSF_EEENSH_IJSI_SG_EEENS0_18inequality_wrapperIN6hipcub16HIPCUB_304000_NS8EqualityEEEPlJSF_EEE10hipError_tPvRmT3_T4_T5_T6_T7_T9_mT8_P12ihipStream_tbDpT10_ENKUlT_T0_E_clISt17integral_constantIbLb0EES19_IbLb1EEEEDaS15_S16_EUlS15_E_NS1_11comp_targetILNS1_3genE8ELNS1_11target_archE1030ELNS1_3gpuE2ELNS1_3repE0EEENS1_30default_config_static_selectorELNS0_4arch9wavefront6targetE0EEEvT1_,"axG",@progbits,_ZN7rocprim17ROCPRIM_400000_NS6detail17trampoline_kernelINS0_14default_configENS1_25partition_config_selectorILNS1_17partition_subalgoE9EiibEEZZNS1_14partition_implILS5_9ELb0ES3_jPKiN6thrust23THRUST_200600_302600_NS17counting_iteratorIiNSB_11use_defaultESD_SD_EEPNS0_10empty_typeENS0_5tupleIJPiSF_EEENSH_IJSI_SG_EEENS0_18inequality_wrapperIN6hipcub16HIPCUB_304000_NS8EqualityEEEPlJSF_EEE10hipError_tPvRmT3_T4_T5_T6_T7_T9_mT8_P12ihipStream_tbDpT10_ENKUlT_T0_E_clISt17integral_constantIbLb0EES19_IbLb1EEEEDaS15_S16_EUlS15_E_NS1_11comp_targetILNS1_3genE8ELNS1_11target_archE1030ELNS1_3gpuE2ELNS1_3repE0EEENS1_30default_config_static_selectorELNS0_4arch9wavefront6targetE0EEEvT1_,comdat
	.protected	_ZN7rocprim17ROCPRIM_400000_NS6detail17trampoline_kernelINS0_14default_configENS1_25partition_config_selectorILNS1_17partition_subalgoE9EiibEEZZNS1_14partition_implILS5_9ELb0ES3_jPKiN6thrust23THRUST_200600_302600_NS17counting_iteratorIiNSB_11use_defaultESD_SD_EEPNS0_10empty_typeENS0_5tupleIJPiSF_EEENSH_IJSI_SG_EEENS0_18inequality_wrapperIN6hipcub16HIPCUB_304000_NS8EqualityEEEPlJSF_EEE10hipError_tPvRmT3_T4_T5_T6_T7_T9_mT8_P12ihipStream_tbDpT10_ENKUlT_T0_E_clISt17integral_constantIbLb0EES19_IbLb1EEEEDaS15_S16_EUlS15_E_NS1_11comp_targetILNS1_3genE8ELNS1_11target_archE1030ELNS1_3gpuE2ELNS1_3repE0EEENS1_30default_config_static_selectorELNS0_4arch9wavefront6targetE0EEEvT1_ ; -- Begin function _ZN7rocprim17ROCPRIM_400000_NS6detail17trampoline_kernelINS0_14default_configENS1_25partition_config_selectorILNS1_17partition_subalgoE9EiibEEZZNS1_14partition_implILS5_9ELb0ES3_jPKiN6thrust23THRUST_200600_302600_NS17counting_iteratorIiNSB_11use_defaultESD_SD_EEPNS0_10empty_typeENS0_5tupleIJPiSF_EEENSH_IJSI_SG_EEENS0_18inequality_wrapperIN6hipcub16HIPCUB_304000_NS8EqualityEEEPlJSF_EEE10hipError_tPvRmT3_T4_T5_T6_T7_T9_mT8_P12ihipStream_tbDpT10_ENKUlT_T0_E_clISt17integral_constantIbLb0EES19_IbLb1EEEEDaS15_S16_EUlS15_E_NS1_11comp_targetILNS1_3genE8ELNS1_11target_archE1030ELNS1_3gpuE2ELNS1_3repE0EEENS1_30default_config_static_selectorELNS0_4arch9wavefront6targetE0EEEvT1_
	.globl	_ZN7rocprim17ROCPRIM_400000_NS6detail17trampoline_kernelINS0_14default_configENS1_25partition_config_selectorILNS1_17partition_subalgoE9EiibEEZZNS1_14partition_implILS5_9ELb0ES3_jPKiN6thrust23THRUST_200600_302600_NS17counting_iteratorIiNSB_11use_defaultESD_SD_EEPNS0_10empty_typeENS0_5tupleIJPiSF_EEENSH_IJSI_SG_EEENS0_18inequality_wrapperIN6hipcub16HIPCUB_304000_NS8EqualityEEEPlJSF_EEE10hipError_tPvRmT3_T4_T5_T6_T7_T9_mT8_P12ihipStream_tbDpT10_ENKUlT_T0_E_clISt17integral_constantIbLb0EES19_IbLb1EEEEDaS15_S16_EUlS15_E_NS1_11comp_targetILNS1_3genE8ELNS1_11target_archE1030ELNS1_3gpuE2ELNS1_3repE0EEENS1_30default_config_static_selectorELNS0_4arch9wavefront6targetE0EEEvT1_
	.p2align	8
	.type	_ZN7rocprim17ROCPRIM_400000_NS6detail17trampoline_kernelINS0_14default_configENS1_25partition_config_selectorILNS1_17partition_subalgoE9EiibEEZZNS1_14partition_implILS5_9ELb0ES3_jPKiN6thrust23THRUST_200600_302600_NS17counting_iteratorIiNSB_11use_defaultESD_SD_EEPNS0_10empty_typeENS0_5tupleIJPiSF_EEENSH_IJSI_SG_EEENS0_18inequality_wrapperIN6hipcub16HIPCUB_304000_NS8EqualityEEEPlJSF_EEE10hipError_tPvRmT3_T4_T5_T6_T7_T9_mT8_P12ihipStream_tbDpT10_ENKUlT_T0_E_clISt17integral_constantIbLb0EES19_IbLb1EEEEDaS15_S16_EUlS15_E_NS1_11comp_targetILNS1_3genE8ELNS1_11target_archE1030ELNS1_3gpuE2ELNS1_3repE0EEENS1_30default_config_static_selectorELNS0_4arch9wavefront6targetE0EEEvT1_,@function
_ZN7rocprim17ROCPRIM_400000_NS6detail17trampoline_kernelINS0_14default_configENS1_25partition_config_selectorILNS1_17partition_subalgoE9EiibEEZZNS1_14partition_implILS5_9ELb0ES3_jPKiN6thrust23THRUST_200600_302600_NS17counting_iteratorIiNSB_11use_defaultESD_SD_EEPNS0_10empty_typeENS0_5tupleIJPiSF_EEENSH_IJSI_SG_EEENS0_18inequality_wrapperIN6hipcub16HIPCUB_304000_NS8EqualityEEEPlJSF_EEE10hipError_tPvRmT3_T4_T5_T6_T7_T9_mT8_P12ihipStream_tbDpT10_ENKUlT_T0_E_clISt17integral_constantIbLb0EES19_IbLb1EEEEDaS15_S16_EUlS15_E_NS1_11comp_targetILNS1_3genE8ELNS1_11target_archE1030ELNS1_3gpuE2ELNS1_3repE0EEENS1_30default_config_static_selectorELNS0_4arch9wavefront6targetE0EEEvT1_: ; @_ZN7rocprim17ROCPRIM_400000_NS6detail17trampoline_kernelINS0_14default_configENS1_25partition_config_selectorILNS1_17partition_subalgoE9EiibEEZZNS1_14partition_implILS5_9ELb0ES3_jPKiN6thrust23THRUST_200600_302600_NS17counting_iteratorIiNSB_11use_defaultESD_SD_EEPNS0_10empty_typeENS0_5tupleIJPiSF_EEENSH_IJSI_SG_EEENS0_18inequality_wrapperIN6hipcub16HIPCUB_304000_NS8EqualityEEEPlJSF_EEE10hipError_tPvRmT3_T4_T5_T6_T7_T9_mT8_P12ihipStream_tbDpT10_ENKUlT_T0_E_clISt17integral_constantIbLb0EES19_IbLb1EEEEDaS15_S16_EUlS15_E_NS1_11comp_targetILNS1_3genE8ELNS1_11target_archE1030ELNS1_3gpuE2ELNS1_3repE0EEENS1_30default_config_static_selectorELNS0_4arch9wavefront6targetE0EEEvT1_
; %bb.0:
	.section	.rodata,"a",@progbits
	.p2align	6, 0x0
	.amdhsa_kernel _ZN7rocprim17ROCPRIM_400000_NS6detail17trampoline_kernelINS0_14default_configENS1_25partition_config_selectorILNS1_17partition_subalgoE9EiibEEZZNS1_14partition_implILS5_9ELb0ES3_jPKiN6thrust23THRUST_200600_302600_NS17counting_iteratorIiNSB_11use_defaultESD_SD_EEPNS0_10empty_typeENS0_5tupleIJPiSF_EEENSH_IJSI_SG_EEENS0_18inequality_wrapperIN6hipcub16HIPCUB_304000_NS8EqualityEEEPlJSF_EEE10hipError_tPvRmT3_T4_T5_T6_T7_T9_mT8_P12ihipStream_tbDpT10_ENKUlT_T0_E_clISt17integral_constantIbLb0EES19_IbLb1EEEEDaS15_S16_EUlS15_E_NS1_11comp_targetILNS1_3genE8ELNS1_11target_archE1030ELNS1_3gpuE2ELNS1_3repE0EEENS1_30default_config_static_selectorELNS0_4arch9wavefront6targetE0EEEvT1_
		.amdhsa_group_segment_fixed_size 0
		.amdhsa_private_segment_fixed_size 0
		.amdhsa_kernarg_size 128
		.amdhsa_user_sgpr_count 2
		.amdhsa_user_sgpr_dispatch_ptr 0
		.amdhsa_user_sgpr_queue_ptr 0
		.amdhsa_user_sgpr_kernarg_segment_ptr 1
		.amdhsa_user_sgpr_dispatch_id 0
		.amdhsa_user_sgpr_private_segment_size 0
		.amdhsa_wavefront_size32 1
		.amdhsa_uses_dynamic_stack 0
		.amdhsa_enable_private_segment 0
		.amdhsa_system_sgpr_workgroup_id_x 1
		.amdhsa_system_sgpr_workgroup_id_y 0
		.amdhsa_system_sgpr_workgroup_id_z 0
		.amdhsa_system_sgpr_workgroup_info 0
		.amdhsa_system_vgpr_workitem_id 0
		.amdhsa_next_free_vgpr 1
		.amdhsa_next_free_sgpr 1
		.amdhsa_reserve_vcc 0
		.amdhsa_float_round_mode_32 0
		.amdhsa_float_round_mode_16_64 0
		.amdhsa_float_denorm_mode_32 3
		.amdhsa_float_denorm_mode_16_64 3
		.amdhsa_fp16_overflow 0
		.amdhsa_workgroup_processor_mode 1
		.amdhsa_memory_ordered 1
		.amdhsa_forward_progress 1
		.amdhsa_inst_pref_size 0
		.amdhsa_round_robin_scheduling 0
		.amdhsa_exception_fp_ieee_invalid_op 0
		.amdhsa_exception_fp_denorm_src 0
		.amdhsa_exception_fp_ieee_div_zero 0
		.amdhsa_exception_fp_ieee_overflow 0
		.amdhsa_exception_fp_ieee_underflow 0
		.amdhsa_exception_fp_ieee_inexact 0
		.amdhsa_exception_int_div_zero 0
	.end_amdhsa_kernel
	.section	.text._ZN7rocprim17ROCPRIM_400000_NS6detail17trampoline_kernelINS0_14default_configENS1_25partition_config_selectorILNS1_17partition_subalgoE9EiibEEZZNS1_14partition_implILS5_9ELb0ES3_jPKiN6thrust23THRUST_200600_302600_NS17counting_iteratorIiNSB_11use_defaultESD_SD_EEPNS0_10empty_typeENS0_5tupleIJPiSF_EEENSH_IJSI_SG_EEENS0_18inequality_wrapperIN6hipcub16HIPCUB_304000_NS8EqualityEEEPlJSF_EEE10hipError_tPvRmT3_T4_T5_T6_T7_T9_mT8_P12ihipStream_tbDpT10_ENKUlT_T0_E_clISt17integral_constantIbLb0EES19_IbLb1EEEEDaS15_S16_EUlS15_E_NS1_11comp_targetILNS1_3genE8ELNS1_11target_archE1030ELNS1_3gpuE2ELNS1_3repE0EEENS1_30default_config_static_selectorELNS0_4arch9wavefront6targetE0EEEvT1_,"axG",@progbits,_ZN7rocprim17ROCPRIM_400000_NS6detail17trampoline_kernelINS0_14default_configENS1_25partition_config_selectorILNS1_17partition_subalgoE9EiibEEZZNS1_14partition_implILS5_9ELb0ES3_jPKiN6thrust23THRUST_200600_302600_NS17counting_iteratorIiNSB_11use_defaultESD_SD_EEPNS0_10empty_typeENS0_5tupleIJPiSF_EEENSH_IJSI_SG_EEENS0_18inequality_wrapperIN6hipcub16HIPCUB_304000_NS8EqualityEEEPlJSF_EEE10hipError_tPvRmT3_T4_T5_T6_T7_T9_mT8_P12ihipStream_tbDpT10_ENKUlT_T0_E_clISt17integral_constantIbLb0EES19_IbLb1EEEEDaS15_S16_EUlS15_E_NS1_11comp_targetILNS1_3genE8ELNS1_11target_archE1030ELNS1_3gpuE2ELNS1_3repE0EEENS1_30default_config_static_selectorELNS0_4arch9wavefront6targetE0EEEvT1_,comdat
.Lfunc_end43:
	.size	_ZN7rocprim17ROCPRIM_400000_NS6detail17trampoline_kernelINS0_14default_configENS1_25partition_config_selectorILNS1_17partition_subalgoE9EiibEEZZNS1_14partition_implILS5_9ELb0ES3_jPKiN6thrust23THRUST_200600_302600_NS17counting_iteratorIiNSB_11use_defaultESD_SD_EEPNS0_10empty_typeENS0_5tupleIJPiSF_EEENSH_IJSI_SG_EEENS0_18inequality_wrapperIN6hipcub16HIPCUB_304000_NS8EqualityEEEPlJSF_EEE10hipError_tPvRmT3_T4_T5_T6_T7_T9_mT8_P12ihipStream_tbDpT10_ENKUlT_T0_E_clISt17integral_constantIbLb0EES19_IbLb1EEEEDaS15_S16_EUlS15_E_NS1_11comp_targetILNS1_3genE8ELNS1_11target_archE1030ELNS1_3gpuE2ELNS1_3repE0EEENS1_30default_config_static_selectorELNS0_4arch9wavefront6targetE0EEEvT1_, .Lfunc_end43-_ZN7rocprim17ROCPRIM_400000_NS6detail17trampoline_kernelINS0_14default_configENS1_25partition_config_selectorILNS1_17partition_subalgoE9EiibEEZZNS1_14partition_implILS5_9ELb0ES3_jPKiN6thrust23THRUST_200600_302600_NS17counting_iteratorIiNSB_11use_defaultESD_SD_EEPNS0_10empty_typeENS0_5tupleIJPiSF_EEENSH_IJSI_SG_EEENS0_18inequality_wrapperIN6hipcub16HIPCUB_304000_NS8EqualityEEEPlJSF_EEE10hipError_tPvRmT3_T4_T5_T6_T7_T9_mT8_P12ihipStream_tbDpT10_ENKUlT_T0_E_clISt17integral_constantIbLb0EES19_IbLb1EEEEDaS15_S16_EUlS15_E_NS1_11comp_targetILNS1_3genE8ELNS1_11target_archE1030ELNS1_3gpuE2ELNS1_3repE0EEENS1_30default_config_static_selectorELNS0_4arch9wavefront6targetE0EEEvT1_
                                        ; -- End function
	.set _ZN7rocprim17ROCPRIM_400000_NS6detail17trampoline_kernelINS0_14default_configENS1_25partition_config_selectorILNS1_17partition_subalgoE9EiibEEZZNS1_14partition_implILS5_9ELb0ES3_jPKiN6thrust23THRUST_200600_302600_NS17counting_iteratorIiNSB_11use_defaultESD_SD_EEPNS0_10empty_typeENS0_5tupleIJPiSF_EEENSH_IJSI_SG_EEENS0_18inequality_wrapperIN6hipcub16HIPCUB_304000_NS8EqualityEEEPlJSF_EEE10hipError_tPvRmT3_T4_T5_T6_T7_T9_mT8_P12ihipStream_tbDpT10_ENKUlT_T0_E_clISt17integral_constantIbLb0EES19_IbLb1EEEEDaS15_S16_EUlS15_E_NS1_11comp_targetILNS1_3genE8ELNS1_11target_archE1030ELNS1_3gpuE2ELNS1_3repE0EEENS1_30default_config_static_selectorELNS0_4arch9wavefront6targetE0EEEvT1_.num_vgpr, 0
	.set _ZN7rocprim17ROCPRIM_400000_NS6detail17trampoline_kernelINS0_14default_configENS1_25partition_config_selectorILNS1_17partition_subalgoE9EiibEEZZNS1_14partition_implILS5_9ELb0ES3_jPKiN6thrust23THRUST_200600_302600_NS17counting_iteratorIiNSB_11use_defaultESD_SD_EEPNS0_10empty_typeENS0_5tupleIJPiSF_EEENSH_IJSI_SG_EEENS0_18inequality_wrapperIN6hipcub16HIPCUB_304000_NS8EqualityEEEPlJSF_EEE10hipError_tPvRmT3_T4_T5_T6_T7_T9_mT8_P12ihipStream_tbDpT10_ENKUlT_T0_E_clISt17integral_constantIbLb0EES19_IbLb1EEEEDaS15_S16_EUlS15_E_NS1_11comp_targetILNS1_3genE8ELNS1_11target_archE1030ELNS1_3gpuE2ELNS1_3repE0EEENS1_30default_config_static_selectorELNS0_4arch9wavefront6targetE0EEEvT1_.num_agpr, 0
	.set _ZN7rocprim17ROCPRIM_400000_NS6detail17trampoline_kernelINS0_14default_configENS1_25partition_config_selectorILNS1_17partition_subalgoE9EiibEEZZNS1_14partition_implILS5_9ELb0ES3_jPKiN6thrust23THRUST_200600_302600_NS17counting_iteratorIiNSB_11use_defaultESD_SD_EEPNS0_10empty_typeENS0_5tupleIJPiSF_EEENSH_IJSI_SG_EEENS0_18inequality_wrapperIN6hipcub16HIPCUB_304000_NS8EqualityEEEPlJSF_EEE10hipError_tPvRmT3_T4_T5_T6_T7_T9_mT8_P12ihipStream_tbDpT10_ENKUlT_T0_E_clISt17integral_constantIbLb0EES19_IbLb1EEEEDaS15_S16_EUlS15_E_NS1_11comp_targetILNS1_3genE8ELNS1_11target_archE1030ELNS1_3gpuE2ELNS1_3repE0EEENS1_30default_config_static_selectorELNS0_4arch9wavefront6targetE0EEEvT1_.numbered_sgpr, 0
	.set _ZN7rocprim17ROCPRIM_400000_NS6detail17trampoline_kernelINS0_14default_configENS1_25partition_config_selectorILNS1_17partition_subalgoE9EiibEEZZNS1_14partition_implILS5_9ELb0ES3_jPKiN6thrust23THRUST_200600_302600_NS17counting_iteratorIiNSB_11use_defaultESD_SD_EEPNS0_10empty_typeENS0_5tupleIJPiSF_EEENSH_IJSI_SG_EEENS0_18inequality_wrapperIN6hipcub16HIPCUB_304000_NS8EqualityEEEPlJSF_EEE10hipError_tPvRmT3_T4_T5_T6_T7_T9_mT8_P12ihipStream_tbDpT10_ENKUlT_T0_E_clISt17integral_constantIbLb0EES19_IbLb1EEEEDaS15_S16_EUlS15_E_NS1_11comp_targetILNS1_3genE8ELNS1_11target_archE1030ELNS1_3gpuE2ELNS1_3repE0EEENS1_30default_config_static_selectorELNS0_4arch9wavefront6targetE0EEEvT1_.num_named_barrier, 0
	.set _ZN7rocprim17ROCPRIM_400000_NS6detail17trampoline_kernelINS0_14default_configENS1_25partition_config_selectorILNS1_17partition_subalgoE9EiibEEZZNS1_14partition_implILS5_9ELb0ES3_jPKiN6thrust23THRUST_200600_302600_NS17counting_iteratorIiNSB_11use_defaultESD_SD_EEPNS0_10empty_typeENS0_5tupleIJPiSF_EEENSH_IJSI_SG_EEENS0_18inequality_wrapperIN6hipcub16HIPCUB_304000_NS8EqualityEEEPlJSF_EEE10hipError_tPvRmT3_T4_T5_T6_T7_T9_mT8_P12ihipStream_tbDpT10_ENKUlT_T0_E_clISt17integral_constantIbLb0EES19_IbLb1EEEEDaS15_S16_EUlS15_E_NS1_11comp_targetILNS1_3genE8ELNS1_11target_archE1030ELNS1_3gpuE2ELNS1_3repE0EEENS1_30default_config_static_selectorELNS0_4arch9wavefront6targetE0EEEvT1_.private_seg_size, 0
	.set _ZN7rocprim17ROCPRIM_400000_NS6detail17trampoline_kernelINS0_14default_configENS1_25partition_config_selectorILNS1_17partition_subalgoE9EiibEEZZNS1_14partition_implILS5_9ELb0ES3_jPKiN6thrust23THRUST_200600_302600_NS17counting_iteratorIiNSB_11use_defaultESD_SD_EEPNS0_10empty_typeENS0_5tupleIJPiSF_EEENSH_IJSI_SG_EEENS0_18inequality_wrapperIN6hipcub16HIPCUB_304000_NS8EqualityEEEPlJSF_EEE10hipError_tPvRmT3_T4_T5_T6_T7_T9_mT8_P12ihipStream_tbDpT10_ENKUlT_T0_E_clISt17integral_constantIbLb0EES19_IbLb1EEEEDaS15_S16_EUlS15_E_NS1_11comp_targetILNS1_3genE8ELNS1_11target_archE1030ELNS1_3gpuE2ELNS1_3repE0EEENS1_30default_config_static_selectorELNS0_4arch9wavefront6targetE0EEEvT1_.uses_vcc, 0
	.set _ZN7rocprim17ROCPRIM_400000_NS6detail17trampoline_kernelINS0_14default_configENS1_25partition_config_selectorILNS1_17partition_subalgoE9EiibEEZZNS1_14partition_implILS5_9ELb0ES3_jPKiN6thrust23THRUST_200600_302600_NS17counting_iteratorIiNSB_11use_defaultESD_SD_EEPNS0_10empty_typeENS0_5tupleIJPiSF_EEENSH_IJSI_SG_EEENS0_18inequality_wrapperIN6hipcub16HIPCUB_304000_NS8EqualityEEEPlJSF_EEE10hipError_tPvRmT3_T4_T5_T6_T7_T9_mT8_P12ihipStream_tbDpT10_ENKUlT_T0_E_clISt17integral_constantIbLb0EES19_IbLb1EEEEDaS15_S16_EUlS15_E_NS1_11comp_targetILNS1_3genE8ELNS1_11target_archE1030ELNS1_3gpuE2ELNS1_3repE0EEENS1_30default_config_static_selectorELNS0_4arch9wavefront6targetE0EEEvT1_.uses_flat_scratch, 0
	.set _ZN7rocprim17ROCPRIM_400000_NS6detail17trampoline_kernelINS0_14default_configENS1_25partition_config_selectorILNS1_17partition_subalgoE9EiibEEZZNS1_14partition_implILS5_9ELb0ES3_jPKiN6thrust23THRUST_200600_302600_NS17counting_iteratorIiNSB_11use_defaultESD_SD_EEPNS0_10empty_typeENS0_5tupleIJPiSF_EEENSH_IJSI_SG_EEENS0_18inequality_wrapperIN6hipcub16HIPCUB_304000_NS8EqualityEEEPlJSF_EEE10hipError_tPvRmT3_T4_T5_T6_T7_T9_mT8_P12ihipStream_tbDpT10_ENKUlT_T0_E_clISt17integral_constantIbLb0EES19_IbLb1EEEEDaS15_S16_EUlS15_E_NS1_11comp_targetILNS1_3genE8ELNS1_11target_archE1030ELNS1_3gpuE2ELNS1_3repE0EEENS1_30default_config_static_selectorELNS0_4arch9wavefront6targetE0EEEvT1_.has_dyn_sized_stack, 0
	.set _ZN7rocprim17ROCPRIM_400000_NS6detail17trampoline_kernelINS0_14default_configENS1_25partition_config_selectorILNS1_17partition_subalgoE9EiibEEZZNS1_14partition_implILS5_9ELb0ES3_jPKiN6thrust23THRUST_200600_302600_NS17counting_iteratorIiNSB_11use_defaultESD_SD_EEPNS0_10empty_typeENS0_5tupleIJPiSF_EEENSH_IJSI_SG_EEENS0_18inequality_wrapperIN6hipcub16HIPCUB_304000_NS8EqualityEEEPlJSF_EEE10hipError_tPvRmT3_T4_T5_T6_T7_T9_mT8_P12ihipStream_tbDpT10_ENKUlT_T0_E_clISt17integral_constantIbLb0EES19_IbLb1EEEEDaS15_S16_EUlS15_E_NS1_11comp_targetILNS1_3genE8ELNS1_11target_archE1030ELNS1_3gpuE2ELNS1_3repE0EEENS1_30default_config_static_selectorELNS0_4arch9wavefront6targetE0EEEvT1_.has_recursion, 0
	.set _ZN7rocprim17ROCPRIM_400000_NS6detail17trampoline_kernelINS0_14default_configENS1_25partition_config_selectorILNS1_17partition_subalgoE9EiibEEZZNS1_14partition_implILS5_9ELb0ES3_jPKiN6thrust23THRUST_200600_302600_NS17counting_iteratorIiNSB_11use_defaultESD_SD_EEPNS0_10empty_typeENS0_5tupleIJPiSF_EEENSH_IJSI_SG_EEENS0_18inequality_wrapperIN6hipcub16HIPCUB_304000_NS8EqualityEEEPlJSF_EEE10hipError_tPvRmT3_T4_T5_T6_T7_T9_mT8_P12ihipStream_tbDpT10_ENKUlT_T0_E_clISt17integral_constantIbLb0EES19_IbLb1EEEEDaS15_S16_EUlS15_E_NS1_11comp_targetILNS1_3genE8ELNS1_11target_archE1030ELNS1_3gpuE2ELNS1_3repE0EEENS1_30default_config_static_selectorELNS0_4arch9wavefront6targetE0EEEvT1_.has_indirect_call, 0
	.section	.AMDGPU.csdata,"",@progbits
; Kernel info:
; codeLenInByte = 0
; TotalNumSgprs: 0
; NumVgprs: 0
; ScratchSize: 0
; MemoryBound: 0
; FloatMode: 240
; IeeeMode: 1
; LDSByteSize: 0 bytes/workgroup (compile time only)
; SGPRBlocks: 0
; VGPRBlocks: 0
; NumSGPRsForWavesPerEU: 1
; NumVGPRsForWavesPerEU: 1
; Occupancy: 16
; WaveLimiterHint : 0
; COMPUTE_PGM_RSRC2:SCRATCH_EN: 0
; COMPUTE_PGM_RSRC2:USER_SGPR: 2
; COMPUTE_PGM_RSRC2:TRAP_HANDLER: 0
; COMPUTE_PGM_RSRC2:TGID_X_EN: 1
; COMPUTE_PGM_RSRC2:TGID_Y_EN: 0
; COMPUTE_PGM_RSRC2:TGID_Z_EN: 0
; COMPUTE_PGM_RSRC2:TIDIG_COMP_CNT: 0
	.section	.text._ZN7rocprim17ROCPRIM_400000_NS6detail17trampoline_kernelINS0_14default_configENS1_25partition_config_selectorILNS1_17partition_subalgoE9EllbEEZZNS1_14partition_implILS5_9ELb0ES3_jPKlN6thrust23THRUST_200600_302600_NS17counting_iteratorIlNSB_11use_defaultESD_SD_EEPNS0_10empty_typeENS0_5tupleIJPlSF_EEENSH_IJSI_SG_EEENS0_18inequality_wrapperIN6hipcub16HIPCUB_304000_NS8EqualityEEESI_JSF_EEE10hipError_tPvRmT3_T4_T5_T6_T7_T9_mT8_P12ihipStream_tbDpT10_ENKUlT_T0_E_clISt17integral_constantIbLb0EES19_EEDaS14_S15_EUlS14_E_NS1_11comp_targetILNS1_3genE0ELNS1_11target_archE4294967295ELNS1_3gpuE0ELNS1_3repE0EEENS1_30default_config_static_selectorELNS0_4arch9wavefront6targetE0EEEvT1_,"axG",@progbits,_ZN7rocprim17ROCPRIM_400000_NS6detail17trampoline_kernelINS0_14default_configENS1_25partition_config_selectorILNS1_17partition_subalgoE9EllbEEZZNS1_14partition_implILS5_9ELb0ES3_jPKlN6thrust23THRUST_200600_302600_NS17counting_iteratorIlNSB_11use_defaultESD_SD_EEPNS0_10empty_typeENS0_5tupleIJPlSF_EEENSH_IJSI_SG_EEENS0_18inequality_wrapperIN6hipcub16HIPCUB_304000_NS8EqualityEEESI_JSF_EEE10hipError_tPvRmT3_T4_T5_T6_T7_T9_mT8_P12ihipStream_tbDpT10_ENKUlT_T0_E_clISt17integral_constantIbLb0EES19_EEDaS14_S15_EUlS14_E_NS1_11comp_targetILNS1_3genE0ELNS1_11target_archE4294967295ELNS1_3gpuE0ELNS1_3repE0EEENS1_30default_config_static_selectorELNS0_4arch9wavefront6targetE0EEEvT1_,comdat
	.protected	_ZN7rocprim17ROCPRIM_400000_NS6detail17trampoline_kernelINS0_14default_configENS1_25partition_config_selectorILNS1_17partition_subalgoE9EllbEEZZNS1_14partition_implILS5_9ELb0ES3_jPKlN6thrust23THRUST_200600_302600_NS17counting_iteratorIlNSB_11use_defaultESD_SD_EEPNS0_10empty_typeENS0_5tupleIJPlSF_EEENSH_IJSI_SG_EEENS0_18inequality_wrapperIN6hipcub16HIPCUB_304000_NS8EqualityEEESI_JSF_EEE10hipError_tPvRmT3_T4_T5_T6_T7_T9_mT8_P12ihipStream_tbDpT10_ENKUlT_T0_E_clISt17integral_constantIbLb0EES19_EEDaS14_S15_EUlS14_E_NS1_11comp_targetILNS1_3genE0ELNS1_11target_archE4294967295ELNS1_3gpuE0ELNS1_3repE0EEENS1_30default_config_static_selectorELNS0_4arch9wavefront6targetE0EEEvT1_ ; -- Begin function _ZN7rocprim17ROCPRIM_400000_NS6detail17trampoline_kernelINS0_14default_configENS1_25partition_config_selectorILNS1_17partition_subalgoE9EllbEEZZNS1_14partition_implILS5_9ELb0ES3_jPKlN6thrust23THRUST_200600_302600_NS17counting_iteratorIlNSB_11use_defaultESD_SD_EEPNS0_10empty_typeENS0_5tupleIJPlSF_EEENSH_IJSI_SG_EEENS0_18inequality_wrapperIN6hipcub16HIPCUB_304000_NS8EqualityEEESI_JSF_EEE10hipError_tPvRmT3_T4_T5_T6_T7_T9_mT8_P12ihipStream_tbDpT10_ENKUlT_T0_E_clISt17integral_constantIbLb0EES19_EEDaS14_S15_EUlS14_E_NS1_11comp_targetILNS1_3genE0ELNS1_11target_archE4294967295ELNS1_3gpuE0ELNS1_3repE0EEENS1_30default_config_static_selectorELNS0_4arch9wavefront6targetE0EEEvT1_
	.globl	_ZN7rocprim17ROCPRIM_400000_NS6detail17trampoline_kernelINS0_14default_configENS1_25partition_config_selectorILNS1_17partition_subalgoE9EllbEEZZNS1_14partition_implILS5_9ELb0ES3_jPKlN6thrust23THRUST_200600_302600_NS17counting_iteratorIlNSB_11use_defaultESD_SD_EEPNS0_10empty_typeENS0_5tupleIJPlSF_EEENSH_IJSI_SG_EEENS0_18inequality_wrapperIN6hipcub16HIPCUB_304000_NS8EqualityEEESI_JSF_EEE10hipError_tPvRmT3_T4_T5_T6_T7_T9_mT8_P12ihipStream_tbDpT10_ENKUlT_T0_E_clISt17integral_constantIbLb0EES19_EEDaS14_S15_EUlS14_E_NS1_11comp_targetILNS1_3genE0ELNS1_11target_archE4294967295ELNS1_3gpuE0ELNS1_3repE0EEENS1_30default_config_static_selectorELNS0_4arch9wavefront6targetE0EEEvT1_
	.p2align	8
	.type	_ZN7rocprim17ROCPRIM_400000_NS6detail17trampoline_kernelINS0_14default_configENS1_25partition_config_selectorILNS1_17partition_subalgoE9EllbEEZZNS1_14partition_implILS5_9ELb0ES3_jPKlN6thrust23THRUST_200600_302600_NS17counting_iteratorIlNSB_11use_defaultESD_SD_EEPNS0_10empty_typeENS0_5tupleIJPlSF_EEENSH_IJSI_SG_EEENS0_18inequality_wrapperIN6hipcub16HIPCUB_304000_NS8EqualityEEESI_JSF_EEE10hipError_tPvRmT3_T4_T5_T6_T7_T9_mT8_P12ihipStream_tbDpT10_ENKUlT_T0_E_clISt17integral_constantIbLb0EES19_EEDaS14_S15_EUlS14_E_NS1_11comp_targetILNS1_3genE0ELNS1_11target_archE4294967295ELNS1_3gpuE0ELNS1_3repE0EEENS1_30default_config_static_selectorELNS0_4arch9wavefront6targetE0EEEvT1_,@function
_ZN7rocprim17ROCPRIM_400000_NS6detail17trampoline_kernelINS0_14default_configENS1_25partition_config_selectorILNS1_17partition_subalgoE9EllbEEZZNS1_14partition_implILS5_9ELb0ES3_jPKlN6thrust23THRUST_200600_302600_NS17counting_iteratorIlNSB_11use_defaultESD_SD_EEPNS0_10empty_typeENS0_5tupleIJPlSF_EEENSH_IJSI_SG_EEENS0_18inequality_wrapperIN6hipcub16HIPCUB_304000_NS8EqualityEEESI_JSF_EEE10hipError_tPvRmT3_T4_T5_T6_T7_T9_mT8_P12ihipStream_tbDpT10_ENKUlT_T0_E_clISt17integral_constantIbLb0EES19_EEDaS14_S15_EUlS14_E_NS1_11comp_targetILNS1_3genE0ELNS1_11target_archE4294967295ELNS1_3gpuE0ELNS1_3repE0EEENS1_30default_config_static_selectorELNS0_4arch9wavefront6targetE0EEEvT1_: ; @_ZN7rocprim17ROCPRIM_400000_NS6detail17trampoline_kernelINS0_14default_configENS1_25partition_config_selectorILNS1_17partition_subalgoE9EllbEEZZNS1_14partition_implILS5_9ELb0ES3_jPKlN6thrust23THRUST_200600_302600_NS17counting_iteratorIlNSB_11use_defaultESD_SD_EEPNS0_10empty_typeENS0_5tupleIJPlSF_EEENSH_IJSI_SG_EEENS0_18inequality_wrapperIN6hipcub16HIPCUB_304000_NS8EqualityEEESI_JSF_EEE10hipError_tPvRmT3_T4_T5_T6_T7_T9_mT8_P12ihipStream_tbDpT10_ENKUlT_T0_E_clISt17integral_constantIbLb0EES19_EEDaS14_S15_EUlS14_E_NS1_11comp_targetILNS1_3genE0ELNS1_11target_archE4294967295ELNS1_3gpuE0ELNS1_3repE0EEENS1_30default_config_static_selectorELNS0_4arch9wavefront6targetE0EEEvT1_
; %bb.0:
	.section	.rodata,"a",@progbits
	.p2align	6, 0x0
	.amdhsa_kernel _ZN7rocprim17ROCPRIM_400000_NS6detail17trampoline_kernelINS0_14default_configENS1_25partition_config_selectorILNS1_17partition_subalgoE9EllbEEZZNS1_14partition_implILS5_9ELb0ES3_jPKlN6thrust23THRUST_200600_302600_NS17counting_iteratorIlNSB_11use_defaultESD_SD_EEPNS0_10empty_typeENS0_5tupleIJPlSF_EEENSH_IJSI_SG_EEENS0_18inequality_wrapperIN6hipcub16HIPCUB_304000_NS8EqualityEEESI_JSF_EEE10hipError_tPvRmT3_T4_T5_T6_T7_T9_mT8_P12ihipStream_tbDpT10_ENKUlT_T0_E_clISt17integral_constantIbLb0EES19_EEDaS14_S15_EUlS14_E_NS1_11comp_targetILNS1_3genE0ELNS1_11target_archE4294967295ELNS1_3gpuE0ELNS1_3repE0EEENS1_30default_config_static_selectorELNS0_4arch9wavefront6targetE0EEEvT1_
		.amdhsa_group_segment_fixed_size 0
		.amdhsa_private_segment_fixed_size 0
		.amdhsa_kernarg_size 112
		.amdhsa_user_sgpr_count 2
		.amdhsa_user_sgpr_dispatch_ptr 0
		.amdhsa_user_sgpr_queue_ptr 0
		.amdhsa_user_sgpr_kernarg_segment_ptr 1
		.amdhsa_user_sgpr_dispatch_id 0
		.amdhsa_user_sgpr_private_segment_size 0
		.amdhsa_wavefront_size32 1
		.amdhsa_uses_dynamic_stack 0
		.amdhsa_enable_private_segment 0
		.amdhsa_system_sgpr_workgroup_id_x 1
		.amdhsa_system_sgpr_workgroup_id_y 0
		.amdhsa_system_sgpr_workgroup_id_z 0
		.amdhsa_system_sgpr_workgroup_info 0
		.amdhsa_system_vgpr_workitem_id 0
		.amdhsa_next_free_vgpr 1
		.amdhsa_next_free_sgpr 1
		.amdhsa_reserve_vcc 0
		.amdhsa_float_round_mode_32 0
		.amdhsa_float_round_mode_16_64 0
		.amdhsa_float_denorm_mode_32 3
		.amdhsa_float_denorm_mode_16_64 3
		.amdhsa_fp16_overflow 0
		.amdhsa_workgroup_processor_mode 1
		.amdhsa_memory_ordered 1
		.amdhsa_forward_progress 1
		.amdhsa_inst_pref_size 0
		.amdhsa_round_robin_scheduling 0
		.amdhsa_exception_fp_ieee_invalid_op 0
		.amdhsa_exception_fp_denorm_src 0
		.amdhsa_exception_fp_ieee_div_zero 0
		.amdhsa_exception_fp_ieee_overflow 0
		.amdhsa_exception_fp_ieee_underflow 0
		.amdhsa_exception_fp_ieee_inexact 0
		.amdhsa_exception_int_div_zero 0
	.end_amdhsa_kernel
	.section	.text._ZN7rocprim17ROCPRIM_400000_NS6detail17trampoline_kernelINS0_14default_configENS1_25partition_config_selectorILNS1_17partition_subalgoE9EllbEEZZNS1_14partition_implILS5_9ELb0ES3_jPKlN6thrust23THRUST_200600_302600_NS17counting_iteratorIlNSB_11use_defaultESD_SD_EEPNS0_10empty_typeENS0_5tupleIJPlSF_EEENSH_IJSI_SG_EEENS0_18inequality_wrapperIN6hipcub16HIPCUB_304000_NS8EqualityEEESI_JSF_EEE10hipError_tPvRmT3_T4_T5_T6_T7_T9_mT8_P12ihipStream_tbDpT10_ENKUlT_T0_E_clISt17integral_constantIbLb0EES19_EEDaS14_S15_EUlS14_E_NS1_11comp_targetILNS1_3genE0ELNS1_11target_archE4294967295ELNS1_3gpuE0ELNS1_3repE0EEENS1_30default_config_static_selectorELNS0_4arch9wavefront6targetE0EEEvT1_,"axG",@progbits,_ZN7rocprim17ROCPRIM_400000_NS6detail17trampoline_kernelINS0_14default_configENS1_25partition_config_selectorILNS1_17partition_subalgoE9EllbEEZZNS1_14partition_implILS5_9ELb0ES3_jPKlN6thrust23THRUST_200600_302600_NS17counting_iteratorIlNSB_11use_defaultESD_SD_EEPNS0_10empty_typeENS0_5tupleIJPlSF_EEENSH_IJSI_SG_EEENS0_18inequality_wrapperIN6hipcub16HIPCUB_304000_NS8EqualityEEESI_JSF_EEE10hipError_tPvRmT3_T4_T5_T6_T7_T9_mT8_P12ihipStream_tbDpT10_ENKUlT_T0_E_clISt17integral_constantIbLb0EES19_EEDaS14_S15_EUlS14_E_NS1_11comp_targetILNS1_3genE0ELNS1_11target_archE4294967295ELNS1_3gpuE0ELNS1_3repE0EEENS1_30default_config_static_selectorELNS0_4arch9wavefront6targetE0EEEvT1_,comdat
.Lfunc_end44:
	.size	_ZN7rocprim17ROCPRIM_400000_NS6detail17trampoline_kernelINS0_14default_configENS1_25partition_config_selectorILNS1_17partition_subalgoE9EllbEEZZNS1_14partition_implILS5_9ELb0ES3_jPKlN6thrust23THRUST_200600_302600_NS17counting_iteratorIlNSB_11use_defaultESD_SD_EEPNS0_10empty_typeENS0_5tupleIJPlSF_EEENSH_IJSI_SG_EEENS0_18inequality_wrapperIN6hipcub16HIPCUB_304000_NS8EqualityEEESI_JSF_EEE10hipError_tPvRmT3_T4_T5_T6_T7_T9_mT8_P12ihipStream_tbDpT10_ENKUlT_T0_E_clISt17integral_constantIbLb0EES19_EEDaS14_S15_EUlS14_E_NS1_11comp_targetILNS1_3genE0ELNS1_11target_archE4294967295ELNS1_3gpuE0ELNS1_3repE0EEENS1_30default_config_static_selectorELNS0_4arch9wavefront6targetE0EEEvT1_, .Lfunc_end44-_ZN7rocprim17ROCPRIM_400000_NS6detail17trampoline_kernelINS0_14default_configENS1_25partition_config_selectorILNS1_17partition_subalgoE9EllbEEZZNS1_14partition_implILS5_9ELb0ES3_jPKlN6thrust23THRUST_200600_302600_NS17counting_iteratorIlNSB_11use_defaultESD_SD_EEPNS0_10empty_typeENS0_5tupleIJPlSF_EEENSH_IJSI_SG_EEENS0_18inequality_wrapperIN6hipcub16HIPCUB_304000_NS8EqualityEEESI_JSF_EEE10hipError_tPvRmT3_T4_T5_T6_T7_T9_mT8_P12ihipStream_tbDpT10_ENKUlT_T0_E_clISt17integral_constantIbLb0EES19_EEDaS14_S15_EUlS14_E_NS1_11comp_targetILNS1_3genE0ELNS1_11target_archE4294967295ELNS1_3gpuE0ELNS1_3repE0EEENS1_30default_config_static_selectorELNS0_4arch9wavefront6targetE0EEEvT1_
                                        ; -- End function
	.set _ZN7rocprim17ROCPRIM_400000_NS6detail17trampoline_kernelINS0_14default_configENS1_25partition_config_selectorILNS1_17partition_subalgoE9EllbEEZZNS1_14partition_implILS5_9ELb0ES3_jPKlN6thrust23THRUST_200600_302600_NS17counting_iteratorIlNSB_11use_defaultESD_SD_EEPNS0_10empty_typeENS0_5tupleIJPlSF_EEENSH_IJSI_SG_EEENS0_18inequality_wrapperIN6hipcub16HIPCUB_304000_NS8EqualityEEESI_JSF_EEE10hipError_tPvRmT3_T4_T5_T6_T7_T9_mT8_P12ihipStream_tbDpT10_ENKUlT_T0_E_clISt17integral_constantIbLb0EES19_EEDaS14_S15_EUlS14_E_NS1_11comp_targetILNS1_3genE0ELNS1_11target_archE4294967295ELNS1_3gpuE0ELNS1_3repE0EEENS1_30default_config_static_selectorELNS0_4arch9wavefront6targetE0EEEvT1_.num_vgpr, 0
	.set _ZN7rocprim17ROCPRIM_400000_NS6detail17trampoline_kernelINS0_14default_configENS1_25partition_config_selectorILNS1_17partition_subalgoE9EllbEEZZNS1_14partition_implILS5_9ELb0ES3_jPKlN6thrust23THRUST_200600_302600_NS17counting_iteratorIlNSB_11use_defaultESD_SD_EEPNS0_10empty_typeENS0_5tupleIJPlSF_EEENSH_IJSI_SG_EEENS0_18inequality_wrapperIN6hipcub16HIPCUB_304000_NS8EqualityEEESI_JSF_EEE10hipError_tPvRmT3_T4_T5_T6_T7_T9_mT8_P12ihipStream_tbDpT10_ENKUlT_T0_E_clISt17integral_constantIbLb0EES19_EEDaS14_S15_EUlS14_E_NS1_11comp_targetILNS1_3genE0ELNS1_11target_archE4294967295ELNS1_3gpuE0ELNS1_3repE0EEENS1_30default_config_static_selectorELNS0_4arch9wavefront6targetE0EEEvT1_.num_agpr, 0
	.set _ZN7rocprim17ROCPRIM_400000_NS6detail17trampoline_kernelINS0_14default_configENS1_25partition_config_selectorILNS1_17partition_subalgoE9EllbEEZZNS1_14partition_implILS5_9ELb0ES3_jPKlN6thrust23THRUST_200600_302600_NS17counting_iteratorIlNSB_11use_defaultESD_SD_EEPNS0_10empty_typeENS0_5tupleIJPlSF_EEENSH_IJSI_SG_EEENS0_18inequality_wrapperIN6hipcub16HIPCUB_304000_NS8EqualityEEESI_JSF_EEE10hipError_tPvRmT3_T4_T5_T6_T7_T9_mT8_P12ihipStream_tbDpT10_ENKUlT_T0_E_clISt17integral_constantIbLb0EES19_EEDaS14_S15_EUlS14_E_NS1_11comp_targetILNS1_3genE0ELNS1_11target_archE4294967295ELNS1_3gpuE0ELNS1_3repE0EEENS1_30default_config_static_selectorELNS0_4arch9wavefront6targetE0EEEvT1_.numbered_sgpr, 0
	.set _ZN7rocprim17ROCPRIM_400000_NS6detail17trampoline_kernelINS0_14default_configENS1_25partition_config_selectorILNS1_17partition_subalgoE9EllbEEZZNS1_14partition_implILS5_9ELb0ES3_jPKlN6thrust23THRUST_200600_302600_NS17counting_iteratorIlNSB_11use_defaultESD_SD_EEPNS0_10empty_typeENS0_5tupleIJPlSF_EEENSH_IJSI_SG_EEENS0_18inequality_wrapperIN6hipcub16HIPCUB_304000_NS8EqualityEEESI_JSF_EEE10hipError_tPvRmT3_T4_T5_T6_T7_T9_mT8_P12ihipStream_tbDpT10_ENKUlT_T0_E_clISt17integral_constantIbLb0EES19_EEDaS14_S15_EUlS14_E_NS1_11comp_targetILNS1_3genE0ELNS1_11target_archE4294967295ELNS1_3gpuE0ELNS1_3repE0EEENS1_30default_config_static_selectorELNS0_4arch9wavefront6targetE0EEEvT1_.num_named_barrier, 0
	.set _ZN7rocprim17ROCPRIM_400000_NS6detail17trampoline_kernelINS0_14default_configENS1_25partition_config_selectorILNS1_17partition_subalgoE9EllbEEZZNS1_14partition_implILS5_9ELb0ES3_jPKlN6thrust23THRUST_200600_302600_NS17counting_iteratorIlNSB_11use_defaultESD_SD_EEPNS0_10empty_typeENS0_5tupleIJPlSF_EEENSH_IJSI_SG_EEENS0_18inequality_wrapperIN6hipcub16HIPCUB_304000_NS8EqualityEEESI_JSF_EEE10hipError_tPvRmT3_T4_T5_T6_T7_T9_mT8_P12ihipStream_tbDpT10_ENKUlT_T0_E_clISt17integral_constantIbLb0EES19_EEDaS14_S15_EUlS14_E_NS1_11comp_targetILNS1_3genE0ELNS1_11target_archE4294967295ELNS1_3gpuE0ELNS1_3repE0EEENS1_30default_config_static_selectorELNS0_4arch9wavefront6targetE0EEEvT1_.private_seg_size, 0
	.set _ZN7rocprim17ROCPRIM_400000_NS6detail17trampoline_kernelINS0_14default_configENS1_25partition_config_selectorILNS1_17partition_subalgoE9EllbEEZZNS1_14partition_implILS5_9ELb0ES3_jPKlN6thrust23THRUST_200600_302600_NS17counting_iteratorIlNSB_11use_defaultESD_SD_EEPNS0_10empty_typeENS0_5tupleIJPlSF_EEENSH_IJSI_SG_EEENS0_18inequality_wrapperIN6hipcub16HIPCUB_304000_NS8EqualityEEESI_JSF_EEE10hipError_tPvRmT3_T4_T5_T6_T7_T9_mT8_P12ihipStream_tbDpT10_ENKUlT_T0_E_clISt17integral_constantIbLb0EES19_EEDaS14_S15_EUlS14_E_NS1_11comp_targetILNS1_3genE0ELNS1_11target_archE4294967295ELNS1_3gpuE0ELNS1_3repE0EEENS1_30default_config_static_selectorELNS0_4arch9wavefront6targetE0EEEvT1_.uses_vcc, 0
	.set _ZN7rocprim17ROCPRIM_400000_NS6detail17trampoline_kernelINS0_14default_configENS1_25partition_config_selectorILNS1_17partition_subalgoE9EllbEEZZNS1_14partition_implILS5_9ELb0ES3_jPKlN6thrust23THRUST_200600_302600_NS17counting_iteratorIlNSB_11use_defaultESD_SD_EEPNS0_10empty_typeENS0_5tupleIJPlSF_EEENSH_IJSI_SG_EEENS0_18inequality_wrapperIN6hipcub16HIPCUB_304000_NS8EqualityEEESI_JSF_EEE10hipError_tPvRmT3_T4_T5_T6_T7_T9_mT8_P12ihipStream_tbDpT10_ENKUlT_T0_E_clISt17integral_constantIbLb0EES19_EEDaS14_S15_EUlS14_E_NS1_11comp_targetILNS1_3genE0ELNS1_11target_archE4294967295ELNS1_3gpuE0ELNS1_3repE0EEENS1_30default_config_static_selectorELNS0_4arch9wavefront6targetE0EEEvT1_.uses_flat_scratch, 0
	.set _ZN7rocprim17ROCPRIM_400000_NS6detail17trampoline_kernelINS0_14default_configENS1_25partition_config_selectorILNS1_17partition_subalgoE9EllbEEZZNS1_14partition_implILS5_9ELb0ES3_jPKlN6thrust23THRUST_200600_302600_NS17counting_iteratorIlNSB_11use_defaultESD_SD_EEPNS0_10empty_typeENS0_5tupleIJPlSF_EEENSH_IJSI_SG_EEENS0_18inequality_wrapperIN6hipcub16HIPCUB_304000_NS8EqualityEEESI_JSF_EEE10hipError_tPvRmT3_T4_T5_T6_T7_T9_mT8_P12ihipStream_tbDpT10_ENKUlT_T0_E_clISt17integral_constantIbLb0EES19_EEDaS14_S15_EUlS14_E_NS1_11comp_targetILNS1_3genE0ELNS1_11target_archE4294967295ELNS1_3gpuE0ELNS1_3repE0EEENS1_30default_config_static_selectorELNS0_4arch9wavefront6targetE0EEEvT1_.has_dyn_sized_stack, 0
	.set _ZN7rocprim17ROCPRIM_400000_NS6detail17trampoline_kernelINS0_14default_configENS1_25partition_config_selectorILNS1_17partition_subalgoE9EllbEEZZNS1_14partition_implILS5_9ELb0ES3_jPKlN6thrust23THRUST_200600_302600_NS17counting_iteratorIlNSB_11use_defaultESD_SD_EEPNS0_10empty_typeENS0_5tupleIJPlSF_EEENSH_IJSI_SG_EEENS0_18inequality_wrapperIN6hipcub16HIPCUB_304000_NS8EqualityEEESI_JSF_EEE10hipError_tPvRmT3_T4_T5_T6_T7_T9_mT8_P12ihipStream_tbDpT10_ENKUlT_T0_E_clISt17integral_constantIbLb0EES19_EEDaS14_S15_EUlS14_E_NS1_11comp_targetILNS1_3genE0ELNS1_11target_archE4294967295ELNS1_3gpuE0ELNS1_3repE0EEENS1_30default_config_static_selectorELNS0_4arch9wavefront6targetE0EEEvT1_.has_recursion, 0
	.set _ZN7rocprim17ROCPRIM_400000_NS6detail17trampoline_kernelINS0_14default_configENS1_25partition_config_selectorILNS1_17partition_subalgoE9EllbEEZZNS1_14partition_implILS5_9ELb0ES3_jPKlN6thrust23THRUST_200600_302600_NS17counting_iteratorIlNSB_11use_defaultESD_SD_EEPNS0_10empty_typeENS0_5tupleIJPlSF_EEENSH_IJSI_SG_EEENS0_18inequality_wrapperIN6hipcub16HIPCUB_304000_NS8EqualityEEESI_JSF_EEE10hipError_tPvRmT3_T4_T5_T6_T7_T9_mT8_P12ihipStream_tbDpT10_ENKUlT_T0_E_clISt17integral_constantIbLb0EES19_EEDaS14_S15_EUlS14_E_NS1_11comp_targetILNS1_3genE0ELNS1_11target_archE4294967295ELNS1_3gpuE0ELNS1_3repE0EEENS1_30default_config_static_selectorELNS0_4arch9wavefront6targetE0EEEvT1_.has_indirect_call, 0
	.section	.AMDGPU.csdata,"",@progbits
; Kernel info:
; codeLenInByte = 0
; TotalNumSgprs: 0
; NumVgprs: 0
; ScratchSize: 0
; MemoryBound: 0
; FloatMode: 240
; IeeeMode: 1
; LDSByteSize: 0 bytes/workgroup (compile time only)
; SGPRBlocks: 0
; VGPRBlocks: 0
; NumSGPRsForWavesPerEU: 1
; NumVGPRsForWavesPerEU: 1
; Occupancy: 16
; WaveLimiterHint : 0
; COMPUTE_PGM_RSRC2:SCRATCH_EN: 0
; COMPUTE_PGM_RSRC2:USER_SGPR: 2
; COMPUTE_PGM_RSRC2:TRAP_HANDLER: 0
; COMPUTE_PGM_RSRC2:TGID_X_EN: 1
; COMPUTE_PGM_RSRC2:TGID_Y_EN: 0
; COMPUTE_PGM_RSRC2:TGID_Z_EN: 0
; COMPUTE_PGM_RSRC2:TIDIG_COMP_CNT: 0
	.section	.text._ZN7rocprim17ROCPRIM_400000_NS6detail17trampoline_kernelINS0_14default_configENS1_25partition_config_selectorILNS1_17partition_subalgoE9EllbEEZZNS1_14partition_implILS5_9ELb0ES3_jPKlN6thrust23THRUST_200600_302600_NS17counting_iteratorIlNSB_11use_defaultESD_SD_EEPNS0_10empty_typeENS0_5tupleIJPlSF_EEENSH_IJSI_SG_EEENS0_18inequality_wrapperIN6hipcub16HIPCUB_304000_NS8EqualityEEESI_JSF_EEE10hipError_tPvRmT3_T4_T5_T6_T7_T9_mT8_P12ihipStream_tbDpT10_ENKUlT_T0_E_clISt17integral_constantIbLb0EES19_EEDaS14_S15_EUlS14_E_NS1_11comp_targetILNS1_3genE5ELNS1_11target_archE942ELNS1_3gpuE9ELNS1_3repE0EEENS1_30default_config_static_selectorELNS0_4arch9wavefront6targetE0EEEvT1_,"axG",@progbits,_ZN7rocprim17ROCPRIM_400000_NS6detail17trampoline_kernelINS0_14default_configENS1_25partition_config_selectorILNS1_17partition_subalgoE9EllbEEZZNS1_14partition_implILS5_9ELb0ES3_jPKlN6thrust23THRUST_200600_302600_NS17counting_iteratorIlNSB_11use_defaultESD_SD_EEPNS0_10empty_typeENS0_5tupleIJPlSF_EEENSH_IJSI_SG_EEENS0_18inequality_wrapperIN6hipcub16HIPCUB_304000_NS8EqualityEEESI_JSF_EEE10hipError_tPvRmT3_T4_T5_T6_T7_T9_mT8_P12ihipStream_tbDpT10_ENKUlT_T0_E_clISt17integral_constantIbLb0EES19_EEDaS14_S15_EUlS14_E_NS1_11comp_targetILNS1_3genE5ELNS1_11target_archE942ELNS1_3gpuE9ELNS1_3repE0EEENS1_30default_config_static_selectorELNS0_4arch9wavefront6targetE0EEEvT1_,comdat
	.protected	_ZN7rocprim17ROCPRIM_400000_NS6detail17trampoline_kernelINS0_14default_configENS1_25partition_config_selectorILNS1_17partition_subalgoE9EllbEEZZNS1_14partition_implILS5_9ELb0ES3_jPKlN6thrust23THRUST_200600_302600_NS17counting_iteratorIlNSB_11use_defaultESD_SD_EEPNS0_10empty_typeENS0_5tupleIJPlSF_EEENSH_IJSI_SG_EEENS0_18inequality_wrapperIN6hipcub16HIPCUB_304000_NS8EqualityEEESI_JSF_EEE10hipError_tPvRmT3_T4_T5_T6_T7_T9_mT8_P12ihipStream_tbDpT10_ENKUlT_T0_E_clISt17integral_constantIbLb0EES19_EEDaS14_S15_EUlS14_E_NS1_11comp_targetILNS1_3genE5ELNS1_11target_archE942ELNS1_3gpuE9ELNS1_3repE0EEENS1_30default_config_static_selectorELNS0_4arch9wavefront6targetE0EEEvT1_ ; -- Begin function _ZN7rocprim17ROCPRIM_400000_NS6detail17trampoline_kernelINS0_14default_configENS1_25partition_config_selectorILNS1_17partition_subalgoE9EllbEEZZNS1_14partition_implILS5_9ELb0ES3_jPKlN6thrust23THRUST_200600_302600_NS17counting_iteratorIlNSB_11use_defaultESD_SD_EEPNS0_10empty_typeENS0_5tupleIJPlSF_EEENSH_IJSI_SG_EEENS0_18inequality_wrapperIN6hipcub16HIPCUB_304000_NS8EqualityEEESI_JSF_EEE10hipError_tPvRmT3_T4_T5_T6_T7_T9_mT8_P12ihipStream_tbDpT10_ENKUlT_T0_E_clISt17integral_constantIbLb0EES19_EEDaS14_S15_EUlS14_E_NS1_11comp_targetILNS1_3genE5ELNS1_11target_archE942ELNS1_3gpuE9ELNS1_3repE0EEENS1_30default_config_static_selectorELNS0_4arch9wavefront6targetE0EEEvT1_
	.globl	_ZN7rocprim17ROCPRIM_400000_NS6detail17trampoline_kernelINS0_14default_configENS1_25partition_config_selectorILNS1_17partition_subalgoE9EllbEEZZNS1_14partition_implILS5_9ELb0ES3_jPKlN6thrust23THRUST_200600_302600_NS17counting_iteratorIlNSB_11use_defaultESD_SD_EEPNS0_10empty_typeENS0_5tupleIJPlSF_EEENSH_IJSI_SG_EEENS0_18inequality_wrapperIN6hipcub16HIPCUB_304000_NS8EqualityEEESI_JSF_EEE10hipError_tPvRmT3_T4_T5_T6_T7_T9_mT8_P12ihipStream_tbDpT10_ENKUlT_T0_E_clISt17integral_constantIbLb0EES19_EEDaS14_S15_EUlS14_E_NS1_11comp_targetILNS1_3genE5ELNS1_11target_archE942ELNS1_3gpuE9ELNS1_3repE0EEENS1_30default_config_static_selectorELNS0_4arch9wavefront6targetE0EEEvT1_
	.p2align	8
	.type	_ZN7rocprim17ROCPRIM_400000_NS6detail17trampoline_kernelINS0_14default_configENS1_25partition_config_selectorILNS1_17partition_subalgoE9EllbEEZZNS1_14partition_implILS5_9ELb0ES3_jPKlN6thrust23THRUST_200600_302600_NS17counting_iteratorIlNSB_11use_defaultESD_SD_EEPNS0_10empty_typeENS0_5tupleIJPlSF_EEENSH_IJSI_SG_EEENS0_18inequality_wrapperIN6hipcub16HIPCUB_304000_NS8EqualityEEESI_JSF_EEE10hipError_tPvRmT3_T4_T5_T6_T7_T9_mT8_P12ihipStream_tbDpT10_ENKUlT_T0_E_clISt17integral_constantIbLb0EES19_EEDaS14_S15_EUlS14_E_NS1_11comp_targetILNS1_3genE5ELNS1_11target_archE942ELNS1_3gpuE9ELNS1_3repE0EEENS1_30default_config_static_selectorELNS0_4arch9wavefront6targetE0EEEvT1_,@function
_ZN7rocprim17ROCPRIM_400000_NS6detail17trampoline_kernelINS0_14default_configENS1_25partition_config_selectorILNS1_17partition_subalgoE9EllbEEZZNS1_14partition_implILS5_9ELb0ES3_jPKlN6thrust23THRUST_200600_302600_NS17counting_iteratorIlNSB_11use_defaultESD_SD_EEPNS0_10empty_typeENS0_5tupleIJPlSF_EEENSH_IJSI_SG_EEENS0_18inequality_wrapperIN6hipcub16HIPCUB_304000_NS8EqualityEEESI_JSF_EEE10hipError_tPvRmT3_T4_T5_T6_T7_T9_mT8_P12ihipStream_tbDpT10_ENKUlT_T0_E_clISt17integral_constantIbLb0EES19_EEDaS14_S15_EUlS14_E_NS1_11comp_targetILNS1_3genE5ELNS1_11target_archE942ELNS1_3gpuE9ELNS1_3repE0EEENS1_30default_config_static_selectorELNS0_4arch9wavefront6targetE0EEEvT1_: ; @_ZN7rocprim17ROCPRIM_400000_NS6detail17trampoline_kernelINS0_14default_configENS1_25partition_config_selectorILNS1_17partition_subalgoE9EllbEEZZNS1_14partition_implILS5_9ELb0ES3_jPKlN6thrust23THRUST_200600_302600_NS17counting_iteratorIlNSB_11use_defaultESD_SD_EEPNS0_10empty_typeENS0_5tupleIJPlSF_EEENSH_IJSI_SG_EEENS0_18inequality_wrapperIN6hipcub16HIPCUB_304000_NS8EqualityEEESI_JSF_EEE10hipError_tPvRmT3_T4_T5_T6_T7_T9_mT8_P12ihipStream_tbDpT10_ENKUlT_T0_E_clISt17integral_constantIbLb0EES19_EEDaS14_S15_EUlS14_E_NS1_11comp_targetILNS1_3genE5ELNS1_11target_archE942ELNS1_3gpuE9ELNS1_3repE0EEENS1_30default_config_static_selectorELNS0_4arch9wavefront6targetE0EEEvT1_
; %bb.0:
	.section	.rodata,"a",@progbits
	.p2align	6, 0x0
	.amdhsa_kernel _ZN7rocprim17ROCPRIM_400000_NS6detail17trampoline_kernelINS0_14default_configENS1_25partition_config_selectorILNS1_17partition_subalgoE9EllbEEZZNS1_14partition_implILS5_9ELb0ES3_jPKlN6thrust23THRUST_200600_302600_NS17counting_iteratorIlNSB_11use_defaultESD_SD_EEPNS0_10empty_typeENS0_5tupleIJPlSF_EEENSH_IJSI_SG_EEENS0_18inequality_wrapperIN6hipcub16HIPCUB_304000_NS8EqualityEEESI_JSF_EEE10hipError_tPvRmT3_T4_T5_T6_T7_T9_mT8_P12ihipStream_tbDpT10_ENKUlT_T0_E_clISt17integral_constantIbLb0EES19_EEDaS14_S15_EUlS14_E_NS1_11comp_targetILNS1_3genE5ELNS1_11target_archE942ELNS1_3gpuE9ELNS1_3repE0EEENS1_30default_config_static_selectorELNS0_4arch9wavefront6targetE0EEEvT1_
		.amdhsa_group_segment_fixed_size 0
		.amdhsa_private_segment_fixed_size 0
		.amdhsa_kernarg_size 112
		.amdhsa_user_sgpr_count 2
		.amdhsa_user_sgpr_dispatch_ptr 0
		.amdhsa_user_sgpr_queue_ptr 0
		.amdhsa_user_sgpr_kernarg_segment_ptr 1
		.amdhsa_user_sgpr_dispatch_id 0
		.amdhsa_user_sgpr_private_segment_size 0
		.amdhsa_wavefront_size32 1
		.amdhsa_uses_dynamic_stack 0
		.amdhsa_enable_private_segment 0
		.amdhsa_system_sgpr_workgroup_id_x 1
		.amdhsa_system_sgpr_workgroup_id_y 0
		.amdhsa_system_sgpr_workgroup_id_z 0
		.amdhsa_system_sgpr_workgroup_info 0
		.amdhsa_system_vgpr_workitem_id 0
		.amdhsa_next_free_vgpr 1
		.amdhsa_next_free_sgpr 1
		.amdhsa_reserve_vcc 0
		.amdhsa_float_round_mode_32 0
		.amdhsa_float_round_mode_16_64 0
		.amdhsa_float_denorm_mode_32 3
		.amdhsa_float_denorm_mode_16_64 3
		.amdhsa_fp16_overflow 0
		.amdhsa_workgroup_processor_mode 1
		.amdhsa_memory_ordered 1
		.amdhsa_forward_progress 1
		.amdhsa_inst_pref_size 0
		.amdhsa_round_robin_scheduling 0
		.amdhsa_exception_fp_ieee_invalid_op 0
		.amdhsa_exception_fp_denorm_src 0
		.amdhsa_exception_fp_ieee_div_zero 0
		.amdhsa_exception_fp_ieee_overflow 0
		.amdhsa_exception_fp_ieee_underflow 0
		.amdhsa_exception_fp_ieee_inexact 0
		.amdhsa_exception_int_div_zero 0
	.end_amdhsa_kernel
	.section	.text._ZN7rocprim17ROCPRIM_400000_NS6detail17trampoline_kernelINS0_14default_configENS1_25partition_config_selectorILNS1_17partition_subalgoE9EllbEEZZNS1_14partition_implILS5_9ELb0ES3_jPKlN6thrust23THRUST_200600_302600_NS17counting_iteratorIlNSB_11use_defaultESD_SD_EEPNS0_10empty_typeENS0_5tupleIJPlSF_EEENSH_IJSI_SG_EEENS0_18inequality_wrapperIN6hipcub16HIPCUB_304000_NS8EqualityEEESI_JSF_EEE10hipError_tPvRmT3_T4_T5_T6_T7_T9_mT8_P12ihipStream_tbDpT10_ENKUlT_T0_E_clISt17integral_constantIbLb0EES19_EEDaS14_S15_EUlS14_E_NS1_11comp_targetILNS1_3genE5ELNS1_11target_archE942ELNS1_3gpuE9ELNS1_3repE0EEENS1_30default_config_static_selectorELNS0_4arch9wavefront6targetE0EEEvT1_,"axG",@progbits,_ZN7rocprim17ROCPRIM_400000_NS6detail17trampoline_kernelINS0_14default_configENS1_25partition_config_selectorILNS1_17partition_subalgoE9EllbEEZZNS1_14partition_implILS5_9ELb0ES3_jPKlN6thrust23THRUST_200600_302600_NS17counting_iteratorIlNSB_11use_defaultESD_SD_EEPNS0_10empty_typeENS0_5tupleIJPlSF_EEENSH_IJSI_SG_EEENS0_18inequality_wrapperIN6hipcub16HIPCUB_304000_NS8EqualityEEESI_JSF_EEE10hipError_tPvRmT3_T4_T5_T6_T7_T9_mT8_P12ihipStream_tbDpT10_ENKUlT_T0_E_clISt17integral_constantIbLb0EES19_EEDaS14_S15_EUlS14_E_NS1_11comp_targetILNS1_3genE5ELNS1_11target_archE942ELNS1_3gpuE9ELNS1_3repE0EEENS1_30default_config_static_selectorELNS0_4arch9wavefront6targetE0EEEvT1_,comdat
.Lfunc_end45:
	.size	_ZN7rocprim17ROCPRIM_400000_NS6detail17trampoline_kernelINS0_14default_configENS1_25partition_config_selectorILNS1_17partition_subalgoE9EllbEEZZNS1_14partition_implILS5_9ELb0ES3_jPKlN6thrust23THRUST_200600_302600_NS17counting_iteratorIlNSB_11use_defaultESD_SD_EEPNS0_10empty_typeENS0_5tupleIJPlSF_EEENSH_IJSI_SG_EEENS0_18inequality_wrapperIN6hipcub16HIPCUB_304000_NS8EqualityEEESI_JSF_EEE10hipError_tPvRmT3_T4_T5_T6_T7_T9_mT8_P12ihipStream_tbDpT10_ENKUlT_T0_E_clISt17integral_constantIbLb0EES19_EEDaS14_S15_EUlS14_E_NS1_11comp_targetILNS1_3genE5ELNS1_11target_archE942ELNS1_3gpuE9ELNS1_3repE0EEENS1_30default_config_static_selectorELNS0_4arch9wavefront6targetE0EEEvT1_, .Lfunc_end45-_ZN7rocprim17ROCPRIM_400000_NS6detail17trampoline_kernelINS0_14default_configENS1_25partition_config_selectorILNS1_17partition_subalgoE9EllbEEZZNS1_14partition_implILS5_9ELb0ES3_jPKlN6thrust23THRUST_200600_302600_NS17counting_iteratorIlNSB_11use_defaultESD_SD_EEPNS0_10empty_typeENS0_5tupleIJPlSF_EEENSH_IJSI_SG_EEENS0_18inequality_wrapperIN6hipcub16HIPCUB_304000_NS8EqualityEEESI_JSF_EEE10hipError_tPvRmT3_T4_T5_T6_T7_T9_mT8_P12ihipStream_tbDpT10_ENKUlT_T0_E_clISt17integral_constantIbLb0EES19_EEDaS14_S15_EUlS14_E_NS1_11comp_targetILNS1_3genE5ELNS1_11target_archE942ELNS1_3gpuE9ELNS1_3repE0EEENS1_30default_config_static_selectorELNS0_4arch9wavefront6targetE0EEEvT1_
                                        ; -- End function
	.set _ZN7rocprim17ROCPRIM_400000_NS6detail17trampoline_kernelINS0_14default_configENS1_25partition_config_selectorILNS1_17partition_subalgoE9EllbEEZZNS1_14partition_implILS5_9ELb0ES3_jPKlN6thrust23THRUST_200600_302600_NS17counting_iteratorIlNSB_11use_defaultESD_SD_EEPNS0_10empty_typeENS0_5tupleIJPlSF_EEENSH_IJSI_SG_EEENS0_18inequality_wrapperIN6hipcub16HIPCUB_304000_NS8EqualityEEESI_JSF_EEE10hipError_tPvRmT3_T4_T5_T6_T7_T9_mT8_P12ihipStream_tbDpT10_ENKUlT_T0_E_clISt17integral_constantIbLb0EES19_EEDaS14_S15_EUlS14_E_NS1_11comp_targetILNS1_3genE5ELNS1_11target_archE942ELNS1_3gpuE9ELNS1_3repE0EEENS1_30default_config_static_selectorELNS0_4arch9wavefront6targetE0EEEvT1_.num_vgpr, 0
	.set _ZN7rocprim17ROCPRIM_400000_NS6detail17trampoline_kernelINS0_14default_configENS1_25partition_config_selectorILNS1_17partition_subalgoE9EllbEEZZNS1_14partition_implILS5_9ELb0ES3_jPKlN6thrust23THRUST_200600_302600_NS17counting_iteratorIlNSB_11use_defaultESD_SD_EEPNS0_10empty_typeENS0_5tupleIJPlSF_EEENSH_IJSI_SG_EEENS0_18inequality_wrapperIN6hipcub16HIPCUB_304000_NS8EqualityEEESI_JSF_EEE10hipError_tPvRmT3_T4_T5_T6_T7_T9_mT8_P12ihipStream_tbDpT10_ENKUlT_T0_E_clISt17integral_constantIbLb0EES19_EEDaS14_S15_EUlS14_E_NS1_11comp_targetILNS1_3genE5ELNS1_11target_archE942ELNS1_3gpuE9ELNS1_3repE0EEENS1_30default_config_static_selectorELNS0_4arch9wavefront6targetE0EEEvT1_.num_agpr, 0
	.set _ZN7rocprim17ROCPRIM_400000_NS6detail17trampoline_kernelINS0_14default_configENS1_25partition_config_selectorILNS1_17partition_subalgoE9EllbEEZZNS1_14partition_implILS5_9ELb0ES3_jPKlN6thrust23THRUST_200600_302600_NS17counting_iteratorIlNSB_11use_defaultESD_SD_EEPNS0_10empty_typeENS0_5tupleIJPlSF_EEENSH_IJSI_SG_EEENS0_18inequality_wrapperIN6hipcub16HIPCUB_304000_NS8EqualityEEESI_JSF_EEE10hipError_tPvRmT3_T4_T5_T6_T7_T9_mT8_P12ihipStream_tbDpT10_ENKUlT_T0_E_clISt17integral_constantIbLb0EES19_EEDaS14_S15_EUlS14_E_NS1_11comp_targetILNS1_3genE5ELNS1_11target_archE942ELNS1_3gpuE9ELNS1_3repE0EEENS1_30default_config_static_selectorELNS0_4arch9wavefront6targetE0EEEvT1_.numbered_sgpr, 0
	.set _ZN7rocprim17ROCPRIM_400000_NS6detail17trampoline_kernelINS0_14default_configENS1_25partition_config_selectorILNS1_17partition_subalgoE9EllbEEZZNS1_14partition_implILS5_9ELb0ES3_jPKlN6thrust23THRUST_200600_302600_NS17counting_iteratorIlNSB_11use_defaultESD_SD_EEPNS0_10empty_typeENS0_5tupleIJPlSF_EEENSH_IJSI_SG_EEENS0_18inequality_wrapperIN6hipcub16HIPCUB_304000_NS8EqualityEEESI_JSF_EEE10hipError_tPvRmT3_T4_T5_T6_T7_T9_mT8_P12ihipStream_tbDpT10_ENKUlT_T0_E_clISt17integral_constantIbLb0EES19_EEDaS14_S15_EUlS14_E_NS1_11comp_targetILNS1_3genE5ELNS1_11target_archE942ELNS1_3gpuE9ELNS1_3repE0EEENS1_30default_config_static_selectorELNS0_4arch9wavefront6targetE0EEEvT1_.num_named_barrier, 0
	.set _ZN7rocprim17ROCPRIM_400000_NS6detail17trampoline_kernelINS0_14default_configENS1_25partition_config_selectorILNS1_17partition_subalgoE9EllbEEZZNS1_14partition_implILS5_9ELb0ES3_jPKlN6thrust23THRUST_200600_302600_NS17counting_iteratorIlNSB_11use_defaultESD_SD_EEPNS0_10empty_typeENS0_5tupleIJPlSF_EEENSH_IJSI_SG_EEENS0_18inequality_wrapperIN6hipcub16HIPCUB_304000_NS8EqualityEEESI_JSF_EEE10hipError_tPvRmT3_T4_T5_T6_T7_T9_mT8_P12ihipStream_tbDpT10_ENKUlT_T0_E_clISt17integral_constantIbLb0EES19_EEDaS14_S15_EUlS14_E_NS1_11comp_targetILNS1_3genE5ELNS1_11target_archE942ELNS1_3gpuE9ELNS1_3repE0EEENS1_30default_config_static_selectorELNS0_4arch9wavefront6targetE0EEEvT1_.private_seg_size, 0
	.set _ZN7rocprim17ROCPRIM_400000_NS6detail17trampoline_kernelINS0_14default_configENS1_25partition_config_selectorILNS1_17partition_subalgoE9EllbEEZZNS1_14partition_implILS5_9ELb0ES3_jPKlN6thrust23THRUST_200600_302600_NS17counting_iteratorIlNSB_11use_defaultESD_SD_EEPNS0_10empty_typeENS0_5tupleIJPlSF_EEENSH_IJSI_SG_EEENS0_18inequality_wrapperIN6hipcub16HIPCUB_304000_NS8EqualityEEESI_JSF_EEE10hipError_tPvRmT3_T4_T5_T6_T7_T9_mT8_P12ihipStream_tbDpT10_ENKUlT_T0_E_clISt17integral_constantIbLb0EES19_EEDaS14_S15_EUlS14_E_NS1_11comp_targetILNS1_3genE5ELNS1_11target_archE942ELNS1_3gpuE9ELNS1_3repE0EEENS1_30default_config_static_selectorELNS0_4arch9wavefront6targetE0EEEvT1_.uses_vcc, 0
	.set _ZN7rocprim17ROCPRIM_400000_NS6detail17trampoline_kernelINS0_14default_configENS1_25partition_config_selectorILNS1_17partition_subalgoE9EllbEEZZNS1_14partition_implILS5_9ELb0ES3_jPKlN6thrust23THRUST_200600_302600_NS17counting_iteratorIlNSB_11use_defaultESD_SD_EEPNS0_10empty_typeENS0_5tupleIJPlSF_EEENSH_IJSI_SG_EEENS0_18inequality_wrapperIN6hipcub16HIPCUB_304000_NS8EqualityEEESI_JSF_EEE10hipError_tPvRmT3_T4_T5_T6_T7_T9_mT8_P12ihipStream_tbDpT10_ENKUlT_T0_E_clISt17integral_constantIbLb0EES19_EEDaS14_S15_EUlS14_E_NS1_11comp_targetILNS1_3genE5ELNS1_11target_archE942ELNS1_3gpuE9ELNS1_3repE0EEENS1_30default_config_static_selectorELNS0_4arch9wavefront6targetE0EEEvT1_.uses_flat_scratch, 0
	.set _ZN7rocprim17ROCPRIM_400000_NS6detail17trampoline_kernelINS0_14default_configENS1_25partition_config_selectorILNS1_17partition_subalgoE9EllbEEZZNS1_14partition_implILS5_9ELb0ES3_jPKlN6thrust23THRUST_200600_302600_NS17counting_iteratorIlNSB_11use_defaultESD_SD_EEPNS0_10empty_typeENS0_5tupleIJPlSF_EEENSH_IJSI_SG_EEENS0_18inequality_wrapperIN6hipcub16HIPCUB_304000_NS8EqualityEEESI_JSF_EEE10hipError_tPvRmT3_T4_T5_T6_T7_T9_mT8_P12ihipStream_tbDpT10_ENKUlT_T0_E_clISt17integral_constantIbLb0EES19_EEDaS14_S15_EUlS14_E_NS1_11comp_targetILNS1_3genE5ELNS1_11target_archE942ELNS1_3gpuE9ELNS1_3repE0EEENS1_30default_config_static_selectorELNS0_4arch9wavefront6targetE0EEEvT1_.has_dyn_sized_stack, 0
	.set _ZN7rocprim17ROCPRIM_400000_NS6detail17trampoline_kernelINS0_14default_configENS1_25partition_config_selectorILNS1_17partition_subalgoE9EllbEEZZNS1_14partition_implILS5_9ELb0ES3_jPKlN6thrust23THRUST_200600_302600_NS17counting_iteratorIlNSB_11use_defaultESD_SD_EEPNS0_10empty_typeENS0_5tupleIJPlSF_EEENSH_IJSI_SG_EEENS0_18inequality_wrapperIN6hipcub16HIPCUB_304000_NS8EqualityEEESI_JSF_EEE10hipError_tPvRmT3_T4_T5_T6_T7_T9_mT8_P12ihipStream_tbDpT10_ENKUlT_T0_E_clISt17integral_constantIbLb0EES19_EEDaS14_S15_EUlS14_E_NS1_11comp_targetILNS1_3genE5ELNS1_11target_archE942ELNS1_3gpuE9ELNS1_3repE0EEENS1_30default_config_static_selectorELNS0_4arch9wavefront6targetE0EEEvT1_.has_recursion, 0
	.set _ZN7rocprim17ROCPRIM_400000_NS6detail17trampoline_kernelINS0_14default_configENS1_25partition_config_selectorILNS1_17partition_subalgoE9EllbEEZZNS1_14partition_implILS5_9ELb0ES3_jPKlN6thrust23THRUST_200600_302600_NS17counting_iteratorIlNSB_11use_defaultESD_SD_EEPNS0_10empty_typeENS0_5tupleIJPlSF_EEENSH_IJSI_SG_EEENS0_18inequality_wrapperIN6hipcub16HIPCUB_304000_NS8EqualityEEESI_JSF_EEE10hipError_tPvRmT3_T4_T5_T6_T7_T9_mT8_P12ihipStream_tbDpT10_ENKUlT_T0_E_clISt17integral_constantIbLb0EES19_EEDaS14_S15_EUlS14_E_NS1_11comp_targetILNS1_3genE5ELNS1_11target_archE942ELNS1_3gpuE9ELNS1_3repE0EEENS1_30default_config_static_selectorELNS0_4arch9wavefront6targetE0EEEvT1_.has_indirect_call, 0
	.section	.AMDGPU.csdata,"",@progbits
; Kernel info:
; codeLenInByte = 0
; TotalNumSgprs: 0
; NumVgprs: 0
; ScratchSize: 0
; MemoryBound: 0
; FloatMode: 240
; IeeeMode: 1
; LDSByteSize: 0 bytes/workgroup (compile time only)
; SGPRBlocks: 0
; VGPRBlocks: 0
; NumSGPRsForWavesPerEU: 1
; NumVGPRsForWavesPerEU: 1
; Occupancy: 16
; WaveLimiterHint : 0
; COMPUTE_PGM_RSRC2:SCRATCH_EN: 0
; COMPUTE_PGM_RSRC2:USER_SGPR: 2
; COMPUTE_PGM_RSRC2:TRAP_HANDLER: 0
; COMPUTE_PGM_RSRC2:TGID_X_EN: 1
; COMPUTE_PGM_RSRC2:TGID_Y_EN: 0
; COMPUTE_PGM_RSRC2:TGID_Z_EN: 0
; COMPUTE_PGM_RSRC2:TIDIG_COMP_CNT: 0
	.section	.text._ZN7rocprim17ROCPRIM_400000_NS6detail17trampoline_kernelINS0_14default_configENS1_25partition_config_selectorILNS1_17partition_subalgoE9EllbEEZZNS1_14partition_implILS5_9ELb0ES3_jPKlN6thrust23THRUST_200600_302600_NS17counting_iteratorIlNSB_11use_defaultESD_SD_EEPNS0_10empty_typeENS0_5tupleIJPlSF_EEENSH_IJSI_SG_EEENS0_18inequality_wrapperIN6hipcub16HIPCUB_304000_NS8EqualityEEESI_JSF_EEE10hipError_tPvRmT3_T4_T5_T6_T7_T9_mT8_P12ihipStream_tbDpT10_ENKUlT_T0_E_clISt17integral_constantIbLb0EES19_EEDaS14_S15_EUlS14_E_NS1_11comp_targetILNS1_3genE4ELNS1_11target_archE910ELNS1_3gpuE8ELNS1_3repE0EEENS1_30default_config_static_selectorELNS0_4arch9wavefront6targetE0EEEvT1_,"axG",@progbits,_ZN7rocprim17ROCPRIM_400000_NS6detail17trampoline_kernelINS0_14default_configENS1_25partition_config_selectorILNS1_17partition_subalgoE9EllbEEZZNS1_14partition_implILS5_9ELb0ES3_jPKlN6thrust23THRUST_200600_302600_NS17counting_iteratorIlNSB_11use_defaultESD_SD_EEPNS0_10empty_typeENS0_5tupleIJPlSF_EEENSH_IJSI_SG_EEENS0_18inequality_wrapperIN6hipcub16HIPCUB_304000_NS8EqualityEEESI_JSF_EEE10hipError_tPvRmT3_T4_T5_T6_T7_T9_mT8_P12ihipStream_tbDpT10_ENKUlT_T0_E_clISt17integral_constantIbLb0EES19_EEDaS14_S15_EUlS14_E_NS1_11comp_targetILNS1_3genE4ELNS1_11target_archE910ELNS1_3gpuE8ELNS1_3repE0EEENS1_30default_config_static_selectorELNS0_4arch9wavefront6targetE0EEEvT1_,comdat
	.protected	_ZN7rocprim17ROCPRIM_400000_NS6detail17trampoline_kernelINS0_14default_configENS1_25partition_config_selectorILNS1_17partition_subalgoE9EllbEEZZNS1_14partition_implILS5_9ELb0ES3_jPKlN6thrust23THRUST_200600_302600_NS17counting_iteratorIlNSB_11use_defaultESD_SD_EEPNS0_10empty_typeENS0_5tupleIJPlSF_EEENSH_IJSI_SG_EEENS0_18inequality_wrapperIN6hipcub16HIPCUB_304000_NS8EqualityEEESI_JSF_EEE10hipError_tPvRmT3_T4_T5_T6_T7_T9_mT8_P12ihipStream_tbDpT10_ENKUlT_T0_E_clISt17integral_constantIbLb0EES19_EEDaS14_S15_EUlS14_E_NS1_11comp_targetILNS1_3genE4ELNS1_11target_archE910ELNS1_3gpuE8ELNS1_3repE0EEENS1_30default_config_static_selectorELNS0_4arch9wavefront6targetE0EEEvT1_ ; -- Begin function _ZN7rocprim17ROCPRIM_400000_NS6detail17trampoline_kernelINS0_14default_configENS1_25partition_config_selectorILNS1_17partition_subalgoE9EllbEEZZNS1_14partition_implILS5_9ELb0ES3_jPKlN6thrust23THRUST_200600_302600_NS17counting_iteratorIlNSB_11use_defaultESD_SD_EEPNS0_10empty_typeENS0_5tupleIJPlSF_EEENSH_IJSI_SG_EEENS0_18inequality_wrapperIN6hipcub16HIPCUB_304000_NS8EqualityEEESI_JSF_EEE10hipError_tPvRmT3_T4_T5_T6_T7_T9_mT8_P12ihipStream_tbDpT10_ENKUlT_T0_E_clISt17integral_constantIbLb0EES19_EEDaS14_S15_EUlS14_E_NS1_11comp_targetILNS1_3genE4ELNS1_11target_archE910ELNS1_3gpuE8ELNS1_3repE0EEENS1_30default_config_static_selectorELNS0_4arch9wavefront6targetE0EEEvT1_
	.globl	_ZN7rocprim17ROCPRIM_400000_NS6detail17trampoline_kernelINS0_14default_configENS1_25partition_config_selectorILNS1_17partition_subalgoE9EllbEEZZNS1_14partition_implILS5_9ELb0ES3_jPKlN6thrust23THRUST_200600_302600_NS17counting_iteratorIlNSB_11use_defaultESD_SD_EEPNS0_10empty_typeENS0_5tupleIJPlSF_EEENSH_IJSI_SG_EEENS0_18inequality_wrapperIN6hipcub16HIPCUB_304000_NS8EqualityEEESI_JSF_EEE10hipError_tPvRmT3_T4_T5_T6_T7_T9_mT8_P12ihipStream_tbDpT10_ENKUlT_T0_E_clISt17integral_constantIbLb0EES19_EEDaS14_S15_EUlS14_E_NS1_11comp_targetILNS1_3genE4ELNS1_11target_archE910ELNS1_3gpuE8ELNS1_3repE0EEENS1_30default_config_static_selectorELNS0_4arch9wavefront6targetE0EEEvT1_
	.p2align	8
	.type	_ZN7rocprim17ROCPRIM_400000_NS6detail17trampoline_kernelINS0_14default_configENS1_25partition_config_selectorILNS1_17partition_subalgoE9EllbEEZZNS1_14partition_implILS5_9ELb0ES3_jPKlN6thrust23THRUST_200600_302600_NS17counting_iteratorIlNSB_11use_defaultESD_SD_EEPNS0_10empty_typeENS0_5tupleIJPlSF_EEENSH_IJSI_SG_EEENS0_18inequality_wrapperIN6hipcub16HIPCUB_304000_NS8EqualityEEESI_JSF_EEE10hipError_tPvRmT3_T4_T5_T6_T7_T9_mT8_P12ihipStream_tbDpT10_ENKUlT_T0_E_clISt17integral_constantIbLb0EES19_EEDaS14_S15_EUlS14_E_NS1_11comp_targetILNS1_3genE4ELNS1_11target_archE910ELNS1_3gpuE8ELNS1_3repE0EEENS1_30default_config_static_selectorELNS0_4arch9wavefront6targetE0EEEvT1_,@function
_ZN7rocprim17ROCPRIM_400000_NS6detail17trampoline_kernelINS0_14default_configENS1_25partition_config_selectorILNS1_17partition_subalgoE9EllbEEZZNS1_14partition_implILS5_9ELb0ES3_jPKlN6thrust23THRUST_200600_302600_NS17counting_iteratorIlNSB_11use_defaultESD_SD_EEPNS0_10empty_typeENS0_5tupleIJPlSF_EEENSH_IJSI_SG_EEENS0_18inequality_wrapperIN6hipcub16HIPCUB_304000_NS8EqualityEEESI_JSF_EEE10hipError_tPvRmT3_T4_T5_T6_T7_T9_mT8_P12ihipStream_tbDpT10_ENKUlT_T0_E_clISt17integral_constantIbLb0EES19_EEDaS14_S15_EUlS14_E_NS1_11comp_targetILNS1_3genE4ELNS1_11target_archE910ELNS1_3gpuE8ELNS1_3repE0EEENS1_30default_config_static_selectorELNS0_4arch9wavefront6targetE0EEEvT1_: ; @_ZN7rocprim17ROCPRIM_400000_NS6detail17trampoline_kernelINS0_14default_configENS1_25partition_config_selectorILNS1_17partition_subalgoE9EllbEEZZNS1_14partition_implILS5_9ELb0ES3_jPKlN6thrust23THRUST_200600_302600_NS17counting_iteratorIlNSB_11use_defaultESD_SD_EEPNS0_10empty_typeENS0_5tupleIJPlSF_EEENSH_IJSI_SG_EEENS0_18inequality_wrapperIN6hipcub16HIPCUB_304000_NS8EqualityEEESI_JSF_EEE10hipError_tPvRmT3_T4_T5_T6_T7_T9_mT8_P12ihipStream_tbDpT10_ENKUlT_T0_E_clISt17integral_constantIbLb0EES19_EEDaS14_S15_EUlS14_E_NS1_11comp_targetILNS1_3genE4ELNS1_11target_archE910ELNS1_3gpuE8ELNS1_3repE0EEENS1_30default_config_static_selectorELNS0_4arch9wavefront6targetE0EEEvT1_
; %bb.0:
	.section	.rodata,"a",@progbits
	.p2align	6, 0x0
	.amdhsa_kernel _ZN7rocprim17ROCPRIM_400000_NS6detail17trampoline_kernelINS0_14default_configENS1_25partition_config_selectorILNS1_17partition_subalgoE9EllbEEZZNS1_14partition_implILS5_9ELb0ES3_jPKlN6thrust23THRUST_200600_302600_NS17counting_iteratorIlNSB_11use_defaultESD_SD_EEPNS0_10empty_typeENS0_5tupleIJPlSF_EEENSH_IJSI_SG_EEENS0_18inequality_wrapperIN6hipcub16HIPCUB_304000_NS8EqualityEEESI_JSF_EEE10hipError_tPvRmT3_T4_T5_T6_T7_T9_mT8_P12ihipStream_tbDpT10_ENKUlT_T0_E_clISt17integral_constantIbLb0EES19_EEDaS14_S15_EUlS14_E_NS1_11comp_targetILNS1_3genE4ELNS1_11target_archE910ELNS1_3gpuE8ELNS1_3repE0EEENS1_30default_config_static_selectorELNS0_4arch9wavefront6targetE0EEEvT1_
		.amdhsa_group_segment_fixed_size 0
		.amdhsa_private_segment_fixed_size 0
		.amdhsa_kernarg_size 112
		.amdhsa_user_sgpr_count 2
		.amdhsa_user_sgpr_dispatch_ptr 0
		.amdhsa_user_sgpr_queue_ptr 0
		.amdhsa_user_sgpr_kernarg_segment_ptr 1
		.amdhsa_user_sgpr_dispatch_id 0
		.amdhsa_user_sgpr_private_segment_size 0
		.amdhsa_wavefront_size32 1
		.amdhsa_uses_dynamic_stack 0
		.amdhsa_enable_private_segment 0
		.amdhsa_system_sgpr_workgroup_id_x 1
		.amdhsa_system_sgpr_workgroup_id_y 0
		.amdhsa_system_sgpr_workgroup_id_z 0
		.amdhsa_system_sgpr_workgroup_info 0
		.amdhsa_system_vgpr_workitem_id 0
		.amdhsa_next_free_vgpr 1
		.amdhsa_next_free_sgpr 1
		.amdhsa_reserve_vcc 0
		.amdhsa_float_round_mode_32 0
		.amdhsa_float_round_mode_16_64 0
		.amdhsa_float_denorm_mode_32 3
		.amdhsa_float_denorm_mode_16_64 3
		.amdhsa_fp16_overflow 0
		.amdhsa_workgroup_processor_mode 1
		.amdhsa_memory_ordered 1
		.amdhsa_forward_progress 1
		.amdhsa_inst_pref_size 0
		.amdhsa_round_robin_scheduling 0
		.amdhsa_exception_fp_ieee_invalid_op 0
		.amdhsa_exception_fp_denorm_src 0
		.amdhsa_exception_fp_ieee_div_zero 0
		.amdhsa_exception_fp_ieee_overflow 0
		.amdhsa_exception_fp_ieee_underflow 0
		.amdhsa_exception_fp_ieee_inexact 0
		.amdhsa_exception_int_div_zero 0
	.end_amdhsa_kernel
	.section	.text._ZN7rocprim17ROCPRIM_400000_NS6detail17trampoline_kernelINS0_14default_configENS1_25partition_config_selectorILNS1_17partition_subalgoE9EllbEEZZNS1_14partition_implILS5_9ELb0ES3_jPKlN6thrust23THRUST_200600_302600_NS17counting_iteratorIlNSB_11use_defaultESD_SD_EEPNS0_10empty_typeENS0_5tupleIJPlSF_EEENSH_IJSI_SG_EEENS0_18inequality_wrapperIN6hipcub16HIPCUB_304000_NS8EqualityEEESI_JSF_EEE10hipError_tPvRmT3_T4_T5_T6_T7_T9_mT8_P12ihipStream_tbDpT10_ENKUlT_T0_E_clISt17integral_constantIbLb0EES19_EEDaS14_S15_EUlS14_E_NS1_11comp_targetILNS1_3genE4ELNS1_11target_archE910ELNS1_3gpuE8ELNS1_3repE0EEENS1_30default_config_static_selectorELNS0_4arch9wavefront6targetE0EEEvT1_,"axG",@progbits,_ZN7rocprim17ROCPRIM_400000_NS6detail17trampoline_kernelINS0_14default_configENS1_25partition_config_selectorILNS1_17partition_subalgoE9EllbEEZZNS1_14partition_implILS5_9ELb0ES3_jPKlN6thrust23THRUST_200600_302600_NS17counting_iteratorIlNSB_11use_defaultESD_SD_EEPNS0_10empty_typeENS0_5tupleIJPlSF_EEENSH_IJSI_SG_EEENS0_18inequality_wrapperIN6hipcub16HIPCUB_304000_NS8EqualityEEESI_JSF_EEE10hipError_tPvRmT3_T4_T5_T6_T7_T9_mT8_P12ihipStream_tbDpT10_ENKUlT_T0_E_clISt17integral_constantIbLb0EES19_EEDaS14_S15_EUlS14_E_NS1_11comp_targetILNS1_3genE4ELNS1_11target_archE910ELNS1_3gpuE8ELNS1_3repE0EEENS1_30default_config_static_selectorELNS0_4arch9wavefront6targetE0EEEvT1_,comdat
.Lfunc_end46:
	.size	_ZN7rocprim17ROCPRIM_400000_NS6detail17trampoline_kernelINS0_14default_configENS1_25partition_config_selectorILNS1_17partition_subalgoE9EllbEEZZNS1_14partition_implILS5_9ELb0ES3_jPKlN6thrust23THRUST_200600_302600_NS17counting_iteratorIlNSB_11use_defaultESD_SD_EEPNS0_10empty_typeENS0_5tupleIJPlSF_EEENSH_IJSI_SG_EEENS0_18inequality_wrapperIN6hipcub16HIPCUB_304000_NS8EqualityEEESI_JSF_EEE10hipError_tPvRmT3_T4_T5_T6_T7_T9_mT8_P12ihipStream_tbDpT10_ENKUlT_T0_E_clISt17integral_constantIbLb0EES19_EEDaS14_S15_EUlS14_E_NS1_11comp_targetILNS1_3genE4ELNS1_11target_archE910ELNS1_3gpuE8ELNS1_3repE0EEENS1_30default_config_static_selectorELNS0_4arch9wavefront6targetE0EEEvT1_, .Lfunc_end46-_ZN7rocprim17ROCPRIM_400000_NS6detail17trampoline_kernelINS0_14default_configENS1_25partition_config_selectorILNS1_17partition_subalgoE9EllbEEZZNS1_14partition_implILS5_9ELb0ES3_jPKlN6thrust23THRUST_200600_302600_NS17counting_iteratorIlNSB_11use_defaultESD_SD_EEPNS0_10empty_typeENS0_5tupleIJPlSF_EEENSH_IJSI_SG_EEENS0_18inequality_wrapperIN6hipcub16HIPCUB_304000_NS8EqualityEEESI_JSF_EEE10hipError_tPvRmT3_T4_T5_T6_T7_T9_mT8_P12ihipStream_tbDpT10_ENKUlT_T0_E_clISt17integral_constantIbLb0EES19_EEDaS14_S15_EUlS14_E_NS1_11comp_targetILNS1_3genE4ELNS1_11target_archE910ELNS1_3gpuE8ELNS1_3repE0EEENS1_30default_config_static_selectorELNS0_4arch9wavefront6targetE0EEEvT1_
                                        ; -- End function
	.set _ZN7rocprim17ROCPRIM_400000_NS6detail17trampoline_kernelINS0_14default_configENS1_25partition_config_selectorILNS1_17partition_subalgoE9EllbEEZZNS1_14partition_implILS5_9ELb0ES3_jPKlN6thrust23THRUST_200600_302600_NS17counting_iteratorIlNSB_11use_defaultESD_SD_EEPNS0_10empty_typeENS0_5tupleIJPlSF_EEENSH_IJSI_SG_EEENS0_18inequality_wrapperIN6hipcub16HIPCUB_304000_NS8EqualityEEESI_JSF_EEE10hipError_tPvRmT3_T4_T5_T6_T7_T9_mT8_P12ihipStream_tbDpT10_ENKUlT_T0_E_clISt17integral_constantIbLb0EES19_EEDaS14_S15_EUlS14_E_NS1_11comp_targetILNS1_3genE4ELNS1_11target_archE910ELNS1_3gpuE8ELNS1_3repE0EEENS1_30default_config_static_selectorELNS0_4arch9wavefront6targetE0EEEvT1_.num_vgpr, 0
	.set _ZN7rocprim17ROCPRIM_400000_NS6detail17trampoline_kernelINS0_14default_configENS1_25partition_config_selectorILNS1_17partition_subalgoE9EllbEEZZNS1_14partition_implILS5_9ELb0ES3_jPKlN6thrust23THRUST_200600_302600_NS17counting_iteratorIlNSB_11use_defaultESD_SD_EEPNS0_10empty_typeENS0_5tupleIJPlSF_EEENSH_IJSI_SG_EEENS0_18inequality_wrapperIN6hipcub16HIPCUB_304000_NS8EqualityEEESI_JSF_EEE10hipError_tPvRmT3_T4_T5_T6_T7_T9_mT8_P12ihipStream_tbDpT10_ENKUlT_T0_E_clISt17integral_constantIbLb0EES19_EEDaS14_S15_EUlS14_E_NS1_11comp_targetILNS1_3genE4ELNS1_11target_archE910ELNS1_3gpuE8ELNS1_3repE0EEENS1_30default_config_static_selectorELNS0_4arch9wavefront6targetE0EEEvT1_.num_agpr, 0
	.set _ZN7rocprim17ROCPRIM_400000_NS6detail17trampoline_kernelINS0_14default_configENS1_25partition_config_selectorILNS1_17partition_subalgoE9EllbEEZZNS1_14partition_implILS5_9ELb0ES3_jPKlN6thrust23THRUST_200600_302600_NS17counting_iteratorIlNSB_11use_defaultESD_SD_EEPNS0_10empty_typeENS0_5tupleIJPlSF_EEENSH_IJSI_SG_EEENS0_18inequality_wrapperIN6hipcub16HIPCUB_304000_NS8EqualityEEESI_JSF_EEE10hipError_tPvRmT3_T4_T5_T6_T7_T9_mT8_P12ihipStream_tbDpT10_ENKUlT_T0_E_clISt17integral_constantIbLb0EES19_EEDaS14_S15_EUlS14_E_NS1_11comp_targetILNS1_3genE4ELNS1_11target_archE910ELNS1_3gpuE8ELNS1_3repE0EEENS1_30default_config_static_selectorELNS0_4arch9wavefront6targetE0EEEvT1_.numbered_sgpr, 0
	.set _ZN7rocprim17ROCPRIM_400000_NS6detail17trampoline_kernelINS0_14default_configENS1_25partition_config_selectorILNS1_17partition_subalgoE9EllbEEZZNS1_14partition_implILS5_9ELb0ES3_jPKlN6thrust23THRUST_200600_302600_NS17counting_iteratorIlNSB_11use_defaultESD_SD_EEPNS0_10empty_typeENS0_5tupleIJPlSF_EEENSH_IJSI_SG_EEENS0_18inequality_wrapperIN6hipcub16HIPCUB_304000_NS8EqualityEEESI_JSF_EEE10hipError_tPvRmT3_T4_T5_T6_T7_T9_mT8_P12ihipStream_tbDpT10_ENKUlT_T0_E_clISt17integral_constantIbLb0EES19_EEDaS14_S15_EUlS14_E_NS1_11comp_targetILNS1_3genE4ELNS1_11target_archE910ELNS1_3gpuE8ELNS1_3repE0EEENS1_30default_config_static_selectorELNS0_4arch9wavefront6targetE0EEEvT1_.num_named_barrier, 0
	.set _ZN7rocprim17ROCPRIM_400000_NS6detail17trampoline_kernelINS0_14default_configENS1_25partition_config_selectorILNS1_17partition_subalgoE9EllbEEZZNS1_14partition_implILS5_9ELb0ES3_jPKlN6thrust23THRUST_200600_302600_NS17counting_iteratorIlNSB_11use_defaultESD_SD_EEPNS0_10empty_typeENS0_5tupleIJPlSF_EEENSH_IJSI_SG_EEENS0_18inequality_wrapperIN6hipcub16HIPCUB_304000_NS8EqualityEEESI_JSF_EEE10hipError_tPvRmT3_T4_T5_T6_T7_T9_mT8_P12ihipStream_tbDpT10_ENKUlT_T0_E_clISt17integral_constantIbLb0EES19_EEDaS14_S15_EUlS14_E_NS1_11comp_targetILNS1_3genE4ELNS1_11target_archE910ELNS1_3gpuE8ELNS1_3repE0EEENS1_30default_config_static_selectorELNS0_4arch9wavefront6targetE0EEEvT1_.private_seg_size, 0
	.set _ZN7rocprim17ROCPRIM_400000_NS6detail17trampoline_kernelINS0_14default_configENS1_25partition_config_selectorILNS1_17partition_subalgoE9EllbEEZZNS1_14partition_implILS5_9ELb0ES3_jPKlN6thrust23THRUST_200600_302600_NS17counting_iteratorIlNSB_11use_defaultESD_SD_EEPNS0_10empty_typeENS0_5tupleIJPlSF_EEENSH_IJSI_SG_EEENS0_18inequality_wrapperIN6hipcub16HIPCUB_304000_NS8EqualityEEESI_JSF_EEE10hipError_tPvRmT3_T4_T5_T6_T7_T9_mT8_P12ihipStream_tbDpT10_ENKUlT_T0_E_clISt17integral_constantIbLb0EES19_EEDaS14_S15_EUlS14_E_NS1_11comp_targetILNS1_3genE4ELNS1_11target_archE910ELNS1_3gpuE8ELNS1_3repE0EEENS1_30default_config_static_selectorELNS0_4arch9wavefront6targetE0EEEvT1_.uses_vcc, 0
	.set _ZN7rocprim17ROCPRIM_400000_NS6detail17trampoline_kernelINS0_14default_configENS1_25partition_config_selectorILNS1_17partition_subalgoE9EllbEEZZNS1_14partition_implILS5_9ELb0ES3_jPKlN6thrust23THRUST_200600_302600_NS17counting_iteratorIlNSB_11use_defaultESD_SD_EEPNS0_10empty_typeENS0_5tupleIJPlSF_EEENSH_IJSI_SG_EEENS0_18inequality_wrapperIN6hipcub16HIPCUB_304000_NS8EqualityEEESI_JSF_EEE10hipError_tPvRmT3_T4_T5_T6_T7_T9_mT8_P12ihipStream_tbDpT10_ENKUlT_T0_E_clISt17integral_constantIbLb0EES19_EEDaS14_S15_EUlS14_E_NS1_11comp_targetILNS1_3genE4ELNS1_11target_archE910ELNS1_3gpuE8ELNS1_3repE0EEENS1_30default_config_static_selectorELNS0_4arch9wavefront6targetE0EEEvT1_.uses_flat_scratch, 0
	.set _ZN7rocprim17ROCPRIM_400000_NS6detail17trampoline_kernelINS0_14default_configENS1_25partition_config_selectorILNS1_17partition_subalgoE9EllbEEZZNS1_14partition_implILS5_9ELb0ES3_jPKlN6thrust23THRUST_200600_302600_NS17counting_iteratorIlNSB_11use_defaultESD_SD_EEPNS0_10empty_typeENS0_5tupleIJPlSF_EEENSH_IJSI_SG_EEENS0_18inequality_wrapperIN6hipcub16HIPCUB_304000_NS8EqualityEEESI_JSF_EEE10hipError_tPvRmT3_T4_T5_T6_T7_T9_mT8_P12ihipStream_tbDpT10_ENKUlT_T0_E_clISt17integral_constantIbLb0EES19_EEDaS14_S15_EUlS14_E_NS1_11comp_targetILNS1_3genE4ELNS1_11target_archE910ELNS1_3gpuE8ELNS1_3repE0EEENS1_30default_config_static_selectorELNS0_4arch9wavefront6targetE0EEEvT1_.has_dyn_sized_stack, 0
	.set _ZN7rocprim17ROCPRIM_400000_NS6detail17trampoline_kernelINS0_14default_configENS1_25partition_config_selectorILNS1_17partition_subalgoE9EllbEEZZNS1_14partition_implILS5_9ELb0ES3_jPKlN6thrust23THRUST_200600_302600_NS17counting_iteratorIlNSB_11use_defaultESD_SD_EEPNS0_10empty_typeENS0_5tupleIJPlSF_EEENSH_IJSI_SG_EEENS0_18inequality_wrapperIN6hipcub16HIPCUB_304000_NS8EqualityEEESI_JSF_EEE10hipError_tPvRmT3_T4_T5_T6_T7_T9_mT8_P12ihipStream_tbDpT10_ENKUlT_T0_E_clISt17integral_constantIbLb0EES19_EEDaS14_S15_EUlS14_E_NS1_11comp_targetILNS1_3genE4ELNS1_11target_archE910ELNS1_3gpuE8ELNS1_3repE0EEENS1_30default_config_static_selectorELNS0_4arch9wavefront6targetE0EEEvT1_.has_recursion, 0
	.set _ZN7rocprim17ROCPRIM_400000_NS6detail17trampoline_kernelINS0_14default_configENS1_25partition_config_selectorILNS1_17partition_subalgoE9EllbEEZZNS1_14partition_implILS5_9ELb0ES3_jPKlN6thrust23THRUST_200600_302600_NS17counting_iteratorIlNSB_11use_defaultESD_SD_EEPNS0_10empty_typeENS0_5tupleIJPlSF_EEENSH_IJSI_SG_EEENS0_18inequality_wrapperIN6hipcub16HIPCUB_304000_NS8EqualityEEESI_JSF_EEE10hipError_tPvRmT3_T4_T5_T6_T7_T9_mT8_P12ihipStream_tbDpT10_ENKUlT_T0_E_clISt17integral_constantIbLb0EES19_EEDaS14_S15_EUlS14_E_NS1_11comp_targetILNS1_3genE4ELNS1_11target_archE910ELNS1_3gpuE8ELNS1_3repE0EEENS1_30default_config_static_selectorELNS0_4arch9wavefront6targetE0EEEvT1_.has_indirect_call, 0
	.section	.AMDGPU.csdata,"",@progbits
; Kernel info:
; codeLenInByte = 0
; TotalNumSgprs: 0
; NumVgprs: 0
; ScratchSize: 0
; MemoryBound: 0
; FloatMode: 240
; IeeeMode: 1
; LDSByteSize: 0 bytes/workgroup (compile time only)
; SGPRBlocks: 0
; VGPRBlocks: 0
; NumSGPRsForWavesPerEU: 1
; NumVGPRsForWavesPerEU: 1
; Occupancy: 16
; WaveLimiterHint : 0
; COMPUTE_PGM_RSRC2:SCRATCH_EN: 0
; COMPUTE_PGM_RSRC2:USER_SGPR: 2
; COMPUTE_PGM_RSRC2:TRAP_HANDLER: 0
; COMPUTE_PGM_RSRC2:TGID_X_EN: 1
; COMPUTE_PGM_RSRC2:TGID_Y_EN: 0
; COMPUTE_PGM_RSRC2:TGID_Z_EN: 0
; COMPUTE_PGM_RSRC2:TIDIG_COMP_CNT: 0
	.section	.text._ZN7rocprim17ROCPRIM_400000_NS6detail17trampoline_kernelINS0_14default_configENS1_25partition_config_selectorILNS1_17partition_subalgoE9EllbEEZZNS1_14partition_implILS5_9ELb0ES3_jPKlN6thrust23THRUST_200600_302600_NS17counting_iteratorIlNSB_11use_defaultESD_SD_EEPNS0_10empty_typeENS0_5tupleIJPlSF_EEENSH_IJSI_SG_EEENS0_18inequality_wrapperIN6hipcub16HIPCUB_304000_NS8EqualityEEESI_JSF_EEE10hipError_tPvRmT3_T4_T5_T6_T7_T9_mT8_P12ihipStream_tbDpT10_ENKUlT_T0_E_clISt17integral_constantIbLb0EES19_EEDaS14_S15_EUlS14_E_NS1_11comp_targetILNS1_3genE3ELNS1_11target_archE908ELNS1_3gpuE7ELNS1_3repE0EEENS1_30default_config_static_selectorELNS0_4arch9wavefront6targetE0EEEvT1_,"axG",@progbits,_ZN7rocprim17ROCPRIM_400000_NS6detail17trampoline_kernelINS0_14default_configENS1_25partition_config_selectorILNS1_17partition_subalgoE9EllbEEZZNS1_14partition_implILS5_9ELb0ES3_jPKlN6thrust23THRUST_200600_302600_NS17counting_iteratorIlNSB_11use_defaultESD_SD_EEPNS0_10empty_typeENS0_5tupleIJPlSF_EEENSH_IJSI_SG_EEENS0_18inequality_wrapperIN6hipcub16HIPCUB_304000_NS8EqualityEEESI_JSF_EEE10hipError_tPvRmT3_T4_T5_T6_T7_T9_mT8_P12ihipStream_tbDpT10_ENKUlT_T0_E_clISt17integral_constantIbLb0EES19_EEDaS14_S15_EUlS14_E_NS1_11comp_targetILNS1_3genE3ELNS1_11target_archE908ELNS1_3gpuE7ELNS1_3repE0EEENS1_30default_config_static_selectorELNS0_4arch9wavefront6targetE0EEEvT1_,comdat
	.protected	_ZN7rocprim17ROCPRIM_400000_NS6detail17trampoline_kernelINS0_14default_configENS1_25partition_config_selectorILNS1_17partition_subalgoE9EllbEEZZNS1_14partition_implILS5_9ELb0ES3_jPKlN6thrust23THRUST_200600_302600_NS17counting_iteratorIlNSB_11use_defaultESD_SD_EEPNS0_10empty_typeENS0_5tupleIJPlSF_EEENSH_IJSI_SG_EEENS0_18inequality_wrapperIN6hipcub16HIPCUB_304000_NS8EqualityEEESI_JSF_EEE10hipError_tPvRmT3_T4_T5_T6_T7_T9_mT8_P12ihipStream_tbDpT10_ENKUlT_T0_E_clISt17integral_constantIbLb0EES19_EEDaS14_S15_EUlS14_E_NS1_11comp_targetILNS1_3genE3ELNS1_11target_archE908ELNS1_3gpuE7ELNS1_3repE0EEENS1_30default_config_static_selectorELNS0_4arch9wavefront6targetE0EEEvT1_ ; -- Begin function _ZN7rocprim17ROCPRIM_400000_NS6detail17trampoline_kernelINS0_14default_configENS1_25partition_config_selectorILNS1_17partition_subalgoE9EllbEEZZNS1_14partition_implILS5_9ELb0ES3_jPKlN6thrust23THRUST_200600_302600_NS17counting_iteratorIlNSB_11use_defaultESD_SD_EEPNS0_10empty_typeENS0_5tupleIJPlSF_EEENSH_IJSI_SG_EEENS0_18inequality_wrapperIN6hipcub16HIPCUB_304000_NS8EqualityEEESI_JSF_EEE10hipError_tPvRmT3_T4_T5_T6_T7_T9_mT8_P12ihipStream_tbDpT10_ENKUlT_T0_E_clISt17integral_constantIbLb0EES19_EEDaS14_S15_EUlS14_E_NS1_11comp_targetILNS1_3genE3ELNS1_11target_archE908ELNS1_3gpuE7ELNS1_3repE0EEENS1_30default_config_static_selectorELNS0_4arch9wavefront6targetE0EEEvT1_
	.globl	_ZN7rocprim17ROCPRIM_400000_NS6detail17trampoline_kernelINS0_14default_configENS1_25partition_config_selectorILNS1_17partition_subalgoE9EllbEEZZNS1_14partition_implILS5_9ELb0ES3_jPKlN6thrust23THRUST_200600_302600_NS17counting_iteratorIlNSB_11use_defaultESD_SD_EEPNS0_10empty_typeENS0_5tupleIJPlSF_EEENSH_IJSI_SG_EEENS0_18inequality_wrapperIN6hipcub16HIPCUB_304000_NS8EqualityEEESI_JSF_EEE10hipError_tPvRmT3_T4_T5_T6_T7_T9_mT8_P12ihipStream_tbDpT10_ENKUlT_T0_E_clISt17integral_constantIbLb0EES19_EEDaS14_S15_EUlS14_E_NS1_11comp_targetILNS1_3genE3ELNS1_11target_archE908ELNS1_3gpuE7ELNS1_3repE0EEENS1_30default_config_static_selectorELNS0_4arch9wavefront6targetE0EEEvT1_
	.p2align	8
	.type	_ZN7rocprim17ROCPRIM_400000_NS6detail17trampoline_kernelINS0_14default_configENS1_25partition_config_selectorILNS1_17partition_subalgoE9EllbEEZZNS1_14partition_implILS5_9ELb0ES3_jPKlN6thrust23THRUST_200600_302600_NS17counting_iteratorIlNSB_11use_defaultESD_SD_EEPNS0_10empty_typeENS0_5tupleIJPlSF_EEENSH_IJSI_SG_EEENS0_18inequality_wrapperIN6hipcub16HIPCUB_304000_NS8EqualityEEESI_JSF_EEE10hipError_tPvRmT3_T4_T5_T6_T7_T9_mT8_P12ihipStream_tbDpT10_ENKUlT_T0_E_clISt17integral_constantIbLb0EES19_EEDaS14_S15_EUlS14_E_NS1_11comp_targetILNS1_3genE3ELNS1_11target_archE908ELNS1_3gpuE7ELNS1_3repE0EEENS1_30default_config_static_selectorELNS0_4arch9wavefront6targetE0EEEvT1_,@function
_ZN7rocprim17ROCPRIM_400000_NS6detail17trampoline_kernelINS0_14default_configENS1_25partition_config_selectorILNS1_17partition_subalgoE9EllbEEZZNS1_14partition_implILS5_9ELb0ES3_jPKlN6thrust23THRUST_200600_302600_NS17counting_iteratorIlNSB_11use_defaultESD_SD_EEPNS0_10empty_typeENS0_5tupleIJPlSF_EEENSH_IJSI_SG_EEENS0_18inequality_wrapperIN6hipcub16HIPCUB_304000_NS8EqualityEEESI_JSF_EEE10hipError_tPvRmT3_T4_T5_T6_T7_T9_mT8_P12ihipStream_tbDpT10_ENKUlT_T0_E_clISt17integral_constantIbLb0EES19_EEDaS14_S15_EUlS14_E_NS1_11comp_targetILNS1_3genE3ELNS1_11target_archE908ELNS1_3gpuE7ELNS1_3repE0EEENS1_30default_config_static_selectorELNS0_4arch9wavefront6targetE0EEEvT1_: ; @_ZN7rocprim17ROCPRIM_400000_NS6detail17trampoline_kernelINS0_14default_configENS1_25partition_config_selectorILNS1_17partition_subalgoE9EllbEEZZNS1_14partition_implILS5_9ELb0ES3_jPKlN6thrust23THRUST_200600_302600_NS17counting_iteratorIlNSB_11use_defaultESD_SD_EEPNS0_10empty_typeENS0_5tupleIJPlSF_EEENSH_IJSI_SG_EEENS0_18inequality_wrapperIN6hipcub16HIPCUB_304000_NS8EqualityEEESI_JSF_EEE10hipError_tPvRmT3_T4_T5_T6_T7_T9_mT8_P12ihipStream_tbDpT10_ENKUlT_T0_E_clISt17integral_constantIbLb0EES19_EEDaS14_S15_EUlS14_E_NS1_11comp_targetILNS1_3genE3ELNS1_11target_archE908ELNS1_3gpuE7ELNS1_3repE0EEENS1_30default_config_static_selectorELNS0_4arch9wavefront6targetE0EEEvT1_
; %bb.0:
	.section	.rodata,"a",@progbits
	.p2align	6, 0x0
	.amdhsa_kernel _ZN7rocprim17ROCPRIM_400000_NS6detail17trampoline_kernelINS0_14default_configENS1_25partition_config_selectorILNS1_17partition_subalgoE9EllbEEZZNS1_14partition_implILS5_9ELb0ES3_jPKlN6thrust23THRUST_200600_302600_NS17counting_iteratorIlNSB_11use_defaultESD_SD_EEPNS0_10empty_typeENS0_5tupleIJPlSF_EEENSH_IJSI_SG_EEENS0_18inequality_wrapperIN6hipcub16HIPCUB_304000_NS8EqualityEEESI_JSF_EEE10hipError_tPvRmT3_T4_T5_T6_T7_T9_mT8_P12ihipStream_tbDpT10_ENKUlT_T0_E_clISt17integral_constantIbLb0EES19_EEDaS14_S15_EUlS14_E_NS1_11comp_targetILNS1_3genE3ELNS1_11target_archE908ELNS1_3gpuE7ELNS1_3repE0EEENS1_30default_config_static_selectorELNS0_4arch9wavefront6targetE0EEEvT1_
		.amdhsa_group_segment_fixed_size 0
		.amdhsa_private_segment_fixed_size 0
		.amdhsa_kernarg_size 112
		.amdhsa_user_sgpr_count 2
		.amdhsa_user_sgpr_dispatch_ptr 0
		.amdhsa_user_sgpr_queue_ptr 0
		.amdhsa_user_sgpr_kernarg_segment_ptr 1
		.amdhsa_user_sgpr_dispatch_id 0
		.amdhsa_user_sgpr_private_segment_size 0
		.amdhsa_wavefront_size32 1
		.amdhsa_uses_dynamic_stack 0
		.amdhsa_enable_private_segment 0
		.amdhsa_system_sgpr_workgroup_id_x 1
		.amdhsa_system_sgpr_workgroup_id_y 0
		.amdhsa_system_sgpr_workgroup_id_z 0
		.amdhsa_system_sgpr_workgroup_info 0
		.amdhsa_system_vgpr_workitem_id 0
		.amdhsa_next_free_vgpr 1
		.amdhsa_next_free_sgpr 1
		.amdhsa_reserve_vcc 0
		.amdhsa_float_round_mode_32 0
		.amdhsa_float_round_mode_16_64 0
		.amdhsa_float_denorm_mode_32 3
		.amdhsa_float_denorm_mode_16_64 3
		.amdhsa_fp16_overflow 0
		.amdhsa_workgroup_processor_mode 1
		.amdhsa_memory_ordered 1
		.amdhsa_forward_progress 1
		.amdhsa_inst_pref_size 0
		.amdhsa_round_robin_scheduling 0
		.amdhsa_exception_fp_ieee_invalid_op 0
		.amdhsa_exception_fp_denorm_src 0
		.amdhsa_exception_fp_ieee_div_zero 0
		.amdhsa_exception_fp_ieee_overflow 0
		.amdhsa_exception_fp_ieee_underflow 0
		.amdhsa_exception_fp_ieee_inexact 0
		.amdhsa_exception_int_div_zero 0
	.end_amdhsa_kernel
	.section	.text._ZN7rocprim17ROCPRIM_400000_NS6detail17trampoline_kernelINS0_14default_configENS1_25partition_config_selectorILNS1_17partition_subalgoE9EllbEEZZNS1_14partition_implILS5_9ELb0ES3_jPKlN6thrust23THRUST_200600_302600_NS17counting_iteratorIlNSB_11use_defaultESD_SD_EEPNS0_10empty_typeENS0_5tupleIJPlSF_EEENSH_IJSI_SG_EEENS0_18inequality_wrapperIN6hipcub16HIPCUB_304000_NS8EqualityEEESI_JSF_EEE10hipError_tPvRmT3_T4_T5_T6_T7_T9_mT8_P12ihipStream_tbDpT10_ENKUlT_T0_E_clISt17integral_constantIbLb0EES19_EEDaS14_S15_EUlS14_E_NS1_11comp_targetILNS1_3genE3ELNS1_11target_archE908ELNS1_3gpuE7ELNS1_3repE0EEENS1_30default_config_static_selectorELNS0_4arch9wavefront6targetE0EEEvT1_,"axG",@progbits,_ZN7rocprim17ROCPRIM_400000_NS6detail17trampoline_kernelINS0_14default_configENS1_25partition_config_selectorILNS1_17partition_subalgoE9EllbEEZZNS1_14partition_implILS5_9ELb0ES3_jPKlN6thrust23THRUST_200600_302600_NS17counting_iteratorIlNSB_11use_defaultESD_SD_EEPNS0_10empty_typeENS0_5tupleIJPlSF_EEENSH_IJSI_SG_EEENS0_18inequality_wrapperIN6hipcub16HIPCUB_304000_NS8EqualityEEESI_JSF_EEE10hipError_tPvRmT3_T4_T5_T6_T7_T9_mT8_P12ihipStream_tbDpT10_ENKUlT_T0_E_clISt17integral_constantIbLb0EES19_EEDaS14_S15_EUlS14_E_NS1_11comp_targetILNS1_3genE3ELNS1_11target_archE908ELNS1_3gpuE7ELNS1_3repE0EEENS1_30default_config_static_selectorELNS0_4arch9wavefront6targetE0EEEvT1_,comdat
.Lfunc_end47:
	.size	_ZN7rocprim17ROCPRIM_400000_NS6detail17trampoline_kernelINS0_14default_configENS1_25partition_config_selectorILNS1_17partition_subalgoE9EllbEEZZNS1_14partition_implILS5_9ELb0ES3_jPKlN6thrust23THRUST_200600_302600_NS17counting_iteratorIlNSB_11use_defaultESD_SD_EEPNS0_10empty_typeENS0_5tupleIJPlSF_EEENSH_IJSI_SG_EEENS0_18inequality_wrapperIN6hipcub16HIPCUB_304000_NS8EqualityEEESI_JSF_EEE10hipError_tPvRmT3_T4_T5_T6_T7_T9_mT8_P12ihipStream_tbDpT10_ENKUlT_T0_E_clISt17integral_constantIbLb0EES19_EEDaS14_S15_EUlS14_E_NS1_11comp_targetILNS1_3genE3ELNS1_11target_archE908ELNS1_3gpuE7ELNS1_3repE0EEENS1_30default_config_static_selectorELNS0_4arch9wavefront6targetE0EEEvT1_, .Lfunc_end47-_ZN7rocprim17ROCPRIM_400000_NS6detail17trampoline_kernelINS0_14default_configENS1_25partition_config_selectorILNS1_17partition_subalgoE9EllbEEZZNS1_14partition_implILS5_9ELb0ES3_jPKlN6thrust23THRUST_200600_302600_NS17counting_iteratorIlNSB_11use_defaultESD_SD_EEPNS0_10empty_typeENS0_5tupleIJPlSF_EEENSH_IJSI_SG_EEENS0_18inequality_wrapperIN6hipcub16HIPCUB_304000_NS8EqualityEEESI_JSF_EEE10hipError_tPvRmT3_T4_T5_T6_T7_T9_mT8_P12ihipStream_tbDpT10_ENKUlT_T0_E_clISt17integral_constantIbLb0EES19_EEDaS14_S15_EUlS14_E_NS1_11comp_targetILNS1_3genE3ELNS1_11target_archE908ELNS1_3gpuE7ELNS1_3repE0EEENS1_30default_config_static_selectorELNS0_4arch9wavefront6targetE0EEEvT1_
                                        ; -- End function
	.set _ZN7rocprim17ROCPRIM_400000_NS6detail17trampoline_kernelINS0_14default_configENS1_25partition_config_selectorILNS1_17partition_subalgoE9EllbEEZZNS1_14partition_implILS5_9ELb0ES3_jPKlN6thrust23THRUST_200600_302600_NS17counting_iteratorIlNSB_11use_defaultESD_SD_EEPNS0_10empty_typeENS0_5tupleIJPlSF_EEENSH_IJSI_SG_EEENS0_18inequality_wrapperIN6hipcub16HIPCUB_304000_NS8EqualityEEESI_JSF_EEE10hipError_tPvRmT3_T4_T5_T6_T7_T9_mT8_P12ihipStream_tbDpT10_ENKUlT_T0_E_clISt17integral_constantIbLb0EES19_EEDaS14_S15_EUlS14_E_NS1_11comp_targetILNS1_3genE3ELNS1_11target_archE908ELNS1_3gpuE7ELNS1_3repE0EEENS1_30default_config_static_selectorELNS0_4arch9wavefront6targetE0EEEvT1_.num_vgpr, 0
	.set _ZN7rocprim17ROCPRIM_400000_NS6detail17trampoline_kernelINS0_14default_configENS1_25partition_config_selectorILNS1_17partition_subalgoE9EllbEEZZNS1_14partition_implILS5_9ELb0ES3_jPKlN6thrust23THRUST_200600_302600_NS17counting_iteratorIlNSB_11use_defaultESD_SD_EEPNS0_10empty_typeENS0_5tupleIJPlSF_EEENSH_IJSI_SG_EEENS0_18inequality_wrapperIN6hipcub16HIPCUB_304000_NS8EqualityEEESI_JSF_EEE10hipError_tPvRmT3_T4_T5_T6_T7_T9_mT8_P12ihipStream_tbDpT10_ENKUlT_T0_E_clISt17integral_constantIbLb0EES19_EEDaS14_S15_EUlS14_E_NS1_11comp_targetILNS1_3genE3ELNS1_11target_archE908ELNS1_3gpuE7ELNS1_3repE0EEENS1_30default_config_static_selectorELNS0_4arch9wavefront6targetE0EEEvT1_.num_agpr, 0
	.set _ZN7rocprim17ROCPRIM_400000_NS6detail17trampoline_kernelINS0_14default_configENS1_25partition_config_selectorILNS1_17partition_subalgoE9EllbEEZZNS1_14partition_implILS5_9ELb0ES3_jPKlN6thrust23THRUST_200600_302600_NS17counting_iteratorIlNSB_11use_defaultESD_SD_EEPNS0_10empty_typeENS0_5tupleIJPlSF_EEENSH_IJSI_SG_EEENS0_18inequality_wrapperIN6hipcub16HIPCUB_304000_NS8EqualityEEESI_JSF_EEE10hipError_tPvRmT3_T4_T5_T6_T7_T9_mT8_P12ihipStream_tbDpT10_ENKUlT_T0_E_clISt17integral_constantIbLb0EES19_EEDaS14_S15_EUlS14_E_NS1_11comp_targetILNS1_3genE3ELNS1_11target_archE908ELNS1_3gpuE7ELNS1_3repE0EEENS1_30default_config_static_selectorELNS0_4arch9wavefront6targetE0EEEvT1_.numbered_sgpr, 0
	.set _ZN7rocprim17ROCPRIM_400000_NS6detail17trampoline_kernelINS0_14default_configENS1_25partition_config_selectorILNS1_17partition_subalgoE9EllbEEZZNS1_14partition_implILS5_9ELb0ES3_jPKlN6thrust23THRUST_200600_302600_NS17counting_iteratorIlNSB_11use_defaultESD_SD_EEPNS0_10empty_typeENS0_5tupleIJPlSF_EEENSH_IJSI_SG_EEENS0_18inequality_wrapperIN6hipcub16HIPCUB_304000_NS8EqualityEEESI_JSF_EEE10hipError_tPvRmT3_T4_T5_T6_T7_T9_mT8_P12ihipStream_tbDpT10_ENKUlT_T0_E_clISt17integral_constantIbLb0EES19_EEDaS14_S15_EUlS14_E_NS1_11comp_targetILNS1_3genE3ELNS1_11target_archE908ELNS1_3gpuE7ELNS1_3repE0EEENS1_30default_config_static_selectorELNS0_4arch9wavefront6targetE0EEEvT1_.num_named_barrier, 0
	.set _ZN7rocprim17ROCPRIM_400000_NS6detail17trampoline_kernelINS0_14default_configENS1_25partition_config_selectorILNS1_17partition_subalgoE9EllbEEZZNS1_14partition_implILS5_9ELb0ES3_jPKlN6thrust23THRUST_200600_302600_NS17counting_iteratorIlNSB_11use_defaultESD_SD_EEPNS0_10empty_typeENS0_5tupleIJPlSF_EEENSH_IJSI_SG_EEENS0_18inequality_wrapperIN6hipcub16HIPCUB_304000_NS8EqualityEEESI_JSF_EEE10hipError_tPvRmT3_T4_T5_T6_T7_T9_mT8_P12ihipStream_tbDpT10_ENKUlT_T0_E_clISt17integral_constantIbLb0EES19_EEDaS14_S15_EUlS14_E_NS1_11comp_targetILNS1_3genE3ELNS1_11target_archE908ELNS1_3gpuE7ELNS1_3repE0EEENS1_30default_config_static_selectorELNS0_4arch9wavefront6targetE0EEEvT1_.private_seg_size, 0
	.set _ZN7rocprim17ROCPRIM_400000_NS6detail17trampoline_kernelINS0_14default_configENS1_25partition_config_selectorILNS1_17partition_subalgoE9EllbEEZZNS1_14partition_implILS5_9ELb0ES3_jPKlN6thrust23THRUST_200600_302600_NS17counting_iteratorIlNSB_11use_defaultESD_SD_EEPNS0_10empty_typeENS0_5tupleIJPlSF_EEENSH_IJSI_SG_EEENS0_18inequality_wrapperIN6hipcub16HIPCUB_304000_NS8EqualityEEESI_JSF_EEE10hipError_tPvRmT3_T4_T5_T6_T7_T9_mT8_P12ihipStream_tbDpT10_ENKUlT_T0_E_clISt17integral_constantIbLb0EES19_EEDaS14_S15_EUlS14_E_NS1_11comp_targetILNS1_3genE3ELNS1_11target_archE908ELNS1_3gpuE7ELNS1_3repE0EEENS1_30default_config_static_selectorELNS0_4arch9wavefront6targetE0EEEvT1_.uses_vcc, 0
	.set _ZN7rocprim17ROCPRIM_400000_NS6detail17trampoline_kernelINS0_14default_configENS1_25partition_config_selectorILNS1_17partition_subalgoE9EllbEEZZNS1_14partition_implILS5_9ELb0ES3_jPKlN6thrust23THRUST_200600_302600_NS17counting_iteratorIlNSB_11use_defaultESD_SD_EEPNS0_10empty_typeENS0_5tupleIJPlSF_EEENSH_IJSI_SG_EEENS0_18inequality_wrapperIN6hipcub16HIPCUB_304000_NS8EqualityEEESI_JSF_EEE10hipError_tPvRmT3_T4_T5_T6_T7_T9_mT8_P12ihipStream_tbDpT10_ENKUlT_T0_E_clISt17integral_constantIbLb0EES19_EEDaS14_S15_EUlS14_E_NS1_11comp_targetILNS1_3genE3ELNS1_11target_archE908ELNS1_3gpuE7ELNS1_3repE0EEENS1_30default_config_static_selectorELNS0_4arch9wavefront6targetE0EEEvT1_.uses_flat_scratch, 0
	.set _ZN7rocprim17ROCPRIM_400000_NS6detail17trampoline_kernelINS0_14default_configENS1_25partition_config_selectorILNS1_17partition_subalgoE9EllbEEZZNS1_14partition_implILS5_9ELb0ES3_jPKlN6thrust23THRUST_200600_302600_NS17counting_iteratorIlNSB_11use_defaultESD_SD_EEPNS0_10empty_typeENS0_5tupleIJPlSF_EEENSH_IJSI_SG_EEENS0_18inequality_wrapperIN6hipcub16HIPCUB_304000_NS8EqualityEEESI_JSF_EEE10hipError_tPvRmT3_T4_T5_T6_T7_T9_mT8_P12ihipStream_tbDpT10_ENKUlT_T0_E_clISt17integral_constantIbLb0EES19_EEDaS14_S15_EUlS14_E_NS1_11comp_targetILNS1_3genE3ELNS1_11target_archE908ELNS1_3gpuE7ELNS1_3repE0EEENS1_30default_config_static_selectorELNS0_4arch9wavefront6targetE0EEEvT1_.has_dyn_sized_stack, 0
	.set _ZN7rocprim17ROCPRIM_400000_NS6detail17trampoline_kernelINS0_14default_configENS1_25partition_config_selectorILNS1_17partition_subalgoE9EllbEEZZNS1_14partition_implILS5_9ELb0ES3_jPKlN6thrust23THRUST_200600_302600_NS17counting_iteratorIlNSB_11use_defaultESD_SD_EEPNS0_10empty_typeENS0_5tupleIJPlSF_EEENSH_IJSI_SG_EEENS0_18inequality_wrapperIN6hipcub16HIPCUB_304000_NS8EqualityEEESI_JSF_EEE10hipError_tPvRmT3_T4_T5_T6_T7_T9_mT8_P12ihipStream_tbDpT10_ENKUlT_T0_E_clISt17integral_constantIbLb0EES19_EEDaS14_S15_EUlS14_E_NS1_11comp_targetILNS1_3genE3ELNS1_11target_archE908ELNS1_3gpuE7ELNS1_3repE0EEENS1_30default_config_static_selectorELNS0_4arch9wavefront6targetE0EEEvT1_.has_recursion, 0
	.set _ZN7rocprim17ROCPRIM_400000_NS6detail17trampoline_kernelINS0_14default_configENS1_25partition_config_selectorILNS1_17partition_subalgoE9EllbEEZZNS1_14partition_implILS5_9ELb0ES3_jPKlN6thrust23THRUST_200600_302600_NS17counting_iteratorIlNSB_11use_defaultESD_SD_EEPNS0_10empty_typeENS0_5tupleIJPlSF_EEENSH_IJSI_SG_EEENS0_18inequality_wrapperIN6hipcub16HIPCUB_304000_NS8EqualityEEESI_JSF_EEE10hipError_tPvRmT3_T4_T5_T6_T7_T9_mT8_P12ihipStream_tbDpT10_ENKUlT_T0_E_clISt17integral_constantIbLb0EES19_EEDaS14_S15_EUlS14_E_NS1_11comp_targetILNS1_3genE3ELNS1_11target_archE908ELNS1_3gpuE7ELNS1_3repE0EEENS1_30default_config_static_selectorELNS0_4arch9wavefront6targetE0EEEvT1_.has_indirect_call, 0
	.section	.AMDGPU.csdata,"",@progbits
; Kernel info:
; codeLenInByte = 0
; TotalNumSgprs: 0
; NumVgprs: 0
; ScratchSize: 0
; MemoryBound: 0
; FloatMode: 240
; IeeeMode: 1
; LDSByteSize: 0 bytes/workgroup (compile time only)
; SGPRBlocks: 0
; VGPRBlocks: 0
; NumSGPRsForWavesPerEU: 1
; NumVGPRsForWavesPerEU: 1
; Occupancy: 16
; WaveLimiterHint : 0
; COMPUTE_PGM_RSRC2:SCRATCH_EN: 0
; COMPUTE_PGM_RSRC2:USER_SGPR: 2
; COMPUTE_PGM_RSRC2:TRAP_HANDLER: 0
; COMPUTE_PGM_RSRC2:TGID_X_EN: 1
; COMPUTE_PGM_RSRC2:TGID_Y_EN: 0
; COMPUTE_PGM_RSRC2:TGID_Z_EN: 0
; COMPUTE_PGM_RSRC2:TIDIG_COMP_CNT: 0
	.section	.text._ZN7rocprim17ROCPRIM_400000_NS6detail17trampoline_kernelINS0_14default_configENS1_25partition_config_selectorILNS1_17partition_subalgoE9EllbEEZZNS1_14partition_implILS5_9ELb0ES3_jPKlN6thrust23THRUST_200600_302600_NS17counting_iteratorIlNSB_11use_defaultESD_SD_EEPNS0_10empty_typeENS0_5tupleIJPlSF_EEENSH_IJSI_SG_EEENS0_18inequality_wrapperIN6hipcub16HIPCUB_304000_NS8EqualityEEESI_JSF_EEE10hipError_tPvRmT3_T4_T5_T6_T7_T9_mT8_P12ihipStream_tbDpT10_ENKUlT_T0_E_clISt17integral_constantIbLb0EES19_EEDaS14_S15_EUlS14_E_NS1_11comp_targetILNS1_3genE2ELNS1_11target_archE906ELNS1_3gpuE6ELNS1_3repE0EEENS1_30default_config_static_selectorELNS0_4arch9wavefront6targetE0EEEvT1_,"axG",@progbits,_ZN7rocprim17ROCPRIM_400000_NS6detail17trampoline_kernelINS0_14default_configENS1_25partition_config_selectorILNS1_17partition_subalgoE9EllbEEZZNS1_14partition_implILS5_9ELb0ES3_jPKlN6thrust23THRUST_200600_302600_NS17counting_iteratorIlNSB_11use_defaultESD_SD_EEPNS0_10empty_typeENS0_5tupleIJPlSF_EEENSH_IJSI_SG_EEENS0_18inequality_wrapperIN6hipcub16HIPCUB_304000_NS8EqualityEEESI_JSF_EEE10hipError_tPvRmT3_T4_T5_T6_T7_T9_mT8_P12ihipStream_tbDpT10_ENKUlT_T0_E_clISt17integral_constantIbLb0EES19_EEDaS14_S15_EUlS14_E_NS1_11comp_targetILNS1_3genE2ELNS1_11target_archE906ELNS1_3gpuE6ELNS1_3repE0EEENS1_30default_config_static_selectorELNS0_4arch9wavefront6targetE0EEEvT1_,comdat
	.protected	_ZN7rocprim17ROCPRIM_400000_NS6detail17trampoline_kernelINS0_14default_configENS1_25partition_config_selectorILNS1_17partition_subalgoE9EllbEEZZNS1_14partition_implILS5_9ELb0ES3_jPKlN6thrust23THRUST_200600_302600_NS17counting_iteratorIlNSB_11use_defaultESD_SD_EEPNS0_10empty_typeENS0_5tupleIJPlSF_EEENSH_IJSI_SG_EEENS0_18inequality_wrapperIN6hipcub16HIPCUB_304000_NS8EqualityEEESI_JSF_EEE10hipError_tPvRmT3_T4_T5_T6_T7_T9_mT8_P12ihipStream_tbDpT10_ENKUlT_T0_E_clISt17integral_constantIbLb0EES19_EEDaS14_S15_EUlS14_E_NS1_11comp_targetILNS1_3genE2ELNS1_11target_archE906ELNS1_3gpuE6ELNS1_3repE0EEENS1_30default_config_static_selectorELNS0_4arch9wavefront6targetE0EEEvT1_ ; -- Begin function _ZN7rocprim17ROCPRIM_400000_NS6detail17trampoline_kernelINS0_14default_configENS1_25partition_config_selectorILNS1_17partition_subalgoE9EllbEEZZNS1_14partition_implILS5_9ELb0ES3_jPKlN6thrust23THRUST_200600_302600_NS17counting_iteratorIlNSB_11use_defaultESD_SD_EEPNS0_10empty_typeENS0_5tupleIJPlSF_EEENSH_IJSI_SG_EEENS0_18inequality_wrapperIN6hipcub16HIPCUB_304000_NS8EqualityEEESI_JSF_EEE10hipError_tPvRmT3_T4_T5_T6_T7_T9_mT8_P12ihipStream_tbDpT10_ENKUlT_T0_E_clISt17integral_constantIbLb0EES19_EEDaS14_S15_EUlS14_E_NS1_11comp_targetILNS1_3genE2ELNS1_11target_archE906ELNS1_3gpuE6ELNS1_3repE0EEENS1_30default_config_static_selectorELNS0_4arch9wavefront6targetE0EEEvT1_
	.globl	_ZN7rocprim17ROCPRIM_400000_NS6detail17trampoline_kernelINS0_14default_configENS1_25partition_config_selectorILNS1_17partition_subalgoE9EllbEEZZNS1_14partition_implILS5_9ELb0ES3_jPKlN6thrust23THRUST_200600_302600_NS17counting_iteratorIlNSB_11use_defaultESD_SD_EEPNS0_10empty_typeENS0_5tupleIJPlSF_EEENSH_IJSI_SG_EEENS0_18inequality_wrapperIN6hipcub16HIPCUB_304000_NS8EqualityEEESI_JSF_EEE10hipError_tPvRmT3_T4_T5_T6_T7_T9_mT8_P12ihipStream_tbDpT10_ENKUlT_T0_E_clISt17integral_constantIbLb0EES19_EEDaS14_S15_EUlS14_E_NS1_11comp_targetILNS1_3genE2ELNS1_11target_archE906ELNS1_3gpuE6ELNS1_3repE0EEENS1_30default_config_static_selectorELNS0_4arch9wavefront6targetE0EEEvT1_
	.p2align	8
	.type	_ZN7rocprim17ROCPRIM_400000_NS6detail17trampoline_kernelINS0_14default_configENS1_25partition_config_selectorILNS1_17partition_subalgoE9EllbEEZZNS1_14partition_implILS5_9ELb0ES3_jPKlN6thrust23THRUST_200600_302600_NS17counting_iteratorIlNSB_11use_defaultESD_SD_EEPNS0_10empty_typeENS0_5tupleIJPlSF_EEENSH_IJSI_SG_EEENS0_18inequality_wrapperIN6hipcub16HIPCUB_304000_NS8EqualityEEESI_JSF_EEE10hipError_tPvRmT3_T4_T5_T6_T7_T9_mT8_P12ihipStream_tbDpT10_ENKUlT_T0_E_clISt17integral_constantIbLb0EES19_EEDaS14_S15_EUlS14_E_NS1_11comp_targetILNS1_3genE2ELNS1_11target_archE906ELNS1_3gpuE6ELNS1_3repE0EEENS1_30default_config_static_selectorELNS0_4arch9wavefront6targetE0EEEvT1_,@function
_ZN7rocprim17ROCPRIM_400000_NS6detail17trampoline_kernelINS0_14default_configENS1_25partition_config_selectorILNS1_17partition_subalgoE9EllbEEZZNS1_14partition_implILS5_9ELb0ES3_jPKlN6thrust23THRUST_200600_302600_NS17counting_iteratorIlNSB_11use_defaultESD_SD_EEPNS0_10empty_typeENS0_5tupleIJPlSF_EEENSH_IJSI_SG_EEENS0_18inequality_wrapperIN6hipcub16HIPCUB_304000_NS8EqualityEEESI_JSF_EEE10hipError_tPvRmT3_T4_T5_T6_T7_T9_mT8_P12ihipStream_tbDpT10_ENKUlT_T0_E_clISt17integral_constantIbLb0EES19_EEDaS14_S15_EUlS14_E_NS1_11comp_targetILNS1_3genE2ELNS1_11target_archE906ELNS1_3gpuE6ELNS1_3repE0EEENS1_30default_config_static_selectorELNS0_4arch9wavefront6targetE0EEEvT1_: ; @_ZN7rocprim17ROCPRIM_400000_NS6detail17trampoline_kernelINS0_14default_configENS1_25partition_config_selectorILNS1_17partition_subalgoE9EllbEEZZNS1_14partition_implILS5_9ELb0ES3_jPKlN6thrust23THRUST_200600_302600_NS17counting_iteratorIlNSB_11use_defaultESD_SD_EEPNS0_10empty_typeENS0_5tupleIJPlSF_EEENSH_IJSI_SG_EEENS0_18inequality_wrapperIN6hipcub16HIPCUB_304000_NS8EqualityEEESI_JSF_EEE10hipError_tPvRmT3_T4_T5_T6_T7_T9_mT8_P12ihipStream_tbDpT10_ENKUlT_T0_E_clISt17integral_constantIbLb0EES19_EEDaS14_S15_EUlS14_E_NS1_11comp_targetILNS1_3genE2ELNS1_11target_archE906ELNS1_3gpuE6ELNS1_3repE0EEENS1_30default_config_static_selectorELNS0_4arch9wavefront6targetE0EEEvT1_
; %bb.0:
	.section	.rodata,"a",@progbits
	.p2align	6, 0x0
	.amdhsa_kernel _ZN7rocprim17ROCPRIM_400000_NS6detail17trampoline_kernelINS0_14default_configENS1_25partition_config_selectorILNS1_17partition_subalgoE9EllbEEZZNS1_14partition_implILS5_9ELb0ES3_jPKlN6thrust23THRUST_200600_302600_NS17counting_iteratorIlNSB_11use_defaultESD_SD_EEPNS0_10empty_typeENS0_5tupleIJPlSF_EEENSH_IJSI_SG_EEENS0_18inequality_wrapperIN6hipcub16HIPCUB_304000_NS8EqualityEEESI_JSF_EEE10hipError_tPvRmT3_T4_T5_T6_T7_T9_mT8_P12ihipStream_tbDpT10_ENKUlT_T0_E_clISt17integral_constantIbLb0EES19_EEDaS14_S15_EUlS14_E_NS1_11comp_targetILNS1_3genE2ELNS1_11target_archE906ELNS1_3gpuE6ELNS1_3repE0EEENS1_30default_config_static_selectorELNS0_4arch9wavefront6targetE0EEEvT1_
		.amdhsa_group_segment_fixed_size 0
		.amdhsa_private_segment_fixed_size 0
		.amdhsa_kernarg_size 112
		.amdhsa_user_sgpr_count 2
		.amdhsa_user_sgpr_dispatch_ptr 0
		.amdhsa_user_sgpr_queue_ptr 0
		.amdhsa_user_sgpr_kernarg_segment_ptr 1
		.amdhsa_user_sgpr_dispatch_id 0
		.amdhsa_user_sgpr_private_segment_size 0
		.amdhsa_wavefront_size32 1
		.amdhsa_uses_dynamic_stack 0
		.amdhsa_enable_private_segment 0
		.amdhsa_system_sgpr_workgroup_id_x 1
		.amdhsa_system_sgpr_workgroup_id_y 0
		.amdhsa_system_sgpr_workgroup_id_z 0
		.amdhsa_system_sgpr_workgroup_info 0
		.amdhsa_system_vgpr_workitem_id 0
		.amdhsa_next_free_vgpr 1
		.amdhsa_next_free_sgpr 1
		.amdhsa_reserve_vcc 0
		.amdhsa_float_round_mode_32 0
		.amdhsa_float_round_mode_16_64 0
		.amdhsa_float_denorm_mode_32 3
		.amdhsa_float_denorm_mode_16_64 3
		.amdhsa_fp16_overflow 0
		.amdhsa_workgroup_processor_mode 1
		.amdhsa_memory_ordered 1
		.amdhsa_forward_progress 1
		.amdhsa_inst_pref_size 0
		.amdhsa_round_robin_scheduling 0
		.amdhsa_exception_fp_ieee_invalid_op 0
		.amdhsa_exception_fp_denorm_src 0
		.amdhsa_exception_fp_ieee_div_zero 0
		.amdhsa_exception_fp_ieee_overflow 0
		.amdhsa_exception_fp_ieee_underflow 0
		.amdhsa_exception_fp_ieee_inexact 0
		.amdhsa_exception_int_div_zero 0
	.end_amdhsa_kernel
	.section	.text._ZN7rocprim17ROCPRIM_400000_NS6detail17trampoline_kernelINS0_14default_configENS1_25partition_config_selectorILNS1_17partition_subalgoE9EllbEEZZNS1_14partition_implILS5_9ELb0ES3_jPKlN6thrust23THRUST_200600_302600_NS17counting_iteratorIlNSB_11use_defaultESD_SD_EEPNS0_10empty_typeENS0_5tupleIJPlSF_EEENSH_IJSI_SG_EEENS0_18inequality_wrapperIN6hipcub16HIPCUB_304000_NS8EqualityEEESI_JSF_EEE10hipError_tPvRmT3_T4_T5_T6_T7_T9_mT8_P12ihipStream_tbDpT10_ENKUlT_T0_E_clISt17integral_constantIbLb0EES19_EEDaS14_S15_EUlS14_E_NS1_11comp_targetILNS1_3genE2ELNS1_11target_archE906ELNS1_3gpuE6ELNS1_3repE0EEENS1_30default_config_static_selectorELNS0_4arch9wavefront6targetE0EEEvT1_,"axG",@progbits,_ZN7rocprim17ROCPRIM_400000_NS6detail17trampoline_kernelINS0_14default_configENS1_25partition_config_selectorILNS1_17partition_subalgoE9EllbEEZZNS1_14partition_implILS5_9ELb0ES3_jPKlN6thrust23THRUST_200600_302600_NS17counting_iteratorIlNSB_11use_defaultESD_SD_EEPNS0_10empty_typeENS0_5tupleIJPlSF_EEENSH_IJSI_SG_EEENS0_18inequality_wrapperIN6hipcub16HIPCUB_304000_NS8EqualityEEESI_JSF_EEE10hipError_tPvRmT3_T4_T5_T6_T7_T9_mT8_P12ihipStream_tbDpT10_ENKUlT_T0_E_clISt17integral_constantIbLb0EES19_EEDaS14_S15_EUlS14_E_NS1_11comp_targetILNS1_3genE2ELNS1_11target_archE906ELNS1_3gpuE6ELNS1_3repE0EEENS1_30default_config_static_selectorELNS0_4arch9wavefront6targetE0EEEvT1_,comdat
.Lfunc_end48:
	.size	_ZN7rocprim17ROCPRIM_400000_NS6detail17trampoline_kernelINS0_14default_configENS1_25partition_config_selectorILNS1_17partition_subalgoE9EllbEEZZNS1_14partition_implILS5_9ELb0ES3_jPKlN6thrust23THRUST_200600_302600_NS17counting_iteratorIlNSB_11use_defaultESD_SD_EEPNS0_10empty_typeENS0_5tupleIJPlSF_EEENSH_IJSI_SG_EEENS0_18inequality_wrapperIN6hipcub16HIPCUB_304000_NS8EqualityEEESI_JSF_EEE10hipError_tPvRmT3_T4_T5_T6_T7_T9_mT8_P12ihipStream_tbDpT10_ENKUlT_T0_E_clISt17integral_constantIbLb0EES19_EEDaS14_S15_EUlS14_E_NS1_11comp_targetILNS1_3genE2ELNS1_11target_archE906ELNS1_3gpuE6ELNS1_3repE0EEENS1_30default_config_static_selectorELNS0_4arch9wavefront6targetE0EEEvT1_, .Lfunc_end48-_ZN7rocprim17ROCPRIM_400000_NS6detail17trampoline_kernelINS0_14default_configENS1_25partition_config_selectorILNS1_17partition_subalgoE9EllbEEZZNS1_14partition_implILS5_9ELb0ES3_jPKlN6thrust23THRUST_200600_302600_NS17counting_iteratorIlNSB_11use_defaultESD_SD_EEPNS0_10empty_typeENS0_5tupleIJPlSF_EEENSH_IJSI_SG_EEENS0_18inequality_wrapperIN6hipcub16HIPCUB_304000_NS8EqualityEEESI_JSF_EEE10hipError_tPvRmT3_T4_T5_T6_T7_T9_mT8_P12ihipStream_tbDpT10_ENKUlT_T0_E_clISt17integral_constantIbLb0EES19_EEDaS14_S15_EUlS14_E_NS1_11comp_targetILNS1_3genE2ELNS1_11target_archE906ELNS1_3gpuE6ELNS1_3repE0EEENS1_30default_config_static_selectorELNS0_4arch9wavefront6targetE0EEEvT1_
                                        ; -- End function
	.set _ZN7rocprim17ROCPRIM_400000_NS6detail17trampoline_kernelINS0_14default_configENS1_25partition_config_selectorILNS1_17partition_subalgoE9EllbEEZZNS1_14partition_implILS5_9ELb0ES3_jPKlN6thrust23THRUST_200600_302600_NS17counting_iteratorIlNSB_11use_defaultESD_SD_EEPNS0_10empty_typeENS0_5tupleIJPlSF_EEENSH_IJSI_SG_EEENS0_18inequality_wrapperIN6hipcub16HIPCUB_304000_NS8EqualityEEESI_JSF_EEE10hipError_tPvRmT3_T4_T5_T6_T7_T9_mT8_P12ihipStream_tbDpT10_ENKUlT_T0_E_clISt17integral_constantIbLb0EES19_EEDaS14_S15_EUlS14_E_NS1_11comp_targetILNS1_3genE2ELNS1_11target_archE906ELNS1_3gpuE6ELNS1_3repE0EEENS1_30default_config_static_selectorELNS0_4arch9wavefront6targetE0EEEvT1_.num_vgpr, 0
	.set _ZN7rocprim17ROCPRIM_400000_NS6detail17trampoline_kernelINS0_14default_configENS1_25partition_config_selectorILNS1_17partition_subalgoE9EllbEEZZNS1_14partition_implILS5_9ELb0ES3_jPKlN6thrust23THRUST_200600_302600_NS17counting_iteratorIlNSB_11use_defaultESD_SD_EEPNS0_10empty_typeENS0_5tupleIJPlSF_EEENSH_IJSI_SG_EEENS0_18inequality_wrapperIN6hipcub16HIPCUB_304000_NS8EqualityEEESI_JSF_EEE10hipError_tPvRmT3_T4_T5_T6_T7_T9_mT8_P12ihipStream_tbDpT10_ENKUlT_T0_E_clISt17integral_constantIbLb0EES19_EEDaS14_S15_EUlS14_E_NS1_11comp_targetILNS1_3genE2ELNS1_11target_archE906ELNS1_3gpuE6ELNS1_3repE0EEENS1_30default_config_static_selectorELNS0_4arch9wavefront6targetE0EEEvT1_.num_agpr, 0
	.set _ZN7rocprim17ROCPRIM_400000_NS6detail17trampoline_kernelINS0_14default_configENS1_25partition_config_selectorILNS1_17partition_subalgoE9EllbEEZZNS1_14partition_implILS5_9ELb0ES3_jPKlN6thrust23THRUST_200600_302600_NS17counting_iteratorIlNSB_11use_defaultESD_SD_EEPNS0_10empty_typeENS0_5tupleIJPlSF_EEENSH_IJSI_SG_EEENS0_18inequality_wrapperIN6hipcub16HIPCUB_304000_NS8EqualityEEESI_JSF_EEE10hipError_tPvRmT3_T4_T5_T6_T7_T9_mT8_P12ihipStream_tbDpT10_ENKUlT_T0_E_clISt17integral_constantIbLb0EES19_EEDaS14_S15_EUlS14_E_NS1_11comp_targetILNS1_3genE2ELNS1_11target_archE906ELNS1_3gpuE6ELNS1_3repE0EEENS1_30default_config_static_selectorELNS0_4arch9wavefront6targetE0EEEvT1_.numbered_sgpr, 0
	.set _ZN7rocprim17ROCPRIM_400000_NS6detail17trampoline_kernelINS0_14default_configENS1_25partition_config_selectorILNS1_17partition_subalgoE9EllbEEZZNS1_14partition_implILS5_9ELb0ES3_jPKlN6thrust23THRUST_200600_302600_NS17counting_iteratorIlNSB_11use_defaultESD_SD_EEPNS0_10empty_typeENS0_5tupleIJPlSF_EEENSH_IJSI_SG_EEENS0_18inequality_wrapperIN6hipcub16HIPCUB_304000_NS8EqualityEEESI_JSF_EEE10hipError_tPvRmT3_T4_T5_T6_T7_T9_mT8_P12ihipStream_tbDpT10_ENKUlT_T0_E_clISt17integral_constantIbLb0EES19_EEDaS14_S15_EUlS14_E_NS1_11comp_targetILNS1_3genE2ELNS1_11target_archE906ELNS1_3gpuE6ELNS1_3repE0EEENS1_30default_config_static_selectorELNS0_4arch9wavefront6targetE0EEEvT1_.num_named_barrier, 0
	.set _ZN7rocprim17ROCPRIM_400000_NS6detail17trampoline_kernelINS0_14default_configENS1_25partition_config_selectorILNS1_17partition_subalgoE9EllbEEZZNS1_14partition_implILS5_9ELb0ES3_jPKlN6thrust23THRUST_200600_302600_NS17counting_iteratorIlNSB_11use_defaultESD_SD_EEPNS0_10empty_typeENS0_5tupleIJPlSF_EEENSH_IJSI_SG_EEENS0_18inequality_wrapperIN6hipcub16HIPCUB_304000_NS8EqualityEEESI_JSF_EEE10hipError_tPvRmT3_T4_T5_T6_T7_T9_mT8_P12ihipStream_tbDpT10_ENKUlT_T0_E_clISt17integral_constantIbLb0EES19_EEDaS14_S15_EUlS14_E_NS1_11comp_targetILNS1_3genE2ELNS1_11target_archE906ELNS1_3gpuE6ELNS1_3repE0EEENS1_30default_config_static_selectorELNS0_4arch9wavefront6targetE0EEEvT1_.private_seg_size, 0
	.set _ZN7rocprim17ROCPRIM_400000_NS6detail17trampoline_kernelINS0_14default_configENS1_25partition_config_selectorILNS1_17partition_subalgoE9EllbEEZZNS1_14partition_implILS5_9ELb0ES3_jPKlN6thrust23THRUST_200600_302600_NS17counting_iteratorIlNSB_11use_defaultESD_SD_EEPNS0_10empty_typeENS0_5tupleIJPlSF_EEENSH_IJSI_SG_EEENS0_18inequality_wrapperIN6hipcub16HIPCUB_304000_NS8EqualityEEESI_JSF_EEE10hipError_tPvRmT3_T4_T5_T6_T7_T9_mT8_P12ihipStream_tbDpT10_ENKUlT_T0_E_clISt17integral_constantIbLb0EES19_EEDaS14_S15_EUlS14_E_NS1_11comp_targetILNS1_3genE2ELNS1_11target_archE906ELNS1_3gpuE6ELNS1_3repE0EEENS1_30default_config_static_selectorELNS0_4arch9wavefront6targetE0EEEvT1_.uses_vcc, 0
	.set _ZN7rocprim17ROCPRIM_400000_NS6detail17trampoline_kernelINS0_14default_configENS1_25partition_config_selectorILNS1_17partition_subalgoE9EllbEEZZNS1_14partition_implILS5_9ELb0ES3_jPKlN6thrust23THRUST_200600_302600_NS17counting_iteratorIlNSB_11use_defaultESD_SD_EEPNS0_10empty_typeENS0_5tupleIJPlSF_EEENSH_IJSI_SG_EEENS0_18inequality_wrapperIN6hipcub16HIPCUB_304000_NS8EqualityEEESI_JSF_EEE10hipError_tPvRmT3_T4_T5_T6_T7_T9_mT8_P12ihipStream_tbDpT10_ENKUlT_T0_E_clISt17integral_constantIbLb0EES19_EEDaS14_S15_EUlS14_E_NS1_11comp_targetILNS1_3genE2ELNS1_11target_archE906ELNS1_3gpuE6ELNS1_3repE0EEENS1_30default_config_static_selectorELNS0_4arch9wavefront6targetE0EEEvT1_.uses_flat_scratch, 0
	.set _ZN7rocprim17ROCPRIM_400000_NS6detail17trampoline_kernelINS0_14default_configENS1_25partition_config_selectorILNS1_17partition_subalgoE9EllbEEZZNS1_14partition_implILS5_9ELb0ES3_jPKlN6thrust23THRUST_200600_302600_NS17counting_iteratorIlNSB_11use_defaultESD_SD_EEPNS0_10empty_typeENS0_5tupleIJPlSF_EEENSH_IJSI_SG_EEENS0_18inequality_wrapperIN6hipcub16HIPCUB_304000_NS8EqualityEEESI_JSF_EEE10hipError_tPvRmT3_T4_T5_T6_T7_T9_mT8_P12ihipStream_tbDpT10_ENKUlT_T0_E_clISt17integral_constantIbLb0EES19_EEDaS14_S15_EUlS14_E_NS1_11comp_targetILNS1_3genE2ELNS1_11target_archE906ELNS1_3gpuE6ELNS1_3repE0EEENS1_30default_config_static_selectorELNS0_4arch9wavefront6targetE0EEEvT1_.has_dyn_sized_stack, 0
	.set _ZN7rocprim17ROCPRIM_400000_NS6detail17trampoline_kernelINS0_14default_configENS1_25partition_config_selectorILNS1_17partition_subalgoE9EllbEEZZNS1_14partition_implILS5_9ELb0ES3_jPKlN6thrust23THRUST_200600_302600_NS17counting_iteratorIlNSB_11use_defaultESD_SD_EEPNS0_10empty_typeENS0_5tupleIJPlSF_EEENSH_IJSI_SG_EEENS0_18inequality_wrapperIN6hipcub16HIPCUB_304000_NS8EqualityEEESI_JSF_EEE10hipError_tPvRmT3_T4_T5_T6_T7_T9_mT8_P12ihipStream_tbDpT10_ENKUlT_T0_E_clISt17integral_constantIbLb0EES19_EEDaS14_S15_EUlS14_E_NS1_11comp_targetILNS1_3genE2ELNS1_11target_archE906ELNS1_3gpuE6ELNS1_3repE0EEENS1_30default_config_static_selectorELNS0_4arch9wavefront6targetE0EEEvT1_.has_recursion, 0
	.set _ZN7rocprim17ROCPRIM_400000_NS6detail17trampoline_kernelINS0_14default_configENS1_25partition_config_selectorILNS1_17partition_subalgoE9EllbEEZZNS1_14partition_implILS5_9ELb0ES3_jPKlN6thrust23THRUST_200600_302600_NS17counting_iteratorIlNSB_11use_defaultESD_SD_EEPNS0_10empty_typeENS0_5tupleIJPlSF_EEENSH_IJSI_SG_EEENS0_18inequality_wrapperIN6hipcub16HIPCUB_304000_NS8EqualityEEESI_JSF_EEE10hipError_tPvRmT3_T4_T5_T6_T7_T9_mT8_P12ihipStream_tbDpT10_ENKUlT_T0_E_clISt17integral_constantIbLb0EES19_EEDaS14_S15_EUlS14_E_NS1_11comp_targetILNS1_3genE2ELNS1_11target_archE906ELNS1_3gpuE6ELNS1_3repE0EEENS1_30default_config_static_selectorELNS0_4arch9wavefront6targetE0EEEvT1_.has_indirect_call, 0
	.section	.AMDGPU.csdata,"",@progbits
; Kernel info:
; codeLenInByte = 0
; TotalNumSgprs: 0
; NumVgprs: 0
; ScratchSize: 0
; MemoryBound: 0
; FloatMode: 240
; IeeeMode: 1
; LDSByteSize: 0 bytes/workgroup (compile time only)
; SGPRBlocks: 0
; VGPRBlocks: 0
; NumSGPRsForWavesPerEU: 1
; NumVGPRsForWavesPerEU: 1
; Occupancy: 16
; WaveLimiterHint : 0
; COMPUTE_PGM_RSRC2:SCRATCH_EN: 0
; COMPUTE_PGM_RSRC2:USER_SGPR: 2
; COMPUTE_PGM_RSRC2:TRAP_HANDLER: 0
; COMPUTE_PGM_RSRC2:TGID_X_EN: 1
; COMPUTE_PGM_RSRC2:TGID_Y_EN: 0
; COMPUTE_PGM_RSRC2:TGID_Z_EN: 0
; COMPUTE_PGM_RSRC2:TIDIG_COMP_CNT: 0
	.section	.text._ZN7rocprim17ROCPRIM_400000_NS6detail17trampoline_kernelINS0_14default_configENS1_25partition_config_selectorILNS1_17partition_subalgoE9EllbEEZZNS1_14partition_implILS5_9ELb0ES3_jPKlN6thrust23THRUST_200600_302600_NS17counting_iteratorIlNSB_11use_defaultESD_SD_EEPNS0_10empty_typeENS0_5tupleIJPlSF_EEENSH_IJSI_SG_EEENS0_18inequality_wrapperIN6hipcub16HIPCUB_304000_NS8EqualityEEESI_JSF_EEE10hipError_tPvRmT3_T4_T5_T6_T7_T9_mT8_P12ihipStream_tbDpT10_ENKUlT_T0_E_clISt17integral_constantIbLb0EES19_EEDaS14_S15_EUlS14_E_NS1_11comp_targetILNS1_3genE10ELNS1_11target_archE1200ELNS1_3gpuE4ELNS1_3repE0EEENS1_30default_config_static_selectorELNS0_4arch9wavefront6targetE0EEEvT1_,"axG",@progbits,_ZN7rocprim17ROCPRIM_400000_NS6detail17trampoline_kernelINS0_14default_configENS1_25partition_config_selectorILNS1_17partition_subalgoE9EllbEEZZNS1_14partition_implILS5_9ELb0ES3_jPKlN6thrust23THRUST_200600_302600_NS17counting_iteratorIlNSB_11use_defaultESD_SD_EEPNS0_10empty_typeENS0_5tupleIJPlSF_EEENSH_IJSI_SG_EEENS0_18inequality_wrapperIN6hipcub16HIPCUB_304000_NS8EqualityEEESI_JSF_EEE10hipError_tPvRmT3_T4_T5_T6_T7_T9_mT8_P12ihipStream_tbDpT10_ENKUlT_T0_E_clISt17integral_constantIbLb0EES19_EEDaS14_S15_EUlS14_E_NS1_11comp_targetILNS1_3genE10ELNS1_11target_archE1200ELNS1_3gpuE4ELNS1_3repE0EEENS1_30default_config_static_selectorELNS0_4arch9wavefront6targetE0EEEvT1_,comdat
	.protected	_ZN7rocprim17ROCPRIM_400000_NS6detail17trampoline_kernelINS0_14default_configENS1_25partition_config_selectorILNS1_17partition_subalgoE9EllbEEZZNS1_14partition_implILS5_9ELb0ES3_jPKlN6thrust23THRUST_200600_302600_NS17counting_iteratorIlNSB_11use_defaultESD_SD_EEPNS0_10empty_typeENS0_5tupleIJPlSF_EEENSH_IJSI_SG_EEENS0_18inequality_wrapperIN6hipcub16HIPCUB_304000_NS8EqualityEEESI_JSF_EEE10hipError_tPvRmT3_T4_T5_T6_T7_T9_mT8_P12ihipStream_tbDpT10_ENKUlT_T0_E_clISt17integral_constantIbLb0EES19_EEDaS14_S15_EUlS14_E_NS1_11comp_targetILNS1_3genE10ELNS1_11target_archE1200ELNS1_3gpuE4ELNS1_3repE0EEENS1_30default_config_static_selectorELNS0_4arch9wavefront6targetE0EEEvT1_ ; -- Begin function _ZN7rocprim17ROCPRIM_400000_NS6detail17trampoline_kernelINS0_14default_configENS1_25partition_config_selectorILNS1_17partition_subalgoE9EllbEEZZNS1_14partition_implILS5_9ELb0ES3_jPKlN6thrust23THRUST_200600_302600_NS17counting_iteratorIlNSB_11use_defaultESD_SD_EEPNS0_10empty_typeENS0_5tupleIJPlSF_EEENSH_IJSI_SG_EEENS0_18inequality_wrapperIN6hipcub16HIPCUB_304000_NS8EqualityEEESI_JSF_EEE10hipError_tPvRmT3_T4_T5_T6_T7_T9_mT8_P12ihipStream_tbDpT10_ENKUlT_T0_E_clISt17integral_constantIbLb0EES19_EEDaS14_S15_EUlS14_E_NS1_11comp_targetILNS1_3genE10ELNS1_11target_archE1200ELNS1_3gpuE4ELNS1_3repE0EEENS1_30default_config_static_selectorELNS0_4arch9wavefront6targetE0EEEvT1_
	.globl	_ZN7rocprim17ROCPRIM_400000_NS6detail17trampoline_kernelINS0_14default_configENS1_25partition_config_selectorILNS1_17partition_subalgoE9EllbEEZZNS1_14partition_implILS5_9ELb0ES3_jPKlN6thrust23THRUST_200600_302600_NS17counting_iteratorIlNSB_11use_defaultESD_SD_EEPNS0_10empty_typeENS0_5tupleIJPlSF_EEENSH_IJSI_SG_EEENS0_18inequality_wrapperIN6hipcub16HIPCUB_304000_NS8EqualityEEESI_JSF_EEE10hipError_tPvRmT3_T4_T5_T6_T7_T9_mT8_P12ihipStream_tbDpT10_ENKUlT_T0_E_clISt17integral_constantIbLb0EES19_EEDaS14_S15_EUlS14_E_NS1_11comp_targetILNS1_3genE10ELNS1_11target_archE1200ELNS1_3gpuE4ELNS1_3repE0EEENS1_30default_config_static_selectorELNS0_4arch9wavefront6targetE0EEEvT1_
	.p2align	8
	.type	_ZN7rocprim17ROCPRIM_400000_NS6detail17trampoline_kernelINS0_14default_configENS1_25partition_config_selectorILNS1_17partition_subalgoE9EllbEEZZNS1_14partition_implILS5_9ELb0ES3_jPKlN6thrust23THRUST_200600_302600_NS17counting_iteratorIlNSB_11use_defaultESD_SD_EEPNS0_10empty_typeENS0_5tupleIJPlSF_EEENSH_IJSI_SG_EEENS0_18inequality_wrapperIN6hipcub16HIPCUB_304000_NS8EqualityEEESI_JSF_EEE10hipError_tPvRmT3_T4_T5_T6_T7_T9_mT8_P12ihipStream_tbDpT10_ENKUlT_T0_E_clISt17integral_constantIbLb0EES19_EEDaS14_S15_EUlS14_E_NS1_11comp_targetILNS1_3genE10ELNS1_11target_archE1200ELNS1_3gpuE4ELNS1_3repE0EEENS1_30default_config_static_selectorELNS0_4arch9wavefront6targetE0EEEvT1_,@function
_ZN7rocprim17ROCPRIM_400000_NS6detail17trampoline_kernelINS0_14default_configENS1_25partition_config_selectorILNS1_17partition_subalgoE9EllbEEZZNS1_14partition_implILS5_9ELb0ES3_jPKlN6thrust23THRUST_200600_302600_NS17counting_iteratorIlNSB_11use_defaultESD_SD_EEPNS0_10empty_typeENS0_5tupleIJPlSF_EEENSH_IJSI_SG_EEENS0_18inequality_wrapperIN6hipcub16HIPCUB_304000_NS8EqualityEEESI_JSF_EEE10hipError_tPvRmT3_T4_T5_T6_T7_T9_mT8_P12ihipStream_tbDpT10_ENKUlT_T0_E_clISt17integral_constantIbLb0EES19_EEDaS14_S15_EUlS14_E_NS1_11comp_targetILNS1_3genE10ELNS1_11target_archE1200ELNS1_3gpuE4ELNS1_3repE0EEENS1_30default_config_static_selectorELNS0_4arch9wavefront6targetE0EEEvT1_: ; @_ZN7rocprim17ROCPRIM_400000_NS6detail17trampoline_kernelINS0_14default_configENS1_25partition_config_selectorILNS1_17partition_subalgoE9EllbEEZZNS1_14partition_implILS5_9ELb0ES3_jPKlN6thrust23THRUST_200600_302600_NS17counting_iteratorIlNSB_11use_defaultESD_SD_EEPNS0_10empty_typeENS0_5tupleIJPlSF_EEENSH_IJSI_SG_EEENS0_18inequality_wrapperIN6hipcub16HIPCUB_304000_NS8EqualityEEESI_JSF_EEE10hipError_tPvRmT3_T4_T5_T6_T7_T9_mT8_P12ihipStream_tbDpT10_ENKUlT_T0_E_clISt17integral_constantIbLb0EES19_EEDaS14_S15_EUlS14_E_NS1_11comp_targetILNS1_3genE10ELNS1_11target_archE1200ELNS1_3gpuE4ELNS1_3repE0EEENS1_30default_config_static_selectorELNS0_4arch9wavefront6targetE0EEEvT1_
; %bb.0:
	s_clause 0x4
	s_load_b128 s[4:7], s[0:1], 0x8
	s_load_b128 s[12:15], s[0:1], 0x40
	s_load_b32 s18, s[0:1], 0x68
	s_load_b64 s[2:3], s[0:1], 0x50
	s_load_b64 s[8:9], s[0:1], 0x18
	s_mov_b32 s17, 0
	s_mul_i32 s19, ttmp9, 0xc00
	v_lshlrev_b32_e32 v54, 3, v0
	v_lshrrev_b32_e32 v43, 2, v0
	v_add_nc_u32_e32 v46, 0x180, v0
	v_add_nc_u32_e32 v45, 0x300, v0
	;; [unrolled: 1-line block ×3, first 2 shown]
	v_or_b32_e32 v39, 0x600, v0
	v_add_nc_u32_e32 v41, 0x780, v0
	v_add_nc_u32_e32 v44, 0x900, v0
	;; [unrolled: 1-line block ×3, first 2 shown]
	s_mov_b32 s22, -1
	s_wait_kmcnt 0x0
	s_lshl_b64 s[24:25], s[6:7], 3
	s_load_b64 s[10:11], s[14:15], 0x0
	s_mul_i32 s16, s18, 0xc00
	s_add_co_i32 s18, s18, -1
	s_add_nc_u64 s[14:15], s[6:7], s[16:17]
	s_add_co_i32 s16, s16, s6
	v_cmp_le_u64_e64 s14, s[2:3], s[14:15]
	s_sub_co_i32 s21, s2, s16
	s_cmp_eq_u32 ttmp9, s18
	s_mov_b32 s16, s19
	s_cselect_b32 s18, -1, 0
	s_add_nc_u64 s[2:3], s[4:5], s[24:25]
	s_and_b32 s20, s18, s14
	s_lshl_b64 s[4:5], s[16:17], 3
	s_xor_b32 s19, s20, -1
	s_wait_alu 0xfffe
	s_add_nc_u64 s[2:3], s[2:3], s[4:5]
	s_and_b32 vcc_lo, exec_lo, s19
	s_cbranch_vccz .LBB49_2
; %bb.1:
	s_clause 0x7
	global_load_b64 v[1:2], v54, s[2:3]
	global_load_b64 v[3:4], v54, s[2:3] offset:3072
	global_load_b64 v[5:6], v54, s[2:3] offset:6144
	;; [unrolled: 1-line block ×7, first 2 shown]
	v_lshrrev_b32_e32 v18, 2, v46
	v_lshrrev_b32_e32 v19, 2, v45
	;; [unrolled: 1-line block ×4, first 2 shown]
	v_and_b32_e32 v17, 0x78, v43
	v_lshrrev_b32_e32 v22, 2, v41
	v_lshrrev_b32_e32 v23, 2, v44
	;; [unrolled: 1-line block ×3, first 2 shown]
	v_and_b32_e32 v18, 0xf8, v18
	v_and_b32_e32 v19, 0x1f8, v19
	;; [unrolled: 1-line block ×4, first 2 shown]
	v_add_nc_u32_e32 v17, v17, v54
	v_and_b32_e32 v22, 0x3f8, v22
	v_and_b32_e32 v23, 0x2f8, v23
	;; [unrolled: 1-line block ×3, first 2 shown]
	v_add_nc_u32_e32 v18, v18, v54
	v_add_nc_u32_e32 v19, v19, v54
	;; [unrolled: 1-line block ×4, first 2 shown]
	s_mov_b32 s22, s17
	v_add_nc_u32_e32 v22, v22, v54
	v_add_nc_u32_e32 v23, v23, v54
	;; [unrolled: 1-line block ×3, first 2 shown]
	s_wait_loadcnt 0x7
	ds_store_b64 v17, v[1:2]
	s_wait_loadcnt 0x6
	ds_store_b64 v18, v[3:4] offset:3072
	s_wait_loadcnt 0x5
	ds_store_b64 v19, v[5:6] offset:6144
	s_wait_loadcnt 0x4
	ds_store_b64 v20, v[7:8] offset:9216
	s_wait_loadcnt 0x3
	ds_store_b64 v21, v[9:10] offset:12288
	s_wait_loadcnt 0x2
	ds_store_b64 v22, v[11:12] offset:15360
	s_wait_loadcnt 0x1
	ds_store_b64 v23, v[13:14] offset:18432
	s_wait_loadcnt 0x0
	ds_store_b64 v24, v[15:16] offset:21504
	s_wait_dscnt 0x0
	s_barrier_signal -1
	s_barrier_wait -1
.LBB49_2:
	s_and_not1_b32 vcc_lo, exec_lo, s22
	s_addk_co_i32 s21, 0xc00
	s_cbranch_vccnz .LBB49_13
; %bb.3:
	v_mov_b32_e32 v1, 0
	s_mov_b32 s4, exec_lo
	s_delay_alu instid0(VALU_DEP_1)
	v_dual_mov_b32 v2, v1 :: v_dual_mov_b32 v3, v1
	v_dual_mov_b32 v4, v1 :: v_dual_mov_b32 v5, v1
	;; [unrolled: 1-line block ×7, first 2 shown]
	v_mov_b32_e32 v16, v1
	v_cmpx_gt_u32_e64 s21, v0
	s_cbranch_execnz .LBB49_24
; %bb.4:
	s_or_b32 exec_lo, exec_lo, s4
	s_delay_alu instid0(SALU_CYCLE_1)
	s_mov_b32 s4, exec_lo
	v_cmpx_gt_u32_e64 s21, v46
	s_cbranch_execnz .LBB49_25
.LBB49_5:
	s_or_b32 exec_lo, exec_lo, s4
	s_delay_alu instid0(SALU_CYCLE_1)
	s_mov_b32 s4, exec_lo
	v_cmpx_gt_u32_e64 s21, v45
	s_cbranch_execnz .LBB49_26
.LBB49_6:
	s_or_b32 exec_lo, exec_lo, s4
	s_delay_alu instid0(SALU_CYCLE_1)
	s_mov_b32 s4, exec_lo
	v_cmpx_gt_u32_e64 s21, v40
	s_cbranch_execnz .LBB49_27
.LBB49_7:
	s_or_b32 exec_lo, exec_lo, s4
	s_delay_alu instid0(SALU_CYCLE_1)
	s_mov_b32 s4, exec_lo
	v_cmpx_gt_u32_e64 s21, v39
	s_cbranch_execnz .LBB49_28
.LBB49_8:
	s_or_b32 exec_lo, exec_lo, s4
	s_delay_alu instid0(SALU_CYCLE_1)
	s_mov_b32 s4, exec_lo
	v_cmpx_gt_u32_e64 s21, v41
	s_cbranch_execnz .LBB49_29
.LBB49_9:
	s_or_b32 exec_lo, exec_lo, s4
	s_delay_alu instid0(SALU_CYCLE_1)
	s_mov_b32 s4, exec_lo
	v_cmpx_gt_u32_e64 s21, v44
	s_cbranch_execnz .LBB49_30
.LBB49_10:
	s_or_b32 exec_lo, exec_lo, s4
	s_delay_alu instid0(SALU_CYCLE_1)
	s_mov_b32 s4, exec_lo
	v_cmpx_gt_u32_e64 s21, v42
	s_cbranch_execz .LBB49_12
.LBB49_11:
	global_load_b64 v[15:16], v54, s[2:3] offset:21504
.LBB49_12:
	s_or_b32 exec_lo, exec_lo, s4
	v_lshrrev_b32_e32 v17, 2, v46
	v_lshrrev_b32_e32 v18, 2, v45
	;; [unrolled: 1-line block ×4, first 2 shown]
	v_and_b32_e32 v19, 0x78, v43
	v_lshrrev_b32_e32 v22, 2, v41
	v_lshrrev_b32_e32 v23, 2, v44
	;; [unrolled: 1-line block ×3, first 2 shown]
	v_and_b32_e32 v17, 0xf8, v17
	v_and_b32_e32 v18, 0x1f8, v18
	;; [unrolled: 1-line block ×4, first 2 shown]
	v_add_nc_u32_e32 v19, v19, v54
	v_and_b32_e32 v22, 0x3f8, v22
	v_and_b32_e32 v23, 0x3f8, v23
	;; [unrolled: 1-line block ×3, first 2 shown]
	v_add_nc_u32_e32 v17, v17, v54
	v_add_nc_u32_e32 v18, v18, v54
	;; [unrolled: 1-line block ×7, first 2 shown]
	ds_store_b64 v19, v[1:2]
	s_wait_loadcnt 0x0
	ds_store_b64 v17, v[3:4] offset:3072
	ds_store_b64 v18, v[5:6] offset:6144
	;; [unrolled: 1-line block ×7, first 2 shown]
	s_wait_dscnt 0x0
	s_barrier_signal -1
	s_barrier_wait -1
.LBB49_13:
	v_lshlrev_b32_e32 v1, 1, v0
	global_inv scope:SCOPE_SE
	s_add_nc_u64 s[4:5], s[6:7], s[16:17]
	s_and_b32 vcc_lo, exec_lo, s19
	s_add_nc_u64 s[4:5], s[4:5], s[8:9]
	v_and_b32_e32 v1, 0x3f8, v1
	s_mov_b32 s8, -1
	s_delay_alu instid0(VALU_DEP_1)
	v_lshl_add_u32 v13, v0, 6, v1
	ds_load_2addr_b64 v[25:28], v13 offset0:2 offset1:3
	ds_load_2addr_b64 v[21:24], v13 offset0:3 offset1:4
	ds_load_2addr_b64 v[29:32], v13 offset1:1
	ds_load_2addr_b64 v[33:36], v13 offset0:1 offset1:2
	ds_load_2addr_b64 v[17:20], v13 offset0:5 offset1:6
	ds_load_b64 v[37:38], v13 offset:56
	s_wait_loadcnt_dscnt 0x0
	s_barrier_signal -1
	s_barrier_wait -1
	global_inv scope:SCOPE_SE
	s_cbranch_vccz .LBB49_15
; %bb.14:
	v_add_co_u32 v1, s8, s4, v0
	s_delay_alu instid0(VALU_DEP_1) | instskip(SKIP_1) | instid1(VALU_DEP_3)
	v_add_co_ci_u32_e64 v2, null, s5, 0, s8
	v_lshrrev_b32_e32 v16, 2, v46
	v_add_co_u32 v3, vcc_lo, 0x180, v1
	v_lshrrev_b32_e32 v47, 2, v45
	s_delay_alu instid0(VALU_DEP_4)
	v_add_co_ci_u32_e64 v4, null, 0, v2, vcc_lo
	v_add_co_u32 v5, vcc_lo, 0x300, v1
	v_lshrrev_b32_e32 v51, 2, v40
	v_lshrrev_b32_e32 v52, 2, v39
	s_wait_alu 0xfffd
	v_add_co_ci_u32_e64 v6, null, 0, v2, vcc_lo
	v_add_co_u32 v7, vcc_lo, 0x480, v1
	v_and_b32_e32 v49, 0x78, v43
	v_lshrrev_b32_e32 v53, 2, v41
	v_lshrrev_b32_e32 v55, 2, v44
	v_lshrrev_b32_e32 v56, 2, v42
	v_and_b32_e32 v16, 0xf8, v16
	s_wait_alu 0xfffd
	v_add_co_ci_u32_e64 v8, null, 0, v2, vcc_lo
	v_add_co_u32 v9, vcc_lo, 0x600, v1
	v_and_b32_e32 v50, 0x1f8, v47
	v_and_b32_e32 v51, 0x1f8, v51
	s_wait_alu 0xfffd
	v_add_co_ci_u32_e64 v10, null, 0, v2, vcc_lo
	v_add_co_u32 v11, vcc_lo, 0x780, v1
	v_and_b32_e32 v52, 0x1f8, v52
	v_add_nc_u32_e32 v49, v49, v54
	v_and_b32_e32 v53, 0x3f8, v53
	v_and_b32_e32 v55, 0x2f8, v55
	;; [unrolled: 1-line block ×3, first 2 shown]
	s_wait_alu 0xfffd
	v_add_co_ci_u32_e64 v12, null, 0, v2, vcc_lo
	v_add_co_u32 v14, vcc_lo, 0x900, v1
	v_add_nc_u32_e32 v16, v16, v54
	v_add_nc_u32_e32 v50, v50, v54
	s_wait_alu 0xfffd
	v_add_co_ci_u32_e64 v15, null, 0, v2, vcc_lo
	v_add_co_u32 v47, vcc_lo, 0xa80, v1
	v_add_nc_u32_e32 v51, v51, v54
	v_add_nc_u32_e32 v52, v52, v54
	s_wait_alu 0xfffd
	v_add_co_ci_u32_e64 v48, null, 0, v2, vcc_lo
	v_add_nc_u32_e32 v53, v53, v54
	v_add_nc_u32_e32 v55, v55, v54
	v_add_nc_u32_e32 v56, v56, v54
	ds_store_b64 v49, v[1:2]
	ds_store_b64 v16, v[3:4] offset:3072
	ds_store_b64 v50, v[5:6] offset:6144
	;; [unrolled: 1-line block ×7, first 2 shown]
	s_wait_loadcnt_dscnt 0x0
	s_barrier_signal -1
	s_mov_b32 s8, 0
	s_barrier_wait -1
.LBB49_15:
	s_wait_alu 0xfffe
	s_and_not1_b32 vcc_lo, exec_lo, s8
	s_wait_alu 0xfffe
	s_cbranch_vccnz .LBB49_17
; %bb.16:
	v_add_co_u32 v1, s8, s4, v0
	s_wait_alu 0xf1ff
	v_add_co_ci_u32_e64 v2, null, s5, 0, s8
	v_add_co_u32 v3, s8, s4, v46
	s_wait_alu 0xf1ff
	v_add_co_ci_u32_e64 v4, null, s5, 0, s8
	;; [unrolled: 3-line block ×3, first 2 shown]
	v_add_co_u32 v7, s8, s4, v40
	v_lshrrev_b32_e32 v45, 2, v45
	s_wait_alu 0xf1ff
	v_add_co_ci_u32_e64 v8, null, s5, 0, s8
	v_add_co_u32 v9, s8, s4, v39
	v_lshrrev_b32_e32 v16, 2, v46
	s_wait_alu 0xf1ff
	v_add_co_ci_u32_e64 v10, null, s5, 0, s8
	v_add_co_u32 v11, s8, s4, v41
	v_lshrrev_b32_e32 v40, 2, v40
	v_lshrrev_b32_e32 v39, 2, v39
	s_wait_alu 0xf1ff
	v_add_co_ci_u32_e64 v12, null, s5, 0, s8
	v_add_co_u32 v14, s8, s4, v44
	v_and_b32_e32 v43, 0x78, v43
	v_and_b32_e32 v47, 0x1f8, v45
	v_add_co_u32 v45, s4, s4, v42
	v_lshrrev_b32_e32 v41, 2, v41
	v_lshrrev_b32_e32 v44, 2, v44
	;; [unrolled: 1-line block ×3, first 2 shown]
	v_and_b32_e32 v16, 0xf8, v16
	v_and_b32_e32 v40, 0x1f8, v40
	;; [unrolled: 1-line block ×3, first 2 shown]
	v_add_nc_u32_e32 v43, v43, v54
	v_and_b32_e32 v41, 0x3f8, v41
	v_and_b32_e32 v44, 0x2f8, v44
	;; [unrolled: 1-line block ×3, first 2 shown]
	v_add_nc_u32_e32 v16, v16, v54
	v_add_nc_u32_e32 v47, v47, v54
	v_add_nc_u32_e32 v40, v40, v54
	v_add_nc_u32_e32 v39, v39, v54
	s_wait_alu 0xf1ff
	v_add_co_ci_u32_e64 v15, null, s5, 0, s8
	v_add_co_ci_u32_e64 v46, null, s5, 0, s4
	v_add_nc_u32_e32 v41, v41, v54
	v_add_nc_u32_e32 v44, v44, v54
	;; [unrolled: 1-line block ×3, first 2 shown]
	ds_store_b64 v43, v[1:2]
	ds_store_b64 v16, v[3:4] offset:3072
	ds_store_b64 v47, v[5:6] offset:6144
	;; [unrolled: 1-line block ×7, first 2 shown]
	s_wait_loadcnt_dscnt 0x0
	s_barrier_signal -1
	s_barrier_wait -1
.LBB49_17:
	s_wait_loadcnt 0x0
	global_inv scope:SCOPE_SE
	ds_load_2addr_b64 v[1:4], v13 offset0:6 offset1:7
	ds_load_2addr_b64 v[5:8], v13 offset0:4 offset1:5
	;; [unrolled: 1-line block ×3, first 2 shown]
	ds_load_2addr_b64 v[13:16], v13 offset1:1
	s_cmp_lg_u32 ttmp9, 0
	s_mov_b32 s14, 0
	s_cselect_b32 s9, -1, 0
	s_cmp_lg_u64 s[6:7], 0
	s_wait_loadcnt_dscnt 0x0
	s_cselect_b32 s4, -1, 0
	s_barrier_signal -1
	s_wait_alu 0xfffe
	s_or_b32 s4, s9, s4
	s_barrier_wait -1
	s_wait_alu 0xfffe
	s_and_b32 vcc_lo, exec_lo, s4
	global_inv scope:SCOPE_SE
	s_wait_alu 0xfffe
	s_cbranch_vccz .LBB49_22
; %bb.18:
	s_add_nc_u64 s[2:3], s[2:3], -8
	s_and_b32 vcc_lo, exec_lo, s19
	s_load_b64 s[2:3], s[2:3], 0x0
	ds_store_b64 v54, v[37:38]
	s_cbranch_vccz .LBB49_31
; %bb.19:
	s_wait_kmcnt 0x0
	v_dual_mov_b32 v40, s3 :: v_dual_mov_b32 v39, s2
	s_mov_b32 s5, 0
	s_mov_b32 s4, exec_lo
	s_wait_loadcnt_dscnt 0x0
	s_barrier_signal -1
	s_barrier_wait -1
	global_inv scope:SCOPE_SE
	v_cmpx_ne_u32_e32 0, v0
; %bb.20:
	v_add_nc_u32_e32 v39, -8, v54
	ds_load_b64 v[39:40], v39
; %bb.21:
	s_wait_alu 0xfffe
	s_or_b32 exec_lo, exec_lo, s4
	v_cmp_ne_u64_e32 vcc_lo, v[19:20], v[37:38]
	s_wait_dscnt 0x0
	v_cmp_ne_u64_e64 s4, v[39:40], v[29:30]
	s_wait_alu 0xfffd
	v_cndmask_b32_e64 v41, 0, 1, vcc_lo
	v_cmp_ne_u64_e32 vcc_lo, v[17:18], v[19:20]
	s_delay_alu instid0(VALU_DEP_2) | instskip(SKIP_3) | instid1(VALU_DEP_2)
	v_lshlrev_b16 v41, 8, v41
	s_wait_alu 0xfffd
	v_cndmask_b32_e64 v42, 0, 1, vcc_lo
	v_cmp_ne_u64_e32 vcc_lo, v[23:24], v[17:18]
	v_or_b32_e32 v41, v42, v41
	s_wait_alu 0xfffd
	v_cndmask_b32_e64 v43, 0, 1, vcc_lo
	v_cmp_ne_u64_e32 vcc_lo, v[25:26], v[27:28]
	s_delay_alu instid0(VALU_DEP_3) | instskip(NEXT) | instid1(VALU_DEP_3)
	v_lshlrev_b32_e32 v41, 16, v41
	v_lshlrev_b16 v43, 8, v43
	s_wait_alu 0xfffd
	v_cndmask_b32_e64 v44, 0, 1, vcc_lo
	v_cmp_ne_u64_e32 vcc_lo, v[27:28], v[23:24]
	s_delay_alu instid0(VALU_DEP_2) | instskip(SKIP_3) | instid1(VALU_DEP_2)
	v_lshlrev_b16 v44, 8, v44
	s_wait_alu 0xfffd
	v_cndmask_b32_e64 v45, 0, 1, vcc_lo
	v_cmp_ne_u64_e32 vcc_lo, v[31:32], v[25:26]
	v_or_b32_e32 v43, v45, v43
	s_wait_alu 0xfffd
	v_cndmask_b32_e64 v46, 0, 1, vcc_lo
	v_cmp_ne_u64_e32 vcc_lo, v[29:30], v[31:32]
	s_delay_alu instid0(VALU_DEP_3) | instskip(NEXT) | instid1(VALU_DEP_3)
	v_and_b32_e32 v43, 0xffff, v43
	v_or_b32_e32 v44, v46, v44
	s_wait_alu 0xfffd
	v_cndmask_b32_e64 v47, 0, 1, vcc_lo
	s_delay_alu instid0(VALU_DEP_3) | instskip(NEXT) | instid1(VALU_DEP_3)
	v_or_b32_e32 v43, v43, v41
	v_lshlrev_b32_e32 v42, 16, v44
	s_delay_alu instid0(VALU_DEP_3) | instskip(NEXT) | instid1(VALU_DEP_1)
	v_lshlrev_b16 v46, 8, v47
	v_and_b32_e32 v44, 0xffff, v46
	s_delay_alu instid0(VALU_DEP_1)
	v_or_b32_e32 v42, v44, v42
	s_and_b32 vcc_lo, exec_lo, s5
	s_wait_alu 0xfffe
	s_cbranch_vccnz .LBB49_32
	s_branch .LBB49_35
.LBB49_22:
                                        ; implicit-def: $sgpr4
                                        ; implicit-def: $vgpr43
	s_branch .LBB49_36
.LBB49_23:
                                        ; implicit-def: $vgpr39
                                        ; implicit-def: $vgpr59
                                        ; implicit-def: $vgpr58
                                        ; implicit-def: $vgpr41
                                        ; implicit-def: $vgpr57
                                        ; implicit-def: $vgpr56
                                        ; implicit-def: $vgpr55
	s_branch .LBB49_44
.LBB49_24:
	global_load_b64 v[2:3], v54, s[2:3]
	v_dual_mov_b32 v16, v1 :: v_dual_mov_b32 v17, v1
	v_dual_mov_b32 v4, v1 :: v_dual_mov_b32 v5, v1
	;; [unrolled: 1-line block ×7, first 2 shown]
	s_wait_loadcnt 0x0
	v_mov_b32_e32 v1, v2
	v_mov_b32_e32 v2, v3
	;; [unrolled: 1-line block ×16, first 2 shown]
	s_or_b32 exec_lo, exec_lo, s4
	s_delay_alu instid0(SALU_CYCLE_1)
	s_mov_b32 s4, exec_lo
	v_cmpx_gt_u32_e64 s21, v46
	s_cbranch_execz .LBB49_5
.LBB49_25:
	global_load_b64 v[3:4], v54, s[2:3] offset:3072
	s_or_b32 exec_lo, exec_lo, s4
	s_delay_alu instid0(SALU_CYCLE_1)
	s_mov_b32 s4, exec_lo
	v_cmpx_gt_u32_e64 s21, v45
	s_cbranch_execz .LBB49_6
.LBB49_26:
	global_load_b64 v[5:6], v54, s[2:3] offset:6144
	s_or_b32 exec_lo, exec_lo, s4
	s_delay_alu instid0(SALU_CYCLE_1)
	s_mov_b32 s4, exec_lo
	v_cmpx_gt_u32_e64 s21, v40
	s_cbranch_execz .LBB49_7
.LBB49_27:
	global_load_b64 v[7:8], v54, s[2:3] offset:9216
	s_or_b32 exec_lo, exec_lo, s4
	s_delay_alu instid0(SALU_CYCLE_1)
	s_mov_b32 s4, exec_lo
	v_cmpx_gt_u32_e64 s21, v39
	s_cbranch_execz .LBB49_8
.LBB49_28:
	global_load_b64 v[9:10], v54, s[2:3] offset:12288
	s_or_b32 exec_lo, exec_lo, s4
	s_delay_alu instid0(SALU_CYCLE_1)
	s_mov_b32 s4, exec_lo
	v_cmpx_gt_u32_e64 s21, v41
	s_cbranch_execz .LBB49_9
.LBB49_29:
	global_load_b64 v[11:12], v54, s[2:3] offset:15360
	s_or_b32 exec_lo, exec_lo, s4
	s_delay_alu instid0(SALU_CYCLE_1)
	s_mov_b32 s4, exec_lo
	v_cmpx_gt_u32_e64 s21, v44
	s_cbranch_execz .LBB49_10
.LBB49_30:
	global_load_b64 v[13:14], v54, s[2:3] offset:18432
	s_or_b32 exec_lo, exec_lo, s4
	s_delay_alu instid0(SALU_CYCLE_1)
	s_mov_b32 s4, exec_lo
	v_cmpx_gt_u32_e64 s21, v42
	s_cbranch_execnz .LBB49_11
	s_branch .LBB49_12
.LBB49_31:
                                        ; implicit-def: $sgpr4
                                        ; implicit-def: $vgpr43
	s_cbranch_execz .LBB49_35
.LBB49_32:
	s_wait_kmcnt 0x0
	v_dual_mov_b32 v40, s3 :: v_dual_mov_b32 v39, s2
	s_mov_b32 s2, exec_lo
	s_wait_loadcnt_dscnt 0x0
	s_barrier_signal -1
	s_barrier_wait -1
	global_inv scope:SCOPE_SE
	v_cmpx_ne_u32_e32 0, v0
; %bb.33:
	v_add_nc_u32_e32 v39, -8, v54
	ds_load_b64 v[39:40], v39
; %bb.34:
	s_wait_alu 0xfffe
	s_or_b32 exec_lo, exec_lo, s2
	v_or_b32_e32 v41, 7, v54
	v_or_b32_e32 v42, 6, v54
	v_cmp_ne_u64_e32 vcc_lo, v[19:20], v[37:38]
	v_or_b32_e32 v43, 5, v54
	v_cmp_ne_u64_e64 s3, v[17:18], v[19:20]
	v_cmp_gt_u32_e64 s2, s21, v41
	v_cmp_gt_u32_e64 s4, s21, v42
	v_cmp_ne_u64_e64 s5, v[23:24], v[17:18]
	v_cmp_gt_u32_e64 s6, s21, v43
	v_or_b32_e32 v43, 3, v54
	s_and_b32 s2, s2, vcc_lo
	v_or_b32_e32 v44, 4, v54
	s_wait_alu 0xfffe
	v_cndmask_b32_e64 v41, 0, 1, s2
	s_and_b32 s2, s4, s3
	v_cmp_ne_u64_e32 vcc_lo, v[25:26], v[27:28]
	s_wait_alu 0xfffe
	v_cndmask_b32_e64 v42, 0, 1, s2
	s_and_b32 s2, s6, s5
	v_cmp_gt_u32_e64 s3, s21, v44
	s_wait_alu 0xfffe
	v_cndmask_b32_e64 v45, 0, 1, s2
	v_cmp_gt_u32_e64 s2, s21, v43
	v_or_b32_e32 v43, 2, v54
	v_or_b32_e32 v44, 1, v54
	v_cmp_ne_u64_e64 s4, v[27:28], v[23:24]
	v_cmp_ne_u64_e64 s6, v[29:30], v[31:32]
	s_and_b32 s2, s2, vcc_lo
	v_cmp_ne_u64_e32 vcc_lo, v[31:32], v[25:26]
	s_wait_alu 0xfffe
	v_cndmask_b32_e64 v46, 0, 1, s2
	v_cmp_gt_u32_e64 s2, s21, v43
	v_cmp_gt_u32_e64 s5, s21, v44
	s_and_b32 s3, s3, s4
	v_lshlrev_b16 v45, 8, v45
	s_wait_alu 0xfffe
	v_cndmask_b32_e64 v43, 0, 1, s3
	s_and_b32 s2, s2, vcc_lo
	v_lshlrev_b16 v46, 8, v46
	s_wait_alu 0xfffe
	v_cndmask_b32_e64 v44, 0, 1, s2
	s_and_b32 s2, s5, s6
	v_lshlrev_b16 v41, 8, v41
	s_wait_alu 0xfffe
	v_cndmask_b32_e64 v47, 0, 1, s2
	v_or_b32_e32 v43, v43, v45
	v_or_b32_e32 v44, v44, v46
	s_wait_dscnt 0x0
	v_cmp_ne_u64_e32 vcc_lo, v[39:40], v[29:30]
	v_or_b32_e32 v41, v42, v41
	v_lshlrev_b16 v46, 8, v47
	v_and_b32_e32 v43, 0xffff, v43
	v_lshlrev_b32_e32 v42, 16, v44
	v_cmp_gt_u32_e64 s2, s21, v54
	v_lshlrev_b32_e32 v41, 16, v41
	v_and_b32_e32 v44, 0xffff, v46
	s_and_b32 s4, s2, vcc_lo
	s_delay_alu instid0(VALU_DEP_2) | instskip(NEXT) | instid1(VALU_DEP_2)
	v_or_b32_e32 v43, v43, v41
	v_or_b32_e32 v42, v44, v42
.LBB49_35:
	s_wait_kmcnt 0x0
	s_mov_b32 s14, -1
	s_cbranch_execnz .LBB49_23
.LBB49_36:
	v_cmp_ne_u64_e64 s2, v[19:20], v[37:38]
	v_cmp_ne_u64_e64 s3, v[17:18], v[19:20]
	s_and_b32 vcc_lo, exec_lo, s19
	ds_store_b64 v54, v[37:38]
	s_wait_alu 0xfffe
	s_cbranch_vccz .LBB49_40
; %bb.37:
	v_cmp_ne_u64_e32 vcc_lo, v[27:28], v[23:24]
	s_wait_alu 0xf1ff
	v_cndmask_b32_e64 v55, 0, 1, s2
	v_cndmask_b32_e64 v56, 0, 1, s3
	v_mov_b32_e32 v39, 1
	s_mov_b32 s2, 0
	s_mov_b32 s3, exec_lo
	s_wait_alu 0xfffd
	v_cndmask_b32_e64 v40, 0, 1, vcc_lo
	v_cmp_ne_u64_e32 vcc_lo, v[23:24], v[17:18]
	s_wait_loadcnt_dscnt 0x0
	s_barrier_signal -1
	s_barrier_wait -1
	global_inv scope:SCOPE_SE
                                        ; implicit-def: $sgpr4
                                        ; implicit-def: $vgpr43
	s_wait_alu 0xfffd
	v_cndmask_b32_e64 v57, 0, 1, vcc_lo
	v_cmp_ne_u64_e32 vcc_lo, v[25:26], v[27:28]
	s_wait_alu 0xfffd
	v_cndmask_b32_e64 v41, 0, 1, vcc_lo
	v_cmp_ne_u64_e32 vcc_lo, v[31:32], v[25:26]
	;; [unrolled: 3-line block ×3, first 2 shown]
	s_wait_alu 0xfffd
	v_cndmask_b32_e64 v59, 0, 1, vcc_lo
	v_cmpx_ne_u32_e32 0, v0
	s_wait_alu 0xfffe
	s_xor_b32 s3, exec_lo, s3
	s_cbranch_execz .LBB49_39
; %bb.38:
	v_add_nc_u32_e32 v42, -8, v54
	v_lshlrev_b16 v43, 8, v55
	v_lshlrev_b16 v46, 8, v41
	;; [unrolled: 1-line block ×3, first 2 shown]
	s_or_b32 s14, s14, exec_lo
	ds_load_b64 v[44:45], v42
	v_lshlrev_b16 v42, 8, v57
	v_or_b32_e32 v43, v56, v43
	v_or_b32_e32 v46, v58, v46
	v_or_b32_e32 v47, 1, v47
	s_delay_alu instid0(VALU_DEP_4) | instskip(NEXT) | instid1(VALU_DEP_4)
	v_or_b32_e32 v42, v40, v42
	v_lshlrev_b32_e32 v43, 16, v43
	s_delay_alu instid0(VALU_DEP_4) | instskip(NEXT) | instid1(VALU_DEP_4)
	v_lshlrev_b32_e32 v46, 16, v46
	v_and_b32_e32 v47, 0xffff, v47
	s_delay_alu instid0(VALU_DEP_4) | instskip(NEXT) | instid1(VALU_DEP_1)
	v_and_b32_e32 v42, 0xffff, v42
	v_or_b32_e32 v43, v42, v43
	s_delay_alu instid0(VALU_DEP_3)
	v_or_b32_e32 v42, v47, v46
	s_wait_dscnt 0x0
	v_cmp_ne_u64_e64 s4, v[44:45], v[29:30]
.LBB49_39:
	s_wait_alu 0xfffe
	s_or_b32 exec_lo, exec_lo, s3
	s_delay_alu instid0(SALU_CYCLE_1)
	s_and_b32 vcc_lo, exec_lo, s2
	s_wait_alu 0xfffe
	s_cbranch_vccnz .LBB49_41
	s_branch .LBB49_44
.LBB49_40:
                                        ; implicit-def: $sgpr4
                                        ; implicit-def: $vgpr43
                                        ; implicit-def: $vgpr39
                                        ; implicit-def: $vgpr59
                                        ; implicit-def: $vgpr58
                                        ; implicit-def: $vgpr41
                                        ; implicit-def: $vgpr57
                                        ; implicit-def: $vgpr56
                                        ; implicit-def: $vgpr55
	s_cbranch_execz .LBB49_44
.LBB49_41:
	v_or_b32_e32 v39, 4, v54
	v_cmp_ne_u64_e64 s2, v[27:28], v[23:24]
	v_or_b32_e32 v42, 3, v54
	v_or_b32_e32 v43, 2, v54
	v_cmp_ne_u64_e64 s4, v[25:26], v[21:22]
	v_cmp_gt_u32_e64 s3, s21, v39
	v_or_b32_e32 v39, 6, v54
	v_or_b32_e32 v22, 1, v54
	v_cmp_gt_u32_e64 s5, s21, v43
	v_or_b32_e32 v41, 7, v54
	s_and_b32 s2, s3, s2
	v_cmp_ne_u64_e64 s3, v[31:32], v[35:36]
	s_wait_alu 0xfffe
	v_cndmask_b32_e64 v40, 0, 1, s2
	v_cmp_gt_u32_e64 s2, s21, v42
	v_cmp_gt_u32_e64 s6, s21, v41
	v_cmp_ne_u64_e64 s7, v[23:24], v[17:18]
	v_cmp_ne_u64_e32 vcc_lo, v[19:20], v[37:38]
	v_lshlrev_b16 v21, 8, v40
	s_and_b32 s2, s2, s4
	v_cmp_ne_u64_e64 s4, v[29:30], v[33:34]
	s_wait_alu 0xfffe
	v_cndmask_b32_e64 v36, 0, 1, s2
	s_and_b32 s2, s5, s3
	v_cmp_gt_u32_e64 s5, s21, v22
	s_wait_alu 0xfffe
	v_cndmask_b32_e64 v35, 0, 1, s2
	v_cmp_gt_u32_e64 s2, s21, v39
	v_or_b32_e32 v39, 5, v54
	v_or_b32_e32 v41, v36, v21
	v_cmp_ne_u64_e64 s3, v[17:18], v[19:20]
	v_lshlrev_b16 v21, 8, v35
	s_and_b32 s4, s5, s4
	v_cmp_gt_u32_e64 s8, s21, v39
	v_dual_mov_b32 v39, 1 :: v_dual_lshlrev_b32 v22, 16, v41
	s_delay_alu instid0(VALU_DEP_3)
	v_and_b32_e32 v33, 0xffff, v21
	s_wait_alu 0xfffe
	v_cndmask_b32_e64 v34, 0, 1, s4
	s_and_b32 s4, s8, s7
	s_and_b32 s2, s2, s3
	s_wait_alu 0xfffe
	v_cndmask_b32_e64 v57, 0, 1, s4
	s_and_b32 s4, s6, vcc_lo
	v_or_b32_e32 v33, v33, v22
	s_wait_alu 0xfffe
	v_cndmask_b32_e64 v55, 0, 1, s4
	v_cndmask_b32_e64 v56, 0, 1, s2
	s_mov_b32 s3, exec_lo
	s_wait_loadcnt_dscnt 0x0
	s_barrier_signal -1
	s_barrier_wait -1
	global_inv scope:SCOPE_SE
                                        ; implicit-def: $sgpr4
                                        ; implicit-def: $vgpr43
	v_cmpx_ne_u32_e32 0, v0
	s_cbranch_execz .LBB49_43
; %bb.42:
	v_add_nc_u32_e32 v42, -8, v54
	v_lshlrev_b16 v36, 8, v36
	v_lshlrev_b16 v44, 8, v34
	;; [unrolled: 1-line block ×4, first 2 shown]
	ds_load_b64 v[42:43], v42
	v_or_b32_e32 v35, v35, v36
	v_or_b32_e32 v36, 1, v44
	;; [unrolled: 1-line block ×4, first 2 shown]
	v_cmp_gt_u32_e64 s2, s21, v54
	v_lshlrev_b32_e32 v35, 16, v35
	v_and_b32_e32 v36, 0xffff, v36
	v_and_b32_e32 v40, 0xffff, v40
	v_lshlrev_b32_e32 v44, 16, v44
	s_or_b32 s14, s14, exec_lo
	s_wait_dscnt 0x0
	v_cmp_ne_u64_e32 vcc_lo, v[42:43], v[29:30]
	v_or_b32_e32 v42, v36, v35
	v_or_b32_e32 v43, v40, v44
	s_and_b32 s4, s2, vcc_lo
.LBB49_43:
	s_wait_alu 0xfffe
	s_or_b32 exec_lo, exec_lo, s3
	v_or_b32_e32 v59, v34, v21
	v_lshrrev_b32_e32 v40, 24, v22
	v_lshrrev_b32_e32 v58, 8, v33
.LBB49_44:
	s_wait_alu 0xfffe
	s_and_saveexec_b32 s2, s14
	s_cbranch_execz .LBB49_46
; %bb.45:
	v_lshrrev_b32_e32 v58, 16, v42
	v_lshrrev_b32_e32 v59, 8, v42
	v_lshrrev_b64 v[41:42], 24, v[42:43]
	v_lshrrev_b32_e32 v57, 8, v43
	v_lshrrev_b32_e32 v56, 16, v43
	;; [unrolled: 1-line block ×3, first 2 shown]
	v_cndmask_b32_e64 v39, 0, 1, s4
	v_mov_b32_e32 v40, v43
.LBB49_46:
	s_wait_alu 0xfffe
	s_or_b32 exec_lo, exec_lo, s2
	s_load_b64 s[14:15], s[0:1], 0x60
	s_and_not1_b32 vcc_lo, exec_lo, s20
	s_wait_alu 0xfffe
	s_cbranch_vccnz .LBB49_50
; %bb.47:
	v_perm_b32 v21, v39, v59, 0xc0c0004
	v_perm_b32 v22, v58, v41, 0xc0c0004
	v_cmp_gt_u32_e32 vcc_lo, s21, v54
	v_or_b32_e32 v33, 1, v54
	v_perm_b32 v34, v40, v57, 0xc0c0004
	v_perm_b32 v35, v56, v55, 0xc0c0004
	v_lshl_or_b32 v21, v22, 16, v21
	s_wait_alu 0xfffd
	s_delay_alu instid0(VALU_DEP_1) | instskip(SKIP_2) | instid1(VALU_DEP_3)
	v_cndmask_b32_e32 v22, 0, v21, vcc_lo
	v_cmp_gt_u32_e32 vcc_lo, s21, v33
	v_or_b32_e32 v33, 2, v54
	v_and_b32_e32 v22, 0xff, v22
	s_wait_alu 0xfffd
	s_delay_alu instid0(VALU_DEP_1) | instskip(NEXT) | instid1(VALU_DEP_3)
	v_cndmask_b32_e32 v22, v22, v21, vcc_lo
	v_cmp_gt_u32_e32 vcc_lo, s21, v33
	v_lshl_or_b32 v33, v35, 16, v34
	v_or_b32_e32 v34, 3, v54
	v_or_b32_e32 v35, 4, v54
	v_and_b32_e32 v22, 0xffff, v22
	s_delay_alu instid0(VALU_DEP_4) | instskip(SKIP_1) | instid1(VALU_DEP_2)
	v_and_b32_e32 v36, 0xffffff00, v33
	s_wait_alu 0xfffd
	v_cndmask_b32_e32 v22, v22, v21, vcc_lo
	v_cmp_gt_u32_e32 vcc_lo, s21, v34
	s_delay_alu instid0(VALU_DEP_2) | instskip(SKIP_1) | instid1(VALU_DEP_1)
	v_and_b32_e32 v22, 0xffffff, v22
	s_wait_alu 0xfffd
	v_cndmask_b32_e32 v22, v22, v21, vcc_lo
	v_cmp_gt_u32_e32 vcc_lo, s21, v35
	v_or_b32_e32 v35, 5, v54
	s_wait_alu 0xfffd
	v_cndmask_b32_e32 v34, v36, v33, vcc_lo
	v_cndmask_b32_e32 v22, v22, v21, vcc_lo
	s_delay_alu instid0(VALU_DEP_3) | instskip(SKIP_1) | instid1(VALU_DEP_4)
	v_cmp_gt_u32_e32 vcc_lo, s21, v35
	v_or_b32_e32 v35, 6, v54
	v_and_b32_e32 v34, 0xffff00ff, v34
	s_delay_alu instid0(VALU_DEP_2) | instskip(SKIP_1) | instid1(VALU_DEP_2)
	v_cmp_gt_u32_e64 s2, s21, v35
	s_wait_alu 0xfffd
	v_cndmask_b32_e32 v34, v34, v33, vcc_lo
	s_or_b32 vcc_lo, s2, vcc_lo
	s_wait_alu 0xfffe
	s_delay_alu instid0(VALU_DEP_1) | instskip(SKIP_1) | instid1(VALU_DEP_2)
	v_dual_cndmask_b32 v39, v22, v21 :: v_dual_and_b32 v34, 0xff00ffff, v34
	v_or_b32_e32 v21, 7, v54
	v_cndmask_b32_e64 v40, v34, v33, s2
	s_delay_alu instid0(VALU_DEP_3) | instskip(SKIP_2) | instid1(VALU_DEP_3)
	v_lshrrev_b32_e32 v58, 16, v39
	v_lshrrev_b32_e32 v59, 8, v39
	s_mov_b32 s2, exec_lo
	v_lshrrev_b64 v[41:42], 24, v[39:40]
	v_lshrrev_b32_e32 v55, 24, v40
	v_lshrrev_b32_e32 v56, 16, v40
	;; [unrolled: 1-line block ×3, first 2 shown]
	v_cmpx_le_u32_e64 s21, v21
; %bb.48:
	v_mov_b32_e32 v55, 0
; %bb.49:
	s_wait_alu 0xfffe
	s_or_b32 exec_lo, exec_lo, s2
.LBB49_50:
	v_and_b32_e32 v45, 0xff, v39
	v_and_b32_e32 v47, 0xff, v59
	v_and_b32_e32 v49, 0xff, v58
	v_and_b32_e32 v51, 0xff, v41
	v_and_b32_e32 v53, 0xff, v40
	v_and_b32_e32 v60, 0xff, v57
	v_add_nc_u32_e32 v21, v47, v45
	v_and_b32_e32 v33, 0x1e0, v0
	v_mbcnt_lo_u32_b32 v62, -1, 0
	v_and_b32_e32 v61, 0xff, v56
	v_and_b32_e32 v22, 0xff, v55
	v_add3_u32 v21, v21, v49, v51
	v_min_u32_e32 v33, 0x160, v33
	v_and_b32_e32 v34, 15, v62
	v_lshrrev_b32_e32 v63, 5, v0
	v_readfirstlane_b32 s8, v0
	v_add3_u32 v21, v21, v53, v60
	s_and_b32 vcc_lo, exec_lo, s9
	v_cmp_eq_u32_e64 s4, 0, v34
	v_cmp_lt_u32_e64 s5, 1, v34
	v_cmp_lt_u32_e64 s3, 3, v34
	v_add3_u32 v64, v21, v61, v22
	v_and_b32_e32 v21, 16, v62
	v_or_b32_e32 v22, 31, v33
	v_cmp_lt_u32_e64 s2, 7, v34
	s_mov_b32 s9, -1
	s_wait_loadcnt_dscnt 0x0
	v_cmp_eq_u32_e64 s7, 0, v21
	v_cmp_eq_u32_e64 s6, v0, v22
	s_barrier_signal -1
	s_barrier_wait -1
	global_inv scope:SCOPE_SE
                                        ; implicit-def: $vgpr33
                                        ; implicit-def: $vgpr35
                                        ; implicit-def: $vgpr42
                                        ; implicit-def: $vgpr44
                                        ; implicit-def: $vgpr46
                                        ; implicit-def: $vgpr48
                                        ; implicit-def: $vgpr50
                                        ; implicit-def: $vgpr52
                                        ; implicit-def: $vgpr21
	s_wait_alu 0xfffe
	s_cbranch_vccz .LBB49_76
; %bb.51:
	v_mov_b32_dpp v21, v64 row_shr:1 row_mask:0xf bank_mask:0xf
	s_wait_alu 0xf1ff
	s_delay_alu instid0(VALU_DEP_1) | instskip(NEXT) | instid1(VALU_DEP_1)
	v_cndmask_b32_e64 v21, v21, 0, s4
	v_add_nc_u32_e32 v21, v21, v64
	s_delay_alu instid0(VALU_DEP_1) | instskip(NEXT) | instid1(VALU_DEP_1)
	v_mov_b32_dpp v22, v21 row_shr:2 row_mask:0xf bank_mask:0xf
	v_cndmask_b32_e64 v22, 0, v22, s5
	s_delay_alu instid0(VALU_DEP_1) | instskip(NEXT) | instid1(VALU_DEP_1)
	v_add_nc_u32_e32 v21, v21, v22
	v_mov_b32_dpp v22, v21 row_shr:4 row_mask:0xf bank_mask:0xf
	s_delay_alu instid0(VALU_DEP_1) | instskip(NEXT) | instid1(VALU_DEP_1)
	v_cndmask_b32_e64 v22, 0, v22, s3
	v_add_nc_u32_e32 v21, v21, v22
	s_delay_alu instid0(VALU_DEP_1) | instskip(NEXT) | instid1(VALU_DEP_1)
	v_mov_b32_dpp v22, v21 row_shr:8 row_mask:0xf bank_mask:0xf
	v_cndmask_b32_e64 v22, 0, v22, s2
	s_delay_alu instid0(VALU_DEP_1) | instskip(SKIP_3) | instid1(VALU_DEP_1)
	v_add_nc_u32_e32 v21, v21, v22
	ds_swizzle_b32 v22, v21 offset:swizzle(BROADCAST,32,15)
	s_wait_dscnt 0x0
	v_cndmask_b32_e64 v22, v22, 0, s7
	v_add_nc_u32_e32 v21, v21, v22
	s_and_saveexec_b32 s8, s6
; %bb.52:
	v_lshlrev_b32_e32 v22, 2, v63
	ds_store_b32 v22, v21
; %bb.53:
	s_wait_alu 0xfffe
	s_or_b32 exec_lo, exec_lo, s8
	s_delay_alu instid0(SALU_CYCLE_1)
	s_mov_b32 s8, exec_lo
	s_wait_loadcnt_dscnt 0x0
	s_barrier_signal -1
	s_barrier_wait -1
	global_inv scope:SCOPE_SE
	v_cmpx_gt_u32_e32 12, v0
	s_cbranch_execz .LBB49_55
; %bb.54:
	v_lshlrev_b32_e32 v22, 2, v0
	ds_load_b32 v33, v22
	s_wait_dscnt 0x0
	v_mov_b32_dpp v34, v33 row_shr:1 row_mask:0xf bank_mask:0xf
	s_delay_alu instid0(VALU_DEP_1) | instskip(NEXT) | instid1(VALU_DEP_1)
	v_cndmask_b32_e64 v34, v34, 0, s4
	v_add_nc_u32_e32 v33, v34, v33
	s_delay_alu instid0(VALU_DEP_1) | instskip(NEXT) | instid1(VALU_DEP_1)
	v_mov_b32_dpp v34, v33 row_shr:2 row_mask:0xf bank_mask:0xf
	v_cndmask_b32_e64 v34, 0, v34, s5
	s_delay_alu instid0(VALU_DEP_1) | instskip(NEXT) | instid1(VALU_DEP_1)
	v_add_nc_u32_e32 v33, v33, v34
	v_mov_b32_dpp v34, v33 row_shr:4 row_mask:0xf bank_mask:0xf
	s_delay_alu instid0(VALU_DEP_1) | instskip(NEXT) | instid1(VALU_DEP_1)
	v_cndmask_b32_e64 v34, 0, v34, s3
	v_add_nc_u32_e32 v33, v33, v34
	s_delay_alu instid0(VALU_DEP_1) | instskip(NEXT) | instid1(VALU_DEP_1)
	v_mov_b32_dpp v34, v33 row_shr:8 row_mask:0xf bank_mask:0xf
	v_cndmask_b32_e64 v34, 0, v34, s2
	s_delay_alu instid0(VALU_DEP_1)
	v_add_nc_u32_e32 v33, v33, v34
	ds_store_b32 v22, v33
.LBB49_55:
	s_wait_alu 0xfffe
	s_or_b32 exec_lo, exec_lo, s8
	s_delay_alu instid0(SALU_CYCLE_1)
	s_mov_b32 s9, exec_lo
	v_cmp_gt_u32_e32 vcc_lo, 32, v0
	s_wait_loadcnt_dscnt 0x0
	s_barrier_signal -1
	s_barrier_wait -1
	global_inv scope:SCOPE_SE
                                        ; implicit-def: $vgpr44
	v_cmpx_lt_u32_e32 31, v0
	s_cbranch_execz .LBB49_57
; %bb.56:
	v_lshl_add_u32 v22, v63, 2, -4
	ds_load_b32 v44, v22
	s_wait_dscnt 0x0
	v_add_nc_u32_e32 v21, v44, v21
.LBB49_57:
	s_wait_alu 0xfffe
	s_or_b32 exec_lo, exec_lo, s9
	v_sub_co_u32 v22, s8, v62, 1
	s_delay_alu instid0(VALU_DEP_1) | instskip(SKIP_1) | instid1(VALU_DEP_1)
	v_cmp_gt_i32_e64 s9, 0, v22
	s_wait_alu 0xf1ff
	v_cndmask_b32_e64 v22, v22, v62, s9
	s_delay_alu instid0(VALU_DEP_1)
	v_lshlrev_b32_e32 v22, 2, v22
	ds_bpermute_b32 v46, v22, v21
	s_and_saveexec_b32 s9, vcc_lo
	s_cbranch_execz .LBB49_75
; %bb.58:
	v_mov_b32_e32 v35, 0
	ds_load_b32 v21, v35 offset:44
	s_and_saveexec_b32 s16, s8
	s_cbranch_execz .LBB49_60
; %bb.59:
	s_add_co_i32 s20, ttmp9, 32
	s_mov_b32 s21, 0
	v_mov_b32_e32 v22, 1
	s_wait_alu 0xfffe
	s_lshl_b64 s[20:21], s[20:21], 3
	s_wait_kmcnt 0x0
	s_wait_alu 0xfffe
	s_add_nc_u64 s[20:21], s[14:15], s[20:21]
	s_wait_dscnt 0x0
	global_store_b64 v35, v[21:22], s[20:21] scope:SCOPE_DEV
.LBB49_60:
	s_or_b32 exec_lo, exec_lo, s16
	v_xad_u32 v33, v62, -1, ttmp9
	s_mov_b32 s16, exec_lo
	s_delay_alu instid0(VALU_DEP_1) | instskip(NEXT) | instid1(VALU_DEP_1)
	v_add_nc_u32_e32 v34, 32, v33
	v_lshlrev_b64_e32 v[34:35], 3, v[34:35]
	s_wait_kmcnt 0x0
	s_delay_alu instid0(VALU_DEP_1) | instskip(SKIP_1) | instid1(VALU_DEP_2)
	v_add_co_u32 v42, vcc_lo, s14, v34
	s_wait_alu 0xfffd
	v_add_co_ci_u32_e64 v43, null, s15, v35, vcc_lo
	global_load_b64 v[35:36], v[42:43], off scope:SCOPE_DEV
	s_wait_loadcnt 0x0
	v_and_b32_e32 v22, 0xff, v36
	s_delay_alu instid0(VALU_DEP_1)
	v_cmpx_eq_u16_e32 0, v22
	s_cbranch_execz .LBB49_63
.LBB49_61:                              ; =>This Inner Loop Header: Depth=1
	global_load_b64 v[35:36], v[42:43], off scope:SCOPE_DEV
	s_wait_loadcnt 0x0
	v_and_b32_e32 v22, 0xff, v36
	s_delay_alu instid0(VALU_DEP_1) | instskip(SKIP_1) | instid1(SALU_CYCLE_1)
	v_cmp_ne_u16_e32 vcc_lo, 0, v22
	s_or_b32 s17, vcc_lo, s17
	s_and_not1_b32 exec_lo, exec_lo, s17
	s_cbranch_execnz .LBB49_61
; %bb.62:
	s_or_b32 exec_lo, exec_lo, s17
.LBB49_63:
	s_delay_alu instid0(SALU_CYCLE_1)
	s_or_b32 exec_lo, exec_lo, s16
	v_cmp_ne_u32_e32 vcc_lo, 31, v62
	v_lshlrev_b32_e64 v50, v62, -1
	v_add_nc_u32_e32 v65, 2, v62
	v_add_nc_u32_e32 v67, 4, v62
	;; [unrolled: 1-line block ×3, first 2 shown]
	s_wait_alu 0xfffd
	v_add_co_ci_u32_e64 v22, null, 0, v62, vcc_lo
	v_lshl_or_b32 v70, v62, 2, 64
	v_add_nc_u32_e32 v71, 16, v62
	s_delay_alu instid0(VALU_DEP_3)
	v_lshlrev_b32_e32 v48, 2, v22
	v_and_b32_e32 v22, 0xff, v36
	ds_bpermute_b32 v34, v48, v35
	v_cmp_eq_u16_e32 vcc_lo, 2, v22
	s_wait_alu 0xfffd
	v_and_or_b32 v22, vcc_lo, v50, 0x80000000
	v_cmp_gt_u32_e32 vcc_lo, 30, v62
	s_delay_alu instid0(VALU_DEP_2) | instskip(SKIP_2) | instid1(VALU_DEP_2)
	v_ctz_i32_b32_e32 v22, v22
	s_wait_alu 0xfffd
	v_cndmask_b32_e64 v42, 0, 2, vcc_lo
	v_cmp_lt_u32_e32 vcc_lo, v62, v22
	s_delay_alu instid0(VALU_DEP_2) | instskip(SKIP_4) | instid1(VALU_DEP_2)
	v_add_lshl_u32 v52, v42, v62, 2
	s_wait_dscnt 0x0
	s_wait_alu 0xfffd
	v_cndmask_b32_e32 v34, 0, v34, vcc_lo
	v_cmp_gt_u32_e32 vcc_lo, 28, v62
	v_add_nc_u32_e32 v34, v34, v35
	s_wait_alu 0xfffd
	v_cndmask_b32_e64 v42, 0, 4, vcc_lo
	v_cmp_le_u32_e32 vcc_lo, v65, v22
	ds_bpermute_b32 v35, v52, v34
	v_add_lshl_u32 v66, v42, v62, 2
	s_wait_dscnt 0x0
	s_wait_alu 0xfffd
	v_cndmask_b32_e32 v35, 0, v35, vcc_lo
	v_cmp_gt_u32_e32 vcc_lo, 24, v62
	s_delay_alu instid0(VALU_DEP_2)
	v_add_nc_u32_e32 v34, v34, v35
	s_wait_alu 0xfffd
	v_cndmask_b32_e64 v42, 0, 8, vcc_lo
	v_cmp_le_u32_e32 vcc_lo, v67, v22
	ds_bpermute_b32 v35, v66, v34
	v_add_lshl_u32 v68, v42, v62, 2
	s_wait_dscnt 0x0
	s_wait_alu 0xfffd
	v_cndmask_b32_e32 v35, 0, v35, vcc_lo
	v_cmp_le_u32_e32 vcc_lo, v69, v22
	s_delay_alu instid0(VALU_DEP_2)
	v_add_nc_u32_e32 v34, v34, v35
	ds_bpermute_b32 v35, v68, v34
	s_wait_dscnt 0x0
	s_wait_alu 0xfffd
	v_cndmask_b32_e32 v35, 0, v35, vcc_lo
	v_cmp_le_u32_e32 vcc_lo, v71, v22
	s_delay_alu instid0(VALU_DEP_2) | instskip(SKIP_4) | instid1(VALU_DEP_1)
	v_add_nc_u32_e32 v34, v34, v35
	ds_bpermute_b32 v35, v70, v34
	s_wait_dscnt 0x0
	s_wait_alu 0xfffd
	v_cndmask_b32_e32 v22, 0, v35, vcc_lo
	v_dual_mov_b32 v34, 0 :: v_dual_add_nc_u32 v35, v34, v22
	s_branch .LBB49_66
.LBB49_64:                              ;   in Loop: Header=BB49_66 Depth=1
	s_or_b32 exec_lo, exec_lo, s16
	ds_bpermute_b32 v43, v48, v35
	v_and_b32_e32 v42, 0xff, v36
	v_subrev_nc_u32_e32 v33, 32, v33
	s_mov_b32 s16, 0
	s_delay_alu instid0(VALU_DEP_2) | instskip(SKIP_2) | instid1(VALU_DEP_1)
	v_cmp_eq_u16_e32 vcc_lo, 2, v42
	s_wait_alu 0xfffd
	v_and_or_b32 v42, vcc_lo, v50, 0x80000000
	v_ctz_i32_b32_e32 v42, v42
	s_delay_alu instid0(VALU_DEP_1) | instskip(SKIP_4) | instid1(VALU_DEP_2)
	v_cmp_lt_u32_e32 vcc_lo, v62, v42
	s_wait_dscnt 0x0
	s_wait_alu 0xfffd
	v_cndmask_b32_e32 v43, 0, v43, vcc_lo
	v_cmp_le_u32_e32 vcc_lo, v65, v42
	v_add_nc_u32_e32 v35, v43, v35
	ds_bpermute_b32 v43, v52, v35
	s_wait_dscnt 0x0
	s_wait_alu 0xfffd
	v_cndmask_b32_e32 v43, 0, v43, vcc_lo
	v_cmp_le_u32_e32 vcc_lo, v67, v42
	s_delay_alu instid0(VALU_DEP_2)
	v_add_nc_u32_e32 v35, v35, v43
	ds_bpermute_b32 v43, v66, v35
	s_wait_dscnt 0x0
	s_wait_alu 0xfffd
	v_cndmask_b32_e32 v43, 0, v43, vcc_lo
	v_cmp_le_u32_e32 vcc_lo, v69, v42
	s_delay_alu instid0(VALU_DEP_2)
	v_add_nc_u32_e32 v35, v35, v43
	ds_bpermute_b32 v43, v68, v35
	s_wait_dscnt 0x0
	s_wait_alu 0xfffd
	v_cndmask_b32_e32 v43, 0, v43, vcc_lo
	v_cmp_le_u32_e32 vcc_lo, v71, v42
	s_delay_alu instid0(VALU_DEP_2) | instskip(SKIP_4) | instid1(VALU_DEP_1)
	v_add_nc_u32_e32 v35, v35, v43
	ds_bpermute_b32 v43, v70, v35
	s_wait_dscnt 0x0
	s_wait_alu 0xfffd
	v_cndmask_b32_e32 v42, 0, v43, vcc_lo
	v_add3_u32 v35, v42, v22, v35
.LBB49_65:                              ;   in Loop: Header=BB49_66 Depth=1
	s_and_b32 vcc_lo, exec_lo, s16
	s_wait_alu 0xfffe
	s_cbranch_vccnz .LBB49_71
.LBB49_66:                              ; =>This Loop Header: Depth=1
                                        ;     Child Loop BB49_69 Depth 2
	v_and_b32_e32 v22, 0xff, v36
	s_mov_b32 s16, -1
                                        ; implicit-def: $vgpr36
	s_delay_alu instid0(VALU_DEP_1)
	v_cmp_ne_u16_e32 vcc_lo, 2, v22
	v_mov_b32_e32 v22, v35
                                        ; implicit-def: $vgpr35
	s_cmp_lg_u32 vcc_lo, exec_lo
	s_cbranch_scc1 .LBB49_65
; %bb.67:                               ;   in Loop: Header=BB49_66 Depth=1
	v_lshlrev_b64_e32 v[35:36], 3, v[33:34]
	s_mov_b32 s16, exec_lo
	s_delay_alu instid0(VALU_DEP_1) | instskip(SKIP_1) | instid1(VALU_DEP_2)
	v_add_co_u32 v42, vcc_lo, s14, v35
	s_wait_alu 0xfffd
	v_add_co_ci_u32_e64 v43, null, s15, v36, vcc_lo
	global_load_b64 v[35:36], v[42:43], off scope:SCOPE_DEV
	s_wait_loadcnt 0x0
	v_and_b32_e32 v72, 0xff, v36
	s_delay_alu instid0(VALU_DEP_1)
	v_cmpx_eq_u16_e32 0, v72
	s_cbranch_execz .LBB49_64
; %bb.68:                               ;   in Loop: Header=BB49_66 Depth=1
	s_mov_b32 s17, 0
.LBB49_69:                              ;   Parent Loop BB49_66 Depth=1
                                        ; =>  This Inner Loop Header: Depth=2
	global_load_b64 v[35:36], v[42:43], off scope:SCOPE_DEV
	s_wait_loadcnt 0x0
	v_and_b32_e32 v72, 0xff, v36
	s_delay_alu instid0(VALU_DEP_1) | instskip(SKIP_1) | instid1(SALU_CYCLE_1)
	v_cmp_ne_u16_e32 vcc_lo, 0, v72
	s_or_b32 s17, vcc_lo, s17
	s_and_not1_b32 exec_lo, exec_lo, s17
	s_cbranch_execnz .LBB49_69
; %bb.70:                               ;   in Loop: Header=BB49_66 Depth=1
	s_or_b32 exec_lo, exec_lo, s17
	s_branch .LBB49_64
.LBB49_71:
	s_and_saveexec_b32 s16, s8
	s_cbranch_execz .LBB49_73
; %bb.72:
	s_add_co_i32 s20, ttmp9, 32
	s_mov_b32 s21, 0
	v_dual_mov_b32 v34, 2 :: v_dual_add_nc_u32 v33, v22, v21
	v_mov_b32_e32 v35, 0
	s_wait_alu 0xfffe
	s_lshl_b64 s[20:21], s[20:21], 3
	s_wait_alu 0xfffe
	s_add_nc_u64 s[20:21], s[14:15], s[20:21]
	global_store_b64 v35, v[33:34], s[20:21] scope:SCOPE_DEV
	ds_store_b64 v35, v[21:22] offset:25344
.LBB49_73:
	s_or_b32 exec_lo, exec_lo, s16
	v_cmp_eq_u32_e32 vcc_lo, 0, v0
	s_and_b32 exec_lo, exec_lo, vcc_lo
; %bb.74:
	v_mov_b32_e32 v21, 0
	ds_store_b32 v21, v22 offset:44
.LBB49_75:
	s_wait_alu 0xfffe
	s_or_b32 exec_lo, exec_lo, s9
	s_wait_dscnt 0x0
	v_cndmask_b32_e64 v33, v46, v44, s8
	v_cmp_ne_u32_e32 vcc_lo, 0, v0
	s_wait_loadcnt 0x0
	s_wait_storecnt 0x0
	s_barrier_signal -1
	s_barrier_wait -1
	global_inv scope:SCOPE_SE
	s_wait_alu 0xfffd
	v_cndmask_b32_e32 v33, 0, v33, vcc_lo
	v_mov_b32_e32 v21, 0
	s_mov_b32 s9, 0
	ds_load_b32 v22, v21 offset:44
	s_wait_loadcnt_dscnt 0x0
	s_barrier_signal -1
	s_barrier_wait -1
	global_inv scope:SCOPE_SE
	v_add_nc_u32_e32 v52, v22, v33
	ds_load_b64 v[21:22], v21 offset:25344
	v_add_nc_u32_e32 v50, v52, v45
	s_delay_alu instid0(VALU_DEP_1) | instskip(NEXT) | instid1(VALU_DEP_1)
	v_add_nc_u32_e32 v48, v50, v47
	v_add_nc_u32_e32 v46, v48, v49
	s_delay_alu instid0(VALU_DEP_1) | instskip(SKIP_2) | instid1(VALU_DEP_2)
	v_add_nc_u32_e32 v44, v46, v51
	s_wait_dscnt 0x0
	v_readfirstlane_b32 s8, v22
	v_add_nc_u32_e32 v42, v44, v53
	s_delay_alu instid0(VALU_DEP_1) | instskip(NEXT) | instid1(VALU_DEP_1)
	v_add_nc_u32_e32 v35, v42, v60
	v_add_nc_u32_e32 v33, v35, v61
.LBB49_76:
	s_wait_alu 0xfffe
	s_and_b32 vcc_lo, exec_lo, s9
	s_wait_alu 0xfffe
	s_cbranch_vccz .LBB49_86
; %bb.77:
	v_mov_b32_dpp v21, v64 row_shr:1 row_mask:0xf bank_mask:0xf
	s_delay_alu instid0(VALU_DEP_1) | instskip(NEXT) | instid1(VALU_DEP_1)
	v_cndmask_b32_e64 v21, v21, 0, s4
	v_add_nc_u32_e32 v21, v21, v64
	s_delay_alu instid0(VALU_DEP_1) | instskip(NEXT) | instid1(VALU_DEP_1)
	v_mov_b32_dpp v22, v21 row_shr:2 row_mask:0xf bank_mask:0xf
	v_cndmask_b32_e64 v22, 0, v22, s5
	s_delay_alu instid0(VALU_DEP_1) | instskip(NEXT) | instid1(VALU_DEP_1)
	v_add_nc_u32_e32 v21, v21, v22
	v_mov_b32_dpp v22, v21 row_shr:4 row_mask:0xf bank_mask:0xf
	s_delay_alu instid0(VALU_DEP_1) | instskip(NEXT) | instid1(VALU_DEP_1)
	v_cndmask_b32_e64 v22, 0, v22, s3
	v_add_nc_u32_e32 v21, v21, v22
	s_delay_alu instid0(VALU_DEP_1) | instskip(NEXT) | instid1(VALU_DEP_1)
	v_mov_b32_dpp v22, v21 row_shr:8 row_mask:0xf bank_mask:0xf
	v_cndmask_b32_e64 v22, 0, v22, s2
	s_delay_alu instid0(VALU_DEP_1) | instskip(SKIP_3) | instid1(VALU_DEP_1)
	v_add_nc_u32_e32 v21, v21, v22
	ds_swizzle_b32 v22, v21 offset:swizzle(BROADCAST,32,15)
	s_wait_dscnt 0x0
	v_cndmask_b32_e64 v22, v22, 0, s7
	v_add_nc_u32_e32 v21, v21, v22
	s_and_saveexec_b32 s7, s6
; %bb.78:
	v_lshlrev_b32_e32 v22, 2, v63
	ds_store_b32 v22, v21
; %bb.79:
	s_wait_alu 0xfffe
	s_or_b32 exec_lo, exec_lo, s7
	s_delay_alu instid0(SALU_CYCLE_1)
	s_mov_b32 s6, exec_lo
	s_wait_loadcnt_dscnt 0x0
	s_barrier_signal -1
	s_barrier_wait -1
	global_inv scope:SCOPE_SE
	v_cmpx_gt_u32_e32 12, v0
	s_cbranch_execz .LBB49_81
; %bb.80:
	v_lshlrev_b32_e32 v22, 2, v0
	ds_load_b32 v33, v22
	s_wait_dscnt 0x0
	v_mov_b32_dpp v34, v33 row_shr:1 row_mask:0xf bank_mask:0xf
	s_delay_alu instid0(VALU_DEP_1) | instskip(NEXT) | instid1(VALU_DEP_1)
	v_cndmask_b32_e64 v34, v34, 0, s4
	v_add_nc_u32_e32 v33, v34, v33
	s_delay_alu instid0(VALU_DEP_1) | instskip(NEXT) | instid1(VALU_DEP_1)
	v_mov_b32_dpp v34, v33 row_shr:2 row_mask:0xf bank_mask:0xf
	v_cndmask_b32_e64 v34, 0, v34, s5
	s_delay_alu instid0(VALU_DEP_1) | instskip(NEXT) | instid1(VALU_DEP_1)
	v_add_nc_u32_e32 v33, v33, v34
	v_mov_b32_dpp v34, v33 row_shr:4 row_mask:0xf bank_mask:0xf
	s_delay_alu instid0(VALU_DEP_1) | instskip(NEXT) | instid1(VALU_DEP_1)
	v_cndmask_b32_e64 v34, 0, v34, s3
	v_add_nc_u32_e32 v33, v33, v34
	s_delay_alu instid0(VALU_DEP_1) | instskip(NEXT) | instid1(VALU_DEP_1)
	v_mov_b32_dpp v34, v33 row_shr:8 row_mask:0xf bank_mask:0xf
	v_cndmask_b32_e64 v34, 0, v34, s2
	s_delay_alu instid0(VALU_DEP_1)
	v_add_nc_u32_e32 v33, v33, v34
	ds_store_b32 v22, v33
.LBB49_81:
	s_wait_alu 0xfffe
	s_or_b32 exec_lo, exec_lo, s6
	v_dual_mov_b32 v22, 0 :: v_dual_mov_b32 v33, 0
	s_mov_b32 s2, exec_lo
	s_wait_loadcnt_dscnt 0x0
	s_barrier_signal -1
	s_barrier_wait -1
	global_inv scope:SCOPE_SE
	v_cmpx_lt_u32_e32 31, v0
; %bb.82:
	v_lshl_add_u32 v33, v63, 2, -4
	ds_load_b32 v33, v33
; %bb.83:
	s_wait_alu 0xfffe
	s_or_b32 exec_lo, exec_lo, s2
	v_sub_co_u32 v34, vcc_lo, v62, 1
	s_wait_dscnt 0x0
	v_add_nc_u32_e32 v21, v33, v21
	s_mov_b32 s8, 0
	s_delay_alu instid0(VALU_DEP_2) | instskip(SKIP_1) | instid1(VALU_DEP_1)
	v_cmp_gt_i32_e64 s2, 0, v34
	s_wait_alu 0xf1ff
	v_cndmask_b32_e64 v34, v34, v62, s2
	v_cmp_eq_u32_e64 s2, 0, v0
	s_delay_alu instid0(VALU_DEP_2)
	v_lshlrev_b32_e32 v34, 2, v34
	ds_bpermute_b32 v34, v34, v21
	ds_load_b32 v21, v22 offset:44
	s_and_saveexec_b32 s3, s2
	s_cbranch_execz .LBB49_85
; %bb.84:
	v_dual_mov_b32 v35, 0 :: v_dual_mov_b32 v22, 2
	s_wait_dscnt 0x0
	s_wait_kmcnt 0x0
	global_store_b64 v35, v[21:22], s[14:15] offset:256 scope:SCOPE_DEV
.LBB49_85:
	s_wait_alu 0xfffe
	s_or_b32 exec_lo, exec_lo, s3
	s_wait_dscnt 0x1
	s_wait_alu 0xfffd
	v_cndmask_b32_e32 v22, v34, v33, vcc_lo
	s_wait_storecnt 0x0
	s_wait_loadcnt_dscnt 0x0
	s_barrier_signal -1
	s_barrier_wait -1
	global_inv scope:SCOPE_SE
	v_cndmask_b32_e64 v52, v22, 0, s2
	s_delay_alu instid0(VALU_DEP_1) | instskip(NEXT) | instid1(VALU_DEP_1)
	v_add_nc_u32_e32 v50, v52, v45
	v_add_nc_u32_e32 v48, v50, v47
	s_delay_alu instid0(VALU_DEP_1) | instskip(NEXT) | instid1(VALU_DEP_1)
	v_add_nc_u32_e32 v46, v48, v49
	v_add_nc_u32_e32 v44, v46, v51
	;; [unrolled: 3-line block ×3, first 2 shown]
	s_delay_alu instid0(VALU_DEP_1)
	v_add_nc_u32_e32 v33, v35, v61
.LBB49_86:
	s_load_b128 s[4:7], s[0:1], 0x28
	v_add_nc_u32_e32 v60, s8, v21
	v_and_b32_e32 v22, 1, v39
	v_cmp_gt_u32_e64 s0, 0x181, v21
	s_mov_b32 s3, -1
	v_cmp_lt_u32_e64 s1, v52, v60
	v_cmp_eq_u32_e64 s2, 1, v22
	s_and_b32 vcc_lo, exec_lo, s0
	s_wait_alu 0xfffe
	s_cbranch_vccz .LBB49_104
; %bb.87:
	s_or_b32 s1, s19, s1
	s_wait_alu 0xfffe
	s_and_b32 s2, s1, s2
	s_wait_alu 0xfffe
	s_and_saveexec_b32 s1, s2
	s_cbranch_execz .LBB49_89
; %bb.88:
	v_mov_b32_e32 v53, 0
	s_wait_kmcnt 0x0
	s_lshl_b64 s[2:3], s[10:11], 3
	s_wait_alu 0xfffe
	s_add_nc_u64 s[2:3], s[4:5], s[2:3]
	v_lshlrev_b64_e32 v[61:62], 3, v[52:53]
	s_wait_alu 0xfffe
	s_delay_alu instid0(VALU_DEP_1) | instskip(SKIP_1) | instid1(VALU_DEP_2)
	v_add_co_u32 v61, vcc_lo, s2, v61
	s_wait_alu 0xfffd
	v_add_co_ci_u32_e64 v62, null, s3, v62, vcc_lo
	global_store_b64 v[61:62], v[29:30], off
.LBB49_89:
	s_wait_alu 0xfffe
	s_or_b32 exec_lo, exec_lo, s1
	v_and_b32_e32 v34, 1, v59
	v_cmp_lt_u32_e32 vcc_lo, v50, v60
	s_delay_alu instid0(VALU_DEP_2)
	v_cmp_eq_u32_e64 s1, 1, v34
	s_or_b32 s2, s19, vcc_lo
	s_wait_alu 0xfffe
	s_and_b32 s2, s2, s1
	s_wait_alu 0xfffe
	s_and_saveexec_b32 s1, s2
	s_cbranch_execz .LBB49_91
; %bb.90:
	v_mov_b32_e32 v51, 0
	s_wait_kmcnt 0x0
	s_lshl_b64 s[2:3], s[10:11], 3
	s_wait_alu 0xfffe
	s_add_nc_u64 s[2:3], s[4:5], s[2:3]
	v_lshlrev_b64_e32 v[61:62], 3, v[50:51]
	s_wait_alu 0xfffe
	s_delay_alu instid0(VALU_DEP_1) | instskip(SKIP_1) | instid1(VALU_DEP_2)
	v_add_co_u32 v61, vcc_lo, s2, v61
	s_wait_alu 0xfffd
	v_add_co_ci_u32_e64 v62, null, s3, v62, vcc_lo
	global_store_b64 v[61:62], v[31:32], off
.LBB49_91:
	s_wait_alu 0xfffe
	s_or_b32 exec_lo, exec_lo, s1
	v_and_b32_e32 v34, 1, v58
	v_cmp_lt_u32_e32 vcc_lo, v48, v60
	s_delay_alu instid0(VALU_DEP_2)
	v_cmp_eq_u32_e64 s1, 1, v34
	s_or_b32 s2, s19, vcc_lo
	;; [unrolled: 26-line block ×7, first 2 shown]
	s_wait_alu 0xfffe
	s_and_b32 s2, s2, s1
	s_wait_alu 0xfffe
	s_and_saveexec_b32 s1, s2
	s_cbranch_execz .LBB49_103
; %bb.102:
	v_mov_b32_e32 v34, 0
	s_wait_kmcnt 0x0
	s_lshl_b64 s[2:3], s[10:11], 3
	s_wait_alu 0xfffe
	s_add_nc_u64 s[2:3], s[4:5], s[2:3]
	v_lshlrev_b64_e32 v[61:62], 3, v[33:34]
	s_wait_alu 0xfffe
	s_delay_alu instid0(VALU_DEP_1) | instskip(SKIP_1) | instid1(VALU_DEP_2)
	v_add_co_u32 v61, vcc_lo, s2, v61
	s_wait_alu 0xfffd
	v_add_co_ci_u32_e64 v62, null, s3, v62, vcc_lo
	global_store_b64 v[61:62], v[37:38], off
.LBB49_103:
	s_wait_alu 0xfffe
	s_or_b32 exec_lo, exec_lo, s1
	s_mov_b32 s3, 0
.LBB49_104:
	s_wait_alu 0xfffe
	s_and_b32 vcc_lo, exec_lo, s3
	s_wait_alu 0xfffe
	s_cbranch_vccz .LBB49_125
; %bb.105:
	s_mov_b32 s1, exec_lo
	v_cmpx_eq_u32_e32 1, v22
; %bb.106:
	v_subrev_nc_u32_e32 v34, s8, v52
	s_delay_alu instid0(VALU_DEP_1)
	v_lshlrev_b32_e32 v34, 3, v34
	ds_store_b64 v34, v[29:30]
; %bb.107:
	s_wait_alu 0xfffe
	s_or_b32 exec_lo, exec_lo, s1
	v_and_b32_e32 v29, 1, v59
	s_mov_b32 s1, exec_lo
	s_delay_alu instid0(VALU_DEP_1)
	v_cmpx_eq_u32_e32 1, v29
; %bb.108:
	v_subrev_nc_u32_e32 v29, s8, v50
	s_delay_alu instid0(VALU_DEP_1)
	v_lshlrev_b32_e32 v29, 3, v29
	ds_store_b64 v29, v[31:32]
; %bb.109:
	s_wait_alu 0xfffe
	s_or_b32 exec_lo, exec_lo, s1
	v_and_b32_e32 v29, 1, v58
	s_mov_b32 s1, exec_lo
	s_delay_alu instid0(VALU_DEP_1)
	;; [unrolled: 12-line block ×7, first 2 shown]
	v_cmpx_eq_u32_e32 1, v17
; %bb.120:
	v_subrev_nc_u32_e32 v17, s8, v33
	s_delay_alu instid0(VALU_DEP_1)
	v_lshlrev_b32_e32 v17, 3, v17
	ds_store_b64 v17, v[37:38]
; %bb.121:
	s_wait_alu 0xfffe
	s_or_b32 exec_lo, exec_lo, s1
	s_wait_kmcnt 0x0
	s_mov_b32 s14, exec_lo
	s_wait_storecnt 0x0
	s_wait_loadcnt_dscnt 0x0
	s_barrier_signal -1
	s_barrier_wait -1
	global_inv scope:SCOPE_SE
	v_cmpx_lt_u32_e64 v0, v21
	s_cbranch_execz .LBB49_124
; %bb.122:
	s_mov_b32 s9, 0
	v_dual_mov_b32 v18, 0 :: v_dual_mov_b32 v19, v54
	s_wait_alu 0xfffe
	s_lshl_b64 s[2:3], s[8:9], 3
	v_mov_b32_e32 v17, v0
	s_wait_alu 0xfffe
	s_add_nc_u64 s[2:3], s[4:5], s[2:3]
	s_lshl_b64 s[4:5], s[10:11], 3
	s_wait_alu 0xfffe
	s_add_nc_u64 s[2:3], s[2:3], s[4:5]
.LBB49_123:                             ; =>This Inner Loop Header: Depth=1
	ds_load_b64 v[23:24], v19
	v_lshlrev_b64_e32 v[25:26], 3, v[17:18]
	v_add_nc_u32_e32 v17, 0x180, v17
	v_add_nc_u32_e32 v19, 0xc00, v19
	s_delay_alu instid0(VALU_DEP_2) | instskip(SKIP_1) | instid1(VALU_DEP_4)
	v_cmp_ge_u32_e32 vcc_lo, v17, v21
	s_wait_alu 0xfffe
	v_add_co_u32 v25, s1, s2, v25
	s_wait_alu 0xf1ff
	v_add_co_ci_u32_e64 v26, null, s3, v26, s1
	s_or_b32 s9, vcc_lo, s9
	s_wait_dscnt 0x0
	global_store_b64 v[25:26], v[23:24], off
	s_wait_alu 0xfffe
	s_and_not1_b32 exec_lo, exec_lo, s9
	s_cbranch_execnz .LBB49_123
.LBB49_124:
	s_wait_alu 0xfffe
	s_or_b32 exec_lo, exec_lo, s14
.LBB49_125:
	s_delay_alu instid0(SALU_CYCLE_1)
	s_and_b32 vcc_lo, exec_lo, s0
	s_mov_b32 s0, -1
	s_wait_loadcnt 0x0
	s_wait_storecnt 0x0
	s_barrier_signal -1
	s_barrier_wait -1
	global_inv scope:SCOPE_SE
	s_wait_alu 0xfffe
	s_cbranch_vccnz .LBB49_129
; %bb.126:
	s_and_b32 vcc_lo, exec_lo, s0
	s_wait_alu 0xfffe
	s_cbranch_vccnz .LBB49_146
.LBB49_127:
	v_cmp_eq_u32_e32 vcc_lo, 0, v0
	s_and_b32 s0, vcc_lo, s18
	s_wait_alu 0xfffe
	s_and_saveexec_b32 s1, s0
	s_cbranch_execnz .LBB49_166
.LBB49_128:
	s_endpgm
.LBB49_129:
	v_cmp_lt_u32_e32 vcc_lo, v52, v60
	v_cmp_eq_u32_e64 s0, 1, v22
	s_or_b32 s1, s19, vcc_lo
	s_wait_alu 0xfffe
	s_and_b32 s1, s1, s0
	s_wait_alu 0xfffe
	s_and_saveexec_b32 s0, s1
	s_cbranch_execz .LBB49_131
; %bb.130:
	v_mov_b32_e32 v53, 0
	s_wait_kmcnt 0x0
	s_lshl_b64 s[2:3], s[10:11], 3
	s_wait_alu 0xfffe
	s_add_nc_u64 s[2:3], s[6:7], s[2:3]
	v_lshlrev_b64_e32 v[17:18], 3, v[52:53]
	s_wait_alu 0xfffe
	s_delay_alu instid0(VALU_DEP_1) | instskip(SKIP_1) | instid1(VALU_DEP_2)
	v_add_co_u32 v17, vcc_lo, s2, v17
	s_wait_alu 0xfffd
	v_add_co_ci_u32_e64 v18, null, s3, v18, vcc_lo
	global_store_b64 v[17:18], v[13:14], off
.LBB49_131:
	s_wait_alu 0xfffe
	s_or_b32 exec_lo, exec_lo, s0
	v_and_b32_e32 v17, 1, v59
	v_cmp_lt_u32_e32 vcc_lo, v50, v60
	s_delay_alu instid0(VALU_DEP_2)
	v_cmp_eq_u32_e64 s0, 1, v17
	s_or_b32 s1, s19, vcc_lo
	s_wait_alu 0xfffe
	s_and_b32 s1, s1, s0
	s_wait_alu 0xfffe
	s_and_saveexec_b32 s0, s1
	s_cbranch_execz .LBB49_133
; %bb.132:
	v_mov_b32_e32 v51, 0
	s_wait_kmcnt 0x0
	s_lshl_b64 s[2:3], s[10:11], 3
	s_wait_alu 0xfffe
	s_add_nc_u64 s[2:3], s[6:7], s[2:3]
	v_lshlrev_b64_e32 v[17:18], 3, v[50:51]
	s_wait_alu 0xfffe
	s_delay_alu instid0(VALU_DEP_1) | instskip(SKIP_1) | instid1(VALU_DEP_2)
	v_add_co_u32 v17, vcc_lo, s2, v17
	s_wait_alu 0xfffd
	v_add_co_ci_u32_e64 v18, null, s3, v18, vcc_lo
	global_store_b64 v[17:18], v[15:16], off
.LBB49_133:
	s_wait_alu 0xfffe
	s_or_b32 exec_lo, exec_lo, s0
	v_and_b32_e32 v17, 1, v58
	v_cmp_lt_u32_e32 vcc_lo, v48, v60
	s_delay_alu instid0(VALU_DEP_2)
	;; [unrolled: 26-line block ×7, first 2 shown]
	v_cmp_eq_u32_e64 s0, 1, v17
	s_or_b32 s1, s19, vcc_lo
	s_wait_alu 0xfffe
	s_and_b32 s1, s1, s0
	s_wait_alu 0xfffe
	s_and_saveexec_b32 s0, s1
	s_cbranch_execz .LBB49_145
; %bb.144:
	v_mov_b32_e32 v34, 0
	s_wait_kmcnt 0x0
	s_lshl_b64 s[2:3], s[10:11], 3
	s_wait_alu 0xfffe
	s_add_nc_u64 s[2:3], s[6:7], s[2:3]
	v_lshlrev_b64_e32 v[17:18], 3, v[33:34]
	s_wait_alu 0xfffe
	s_delay_alu instid0(VALU_DEP_1) | instskip(SKIP_1) | instid1(VALU_DEP_2)
	v_add_co_u32 v17, vcc_lo, s2, v17
	s_wait_alu 0xfffd
	v_add_co_ci_u32_e64 v18, null, s3, v18, vcc_lo
	global_store_b64 v[17:18], v[3:4], off
.LBB49_145:
	s_wait_alu 0xfffe
	s_or_b32 exec_lo, exec_lo, s0
	s_branch .LBB49_127
.LBB49_146:
	s_mov_b32 s0, exec_lo
	v_cmpx_eq_u32_e32 1, v22
; %bb.147:
	v_subrev_nc_u32_e32 v17, s8, v52
	s_delay_alu instid0(VALU_DEP_1)
	v_lshlrev_b32_e32 v17, 3, v17
	ds_store_b64 v17, v[13:14]
; %bb.148:
	s_wait_alu 0xfffe
	s_or_b32 exec_lo, exec_lo, s0
	v_and_b32_e32 v13, 1, v59
	s_mov_b32 s0, exec_lo
	s_delay_alu instid0(VALU_DEP_1)
	v_cmpx_eq_u32_e32 1, v13
; %bb.149:
	v_subrev_nc_u32_e32 v13, s8, v50
	s_delay_alu instid0(VALU_DEP_1)
	v_lshlrev_b32_e32 v13, 3, v13
	ds_store_b64 v13, v[15:16]
; %bb.150:
	s_wait_alu 0xfffe
	s_or_b32 exec_lo, exec_lo, s0
	v_and_b32_e32 v13, 1, v58
	s_mov_b32 s0, exec_lo
	s_delay_alu instid0(VALU_DEP_1)
	;; [unrolled: 12-line block ×7, first 2 shown]
	v_cmpx_eq_u32_e32 1, v1
; %bb.161:
	v_subrev_nc_u32_e32 v1, s8, v33
	s_delay_alu instid0(VALU_DEP_1)
	v_lshlrev_b32_e32 v1, 3, v1
	ds_store_b64 v1, v[3:4]
; %bb.162:
	s_wait_alu 0xfffe
	s_or_b32 exec_lo, exec_lo, s0
	s_delay_alu instid0(SALU_CYCLE_1)
	s_mov_b32 s1, exec_lo
	s_wait_storecnt 0x0
	s_wait_loadcnt_dscnt 0x0
	s_barrier_signal -1
	s_barrier_wait -1
	global_inv scope:SCOPE_SE
	v_cmpx_lt_u32_e64 v0, v21
	s_cbranch_execz .LBB49_165
; %bb.163:
	s_mov_b32 s9, 0
	v_dual_mov_b32 v2, 0 :: v_dual_mov_b32 v1, v0
	s_wait_alu 0xfffe
	s_lshl_b64 s[2:3], s[8:9], 3
	s_wait_kmcnt 0x0
	s_lshl_b64 s[4:5], s[10:11], 3
	s_wait_alu 0xfffe
	s_add_nc_u64 s[2:3], s[6:7], s[2:3]
	s_wait_alu 0xfffe
	s_add_nc_u64 s[2:3], s[2:3], s[4:5]
.LBB49_164:                             ; =>This Inner Loop Header: Depth=1
	ds_load_b64 v[3:4], v54
	v_lshlrev_b64_e32 v[5:6], 3, v[1:2]
	v_add_nc_u32_e32 v1, 0x180, v1
	v_add_nc_u32_e32 v54, 0xc00, v54
	s_delay_alu instid0(VALU_DEP_2) | instskip(SKIP_1) | instid1(VALU_DEP_4)
	v_cmp_ge_u32_e32 vcc_lo, v1, v21
	s_wait_alu 0xfffe
	v_add_co_u32 v5, s0, s2, v5
	s_wait_alu 0xf1ff
	v_add_co_ci_u32_e64 v6, null, s3, v6, s0
	s_or_b32 s9, vcc_lo, s9
	s_wait_dscnt 0x0
	global_store_b64 v[5:6], v[3:4], off
	s_wait_alu 0xfffe
	s_and_not1_b32 exec_lo, exec_lo, s9
	s_cbranch_execnz .LBB49_164
.LBB49_165:
	s_wait_alu 0xfffe
	s_or_b32 exec_lo, exec_lo, s1
	v_cmp_eq_u32_e32 vcc_lo, 0, v0
	s_and_b32 s0, vcc_lo, s18
	s_wait_alu 0xfffe
	s_and_saveexec_b32 s1, s0
	s_cbranch_execz .LBB49_128
.LBB49_166:
	s_wait_kmcnt 0x0
	v_add_co_u32 v0, s0, s10, v21
	s_wait_alu 0xf1ff
	v_add_co_ci_u32_e64 v1, null, s11, 0, s0
	v_mov_b32_e32 v2, 0
	s_delay_alu instid0(VALU_DEP_3) | instskip(SKIP_1) | instid1(VALU_DEP_3)
	v_add_co_u32 v0, vcc_lo, v0, s8
	s_wait_alu 0xfffd
	v_add_co_ci_u32_e64 v1, null, 0, v1, vcc_lo
	global_store_b64 v2, v[0:1], s[12:13]
	s_endpgm
	.section	.rodata,"a",@progbits
	.p2align	6, 0x0
	.amdhsa_kernel _ZN7rocprim17ROCPRIM_400000_NS6detail17trampoline_kernelINS0_14default_configENS1_25partition_config_selectorILNS1_17partition_subalgoE9EllbEEZZNS1_14partition_implILS5_9ELb0ES3_jPKlN6thrust23THRUST_200600_302600_NS17counting_iteratorIlNSB_11use_defaultESD_SD_EEPNS0_10empty_typeENS0_5tupleIJPlSF_EEENSH_IJSI_SG_EEENS0_18inequality_wrapperIN6hipcub16HIPCUB_304000_NS8EqualityEEESI_JSF_EEE10hipError_tPvRmT3_T4_T5_T6_T7_T9_mT8_P12ihipStream_tbDpT10_ENKUlT_T0_E_clISt17integral_constantIbLb0EES19_EEDaS14_S15_EUlS14_E_NS1_11comp_targetILNS1_3genE10ELNS1_11target_archE1200ELNS1_3gpuE4ELNS1_3repE0EEENS1_30default_config_static_selectorELNS0_4arch9wavefront6targetE0EEEvT1_
		.amdhsa_group_segment_fixed_size 25352
		.amdhsa_private_segment_fixed_size 0
		.amdhsa_kernarg_size 112
		.amdhsa_user_sgpr_count 2
		.amdhsa_user_sgpr_dispatch_ptr 0
		.amdhsa_user_sgpr_queue_ptr 0
		.amdhsa_user_sgpr_kernarg_segment_ptr 1
		.amdhsa_user_sgpr_dispatch_id 0
		.amdhsa_user_sgpr_private_segment_size 0
		.amdhsa_wavefront_size32 1
		.amdhsa_uses_dynamic_stack 0
		.amdhsa_enable_private_segment 0
		.amdhsa_system_sgpr_workgroup_id_x 1
		.amdhsa_system_sgpr_workgroup_id_y 0
		.amdhsa_system_sgpr_workgroup_id_z 0
		.amdhsa_system_sgpr_workgroup_info 0
		.amdhsa_system_vgpr_workitem_id 0
		.amdhsa_next_free_vgpr 73
		.amdhsa_next_free_sgpr 26
		.amdhsa_reserve_vcc 1
		.amdhsa_float_round_mode_32 0
		.amdhsa_float_round_mode_16_64 0
		.amdhsa_float_denorm_mode_32 3
		.amdhsa_float_denorm_mode_16_64 3
		.amdhsa_fp16_overflow 0
		.amdhsa_workgroup_processor_mode 1
		.amdhsa_memory_ordered 1
		.amdhsa_forward_progress 1
		.amdhsa_inst_pref_size 79
		.amdhsa_round_robin_scheduling 0
		.amdhsa_exception_fp_ieee_invalid_op 0
		.amdhsa_exception_fp_denorm_src 0
		.amdhsa_exception_fp_ieee_div_zero 0
		.amdhsa_exception_fp_ieee_overflow 0
		.amdhsa_exception_fp_ieee_underflow 0
		.amdhsa_exception_fp_ieee_inexact 0
		.amdhsa_exception_int_div_zero 0
	.end_amdhsa_kernel
	.section	.text._ZN7rocprim17ROCPRIM_400000_NS6detail17trampoline_kernelINS0_14default_configENS1_25partition_config_selectorILNS1_17partition_subalgoE9EllbEEZZNS1_14partition_implILS5_9ELb0ES3_jPKlN6thrust23THRUST_200600_302600_NS17counting_iteratorIlNSB_11use_defaultESD_SD_EEPNS0_10empty_typeENS0_5tupleIJPlSF_EEENSH_IJSI_SG_EEENS0_18inequality_wrapperIN6hipcub16HIPCUB_304000_NS8EqualityEEESI_JSF_EEE10hipError_tPvRmT3_T4_T5_T6_T7_T9_mT8_P12ihipStream_tbDpT10_ENKUlT_T0_E_clISt17integral_constantIbLb0EES19_EEDaS14_S15_EUlS14_E_NS1_11comp_targetILNS1_3genE10ELNS1_11target_archE1200ELNS1_3gpuE4ELNS1_3repE0EEENS1_30default_config_static_selectorELNS0_4arch9wavefront6targetE0EEEvT1_,"axG",@progbits,_ZN7rocprim17ROCPRIM_400000_NS6detail17trampoline_kernelINS0_14default_configENS1_25partition_config_selectorILNS1_17partition_subalgoE9EllbEEZZNS1_14partition_implILS5_9ELb0ES3_jPKlN6thrust23THRUST_200600_302600_NS17counting_iteratorIlNSB_11use_defaultESD_SD_EEPNS0_10empty_typeENS0_5tupleIJPlSF_EEENSH_IJSI_SG_EEENS0_18inequality_wrapperIN6hipcub16HIPCUB_304000_NS8EqualityEEESI_JSF_EEE10hipError_tPvRmT3_T4_T5_T6_T7_T9_mT8_P12ihipStream_tbDpT10_ENKUlT_T0_E_clISt17integral_constantIbLb0EES19_EEDaS14_S15_EUlS14_E_NS1_11comp_targetILNS1_3genE10ELNS1_11target_archE1200ELNS1_3gpuE4ELNS1_3repE0EEENS1_30default_config_static_selectorELNS0_4arch9wavefront6targetE0EEEvT1_,comdat
.Lfunc_end49:
	.size	_ZN7rocprim17ROCPRIM_400000_NS6detail17trampoline_kernelINS0_14default_configENS1_25partition_config_selectorILNS1_17partition_subalgoE9EllbEEZZNS1_14partition_implILS5_9ELb0ES3_jPKlN6thrust23THRUST_200600_302600_NS17counting_iteratorIlNSB_11use_defaultESD_SD_EEPNS0_10empty_typeENS0_5tupleIJPlSF_EEENSH_IJSI_SG_EEENS0_18inequality_wrapperIN6hipcub16HIPCUB_304000_NS8EqualityEEESI_JSF_EEE10hipError_tPvRmT3_T4_T5_T6_T7_T9_mT8_P12ihipStream_tbDpT10_ENKUlT_T0_E_clISt17integral_constantIbLb0EES19_EEDaS14_S15_EUlS14_E_NS1_11comp_targetILNS1_3genE10ELNS1_11target_archE1200ELNS1_3gpuE4ELNS1_3repE0EEENS1_30default_config_static_selectorELNS0_4arch9wavefront6targetE0EEEvT1_, .Lfunc_end49-_ZN7rocprim17ROCPRIM_400000_NS6detail17trampoline_kernelINS0_14default_configENS1_25partition_config_selectorILNS1_17partition_subalgoE9EllbEEZZNS1_14partition_implILS5_9ELb0ES3_jPKlN6thrust23THRUST_200600_302600_NS17counting_iteratorIlNSB_11use_defaultESD_SD_EEPNS0_10empty_typeENS0_5tupleIJPlSF_EEENSH_IJSI_SG_EEENS0_18inequality_wrapperIN6hipcub16HIPCUB_304000_NS8EqualityEEESI_JSF_EEE10hipError_tPvRmT3_T4_T5_T6_T7_T9_mT8_P12ihipStream_tbDpT10_ENKUlT_T0_E_clISt17integral_constantIbLb0EES19_EEDaS14_S15_EUlS14_E_NS1_11comp_targetILNS1_3genE10ELNS1_11target_archE1200ELNS1_3gpuE4ELNS1_3repE0EEENS1_30default_config_static_selectorELNS0_4arch9wavefront6targetE0EEEvT1_
                                        ; -- End function
	.set _ZN7rocprim17ROCPRIM_400000_NS6detail17trampoline_kernelINS0_14default_configENS1_25partition_config_selectorILNS1_17partition_subalgoE9EllbEEZZNS1_14partition_implILS5_9ELb0ES3_jPKlN6thrust23THRUST_200600_302600_NS17counting_iteratorIlNSB_11use_defaultESD_SD_EEPNS0_10empty_typeENS0_5tupleIJPlSF_EEENSH_IJSI_SG_EEENS0_18inequality_wrapperIN6hipcub16HIPCUB_304000_NS8EqualityEEESI_JSF_EEE10hipError_tPvRmT3_T4_T5_T6_T7_T9_mT8_P12ihipStream_tbDpT10_ENKUlT_T0_E_clISt17integral_constantIbLb0EES19_EEDaS14_S15_EUlS14_E_NS1_11comp_targetILNS1_3genE10ELNS1_11target_archE1200ELNS1_3gpuE4ELNS1_3repE0EEENS1_30default_config_static_selectorELNS0_4arch9wavefront6targetE0EEEvT1_.num_vgpr, 73
	.set _ZN7rocprim17ROCPRIM_400000_NS6detail17trampoline_kernelINS0_14default_configENS1_25partition_config_selectorILNS1_17partition_subalgoE9EllbEEZZNS1_14partition_implILS5_9ELb0ES3_jPKlN6thrust23THRUST_200600_302600_NS17counting_iteratorIlNSB_11use_defaultESD_SD_EEPNS0_10empty_typeENS0_5tupleIJPlSF_EEENSH_IJSI_SG_EEENS0_18inequality_wrapperIN6hipcub16HIPCUB_304000_NS8EqualityEEESI_JSF_EEE10hipError_tPvRmT3_T4_T5_T6_T7_T9_mT8_P12ihipStream_tbDpT10_ENKUlT_T0_E_clISt17integral_constantIbLb0EES19_EEDaS14_S15_EUlS14_E_NS1_11comp_targetILNS1_3genE10ELNS1_11target_archE1200ELNS1_3gpuE4ELNS1_3repE0EEENS1_30default_config_static_selectorELNS0_4arch9wavefront6targetE0EEEvT1_.num_agpr, 0
	.set _ZN7rocprim17ROCPRIM_400000_NS6detail17trampoline_kernelINS0_14default_configENS1_25partition_config_selectorILNS1_17partition_subalgoE9EllbEEZZNS1_14partition_implILS5_9ELb0ES3_jPKlN6thrust23THRUST_200600_302600_NS17counting_iteratorIlNSB_11use_defaultESD_SD_EEPNS0_10empty_typeENS0_5tupleIJPlSF_EEENSH_IJSI_SG_EEENS0_18inequality_wrapperIN6hipcub16HIPCUB_304000_NS8EqualityEEESI_JSF_EEE10hipError_tPvRmT3_T4_T5_T6_T7_T9_mT8_P12ihipStream_tbDpT10_ENKUlT_T0_E_clISt17integral_constantIbLb0EES19_EEDaS14_S15_EUlS14_E_NS1_11comp_targetILNS1_3genE10ELNS1_11target_archE1200ELNS1_3gpuE4ELNS1_3repE0EEENS1_30default_config_static_selectorELNS0_4arch9wavefront6targetE0EEEvT1_.numbered_sgpr, 26
	.set _ZN7rocprim17ROCPRIM_400000_NS6detail17trampoline_kernelINS0_14default_configENS1_25partition_config_selectorILNS1_17partition_subalgoE9EllbEEZZNS1_14partition_implILS5_9ELb0ES3_jPKlN6thrust23THRUST_200600_302600_NS17counting_iteratorIlNSB_11use_defaultESD_SD_EEPNS0_10empty_typeENS0_5tupleIJPlSF_EEENSH_IJSI_SG_EEENS0_18inequality_wrapperIN6hipcub16HIPCUB_304000_NS8EqualityEEESI_JSF_EEE10hipError_tPvRmT3_T4_T5_T6_T7_T9_mT8_P12ihipStream_tbDpT10_ENKUlT_T0_E_clISt17integral_constantIbLb0EES19_EEDaS14_S15_EUlS14_E_NS1_11comp_targetILNS1_3genE10ELNS1_11target_archE1200ELNS1_3gpuE4ELNS1_3repE0EEENS1_30default_config_static_selectorELNS0_4arch9wavefront6targetE0EEEvT1_.num_named_barrier, 0
	.set _ZN7rocprim17ROCPRIM_400000_NS6detail17trampoline_kernelINS0_14default_configENS1_25partition_config_selectorILNS1_17partition_subalgoE9EllbEEZZNS1_14partition_implILS5_9ELb0ES3_jPKlN6thrust23THRUST_200600_302600_NS17counting_iteratorIlNSB_11use_defaultESD_SD_EEPNS0_10empty_typeENS0_5tupleIJPlSF_EEENSH_IJSI_SG_EEENS0_18inequality_wrapperIN6hipcub16HIPCUB_304000_NS8EqualityEEESI_JSF_EEE10hipError_tPvRmT3_T4_T5_T6_T7_T9_mT8_P12ihipStream_tbDpT10_ENKUlT_T0_E_clISt17integral_constantIbLb0EES19_EEDaS14_S15_EUlS14_E_NS1_11comp_targetILNS1_3genE10ELNS1_11target_archE1200ELNS1_3gpuE4ELNS1_3repE0EEENS1_30default_config_static_selectorELNS0_4arch9wavefront6targetE0EEEvT1_.private_seg_size, 0
	.set _ZN7rocprim17ROCPRIM_400000_NS6detail17trampoline_kernelINS0_14default_configENS1_25partition_config_selectorILNS1_17partition_subalgoE9EllbEEZZNS1_14partition_implILS5_9ELb0ES3_jPKlN6thrust23THRUST_200600_302600_NS17counting_iteratorIlNSB_11use_defaultESD_SD_EEPNS0_10empty_typeENS0_5tupleIJPlSF_EEENSH_IJSI_SG_EEENS0_18inequality_wrapperIN6hipcub16HIPCUB_304000_NS8EqualityEEESI_JSF_EEE10hipError_tPvRmT3_T4_T5_T6_T7_T9_mT8_P12ihipStream_tbDpT10_ENKUlT_T0_E_clISt17integral_constantIbLb0EES19_EEDaS14_S15_EUlS14_E_NS1_11comp_targetILNS1_3genE10ELNS1_11target_archE1200ELNS1_3gpuE4ELNS1_3repE0EEENS1_30default_config_static_selectorELNS0_4arch9wavefront6targetE0EEEvT1_.uses_vcc, 1
	.set _ZN7rocprim17ROCPRIM_400000_NS6detail17trampoline_kernelINS0_14default_configENS1_25partition_config_selectorILNS1_17partition_subalgoE9EllbEEZZNS1_14partition_implILS5_9ELb0ES3_jPKlN6thrust23THRUST_200600_302600_NS17counting_iteratorIlNSB_11use_defaultESD_SD_EEPNS0_10empty_typeENS0_5tupleIJPlSF_EEENSH_IJSI_SG_EEENS0_18inequality_wrapperIN6hipcub16HIPCUB_304000_NS8EqualityEEESI_JSF_EEE10hipError_tPvRmT3_T4_T5_T6_T7_T9_mT8_P12ihipStream_tbDpT10_ENKUlT_T0_E_clISt17integral_constantIbLb0EES19_EEDaS14_S15_EUlS14_E_NS1_11comp_targetILNS1_3genE10ELNS1_11target_archE1200ELNS1_3gpuE4ELNS1_3repE0EEENS1_30default_config_static_selectorELNS0_4arch9wavefront6targetE0EEEvT1_.uses_flat_scratch, 0
	.set _ZN7rocprim17ROCPRIM_400000_NS6detail17trampoline_kernelINS0_14default_configENS1_25partition_config_selectorILNS1_17partition_subalgoE9EllbEEZZNS1_14partition_implILS5_9ELb0ES3_jPKlN6thrust23THRUST_200600_302600_NS17counting_iteratorIlNSB_11use_defaultESD_SD_EEPNS0_10empty_typeENS0_5tupleIJPlSF_EEENSH_IJSI_SG_EEENS0_18inequality_wrapperIN6hipcub16HIPCUB_304000_NS8EqualityEEESI_JSF_EEE10hipError_tPvRmT3_T4_T5_T6_T7_T9_mT8_P12ihipStream_tbDpT10_ENKUlT_T0_E_clISt17integral_constantIbLb0EES19_EEDaS14_S15_EUlS14_E_NS1_11comp_targetILNS1_3genE10ELNS1_11target_archE1200ELNS1_3gpuE4ELNS1_3repE0EEENS1_30default_config_static_selectorELNS0_4arch9wavefront6targetE0EEEvT1_.has_dyn_sized_stack, 0
	.set _ZN7rocprim17ROCPRIM_400000_NS6detail17trampoline_kernelINS0_14default_configENS1_25partition_config_selectorILNS1_17partition_subalgoE9EllbEEZZNS1_14partition_implILS5_9ELb0ES3_jPKlN6thrust23THRUST_200600_302600_NS17counting_iteratorIlNSB_11use_defaultESD_SD_EEPNS0_10empty_typeENS0_5tupleIJPlSF_EEENSH_IJSI_SG_EEENS0_18inequality_wrapperIN6hipcub16HIPCUB_304000_NS8EqualityEEESI_JSF_EEE10hipError_tPvRmT3_T4_T5_T6_T7_T9_mT8_P12ihipStream_tbDpT10_ENKUlT_T0_E_clISt17integral_constantIbLb0EES19_EEDaS14_S15_EUlS14_E_NS1_11comp_targetILNS1_3genE10ELNS1_11target_archE1200ELNS1_3gpuE4ELNS1_3repE0EEENS1_30default_config_static_selectorELNS0_4arch9wavefront6targetE0EEEvT1_.has_recursion, 0
	.set _ZN7rocprim17ROCPRIM_400000_NS6detail17trampoline_kernelINS0_14default_configENS1_25partition_config_selectorILNS1_17partition_subalgoE9EllbEEZZNS1_14partition_implILS5_9ELb0ES3_jPKlN6thrust23THRUST_200600_302600_NS17counting_iteratorIlNSB_11use_defaultESD_SD_EEPNS0_10empty_typeENS0_5tupleIJPlSF_EEENSH_IJSI_SG_EEENS0_18inequality_wrapperIN6hipcub16HIPCUB_304000_NS8EqualityEEESI_JSF_EEE10hipError_tPvRmT3_T4_T5_T6_T7_T9_mT8_P12ihipStream_tbDpT10_ENKUlT_T0_E_clISt17integral_constantIbLb0EES19_EEDaS14_S15_EUlS14_E_NS1_11comp_targetILNS1_3genE10ELNS1_11target_archE1200ELNS1_3gpuE4ELNS1_3repE0EEENS1_30default_config_static_selectorELNS0_4arch9wavefront6targetE0EEEvT1_.has_indirect_call, 0
	.section	.AMDGPU.csdata,"",@progbits
; Kernel info:
; codeLenInByte = 10036
; TotalNumSgprs: 28
; NumVgprs: 73
; ScratchSize: 0
; MemoryBound: 0
; FloatMode: 240
; IeeeMode: 1
; LDSByteSize: 25352 bytes/workgroup (compile time only)
; SGPRBlocks: 0
; VGPRBlocks: 9
; NumSGPRsForWavesPerEU: 28
; NumVGPRsForWavesPerEU: 73
; Occupancy: 15
; WaveLimiterHint : 1
; COMPUTE_PGM_RSRC2:SCRATCH_EN: 0
; COMPUTE_PGM_RSRC2:USER_SGPR: 2
; COMPUTE_PGM_RSRC2:TRAP_HANDLER: 0
; COMPUTE_PGM_RSRC2:TGID_X_EN: 1
; COMPUTE_PGM_RSRC2:TGID_Y_EN: 0
; COMPUTE_PGM_RSRC2:TGID_Z_EN: 0
; COMPUTE_PGM_RSRC2:TIDIG_COMP_CNT: 0
	.section	.text._ZN7rocprim17ROCPRIM_400000_NS6detail17trampoline_kernelINS0_14default_configENS1_25partition_config_selectorILNS1_17partition_subalgoE9EllbEEZZNS1_14partition_implILS5_9ELb0ES3_jPKlN6thrust23THRUST_200600_302600_NS17counting_iteratorIlNSB_11use_defaultESD_SD_EEPNS0_10empty_typeENS0_5tupleIJPlSF_EEENSH_IJSI_SG_EEENS0_18inequality_wrapperIN6hipcub16HIPCUB_304000_NS8EqualityEEESI_JSF_EEE10hipError_tPvRmT3_T4_T5_T6_T7_T9_mT8_P12ihipStream_tbDpT10_ENKUlT_T0_E_clISt17integral_constantIbLb0EES19_EEDaS14_S15_EUlS14_E_NS1_11comp_targetILNS1_3genE9ELNS1_11target_archE1100ELNS1_3gpuE3ELNS1_3repE0EEENS1_30default_config_static_selectorELNS0_4arch9wavefront6targetE0EEEvT1_,"axG",@progbits,_ZN7rocprim17ROCPRIM_400000_NS6detail17trampoline_kernelINS0_14default_configENS1_25partition_config_selectorILNS1_17partition_subalgoE9EllbEEZZNS1_14partition_implILS5_9ELb0ES3_jPKlN6thrust23THRUST_200600_302600_NS17counting_iteratorIlNSB_11use_defaultESD_SD_EEPNS0_10empty_typeENS0_5tupleIJPlSF_EEENSH_IJSI_SG_EEENS0_18inequality_wrapperIN6hipcub16HIPCUB_304000_NS8EqualityEEESI_JSF_EEE10hipError_tPvRmT3_T4_T5_T6_T7_T9_mT8_P12ihipStream_tbDpT10_ENKUlT_T0_E_clISt17integral_constantIbLb0EES19_EEDaS14_S15_EUlS14_E_NS1_11comp_targetILNS1_3genE9ELNS1_11target_archE1100ELNS1_3gpuE3ELNS1_3repE0EEENS1_30default_config_static_selectorELNS0_4arch9wavefront6targetE0EEEvT1_,comdat
	.protected	_ZN7rocprim17ROCPRIM_400000_NS6detail17trampoline_kernelINS0_14default_configENS1_25partition_config_selectorILNS1_17partition_subalgoE9EllbEEZZNS1_14partition_implILS5_9ELb0ES3_jPKlN6thrust23THRUST_200600_302600_NS17counting_iteratorIlNSB_11use_defaultESD_SD_EEPNS0_10empty_typeENS0_5tupleIJPlSF_EEENSH_IJSI_SG_EEENS0_18inequality_wrapperIN6hipcub16HIPCUB_304000_NS8EqualityEEESI_JSF_EEE10hipError_tPvRmT3_T4_T5_T6_T7_T9_mT8_P12ihipStream_tbDpT10_ENKUlT_T0_E_clISt17integral_constantIbLb0EES19_EEDaS14_S15_EUlS14_E_NS1_11comp_targetILNS1_3genE9ELNS1_11target_archE1100ELNS1_3gpuE3ELNS1_3repE0EEENS1_30default_config_static_selectorELNS0_4arch9wavefront6targetE0EEEvT1_ ; -- Begin function _ZN7rocprim17ROCPRIM_400000_NS6detail17trampoline_kernelINS0_14default_configENS1_25partition_config_selectorILNS1_17partition_subalgoE9EllbEEZZNS1_14partition_implILS5_9ELb0ES3_jPKlN6thrust23THRUST_200600_302600_NS17counting_iteratorIlNSB_11use_defaultESD_SD_EEPNS0_10empty_typeENS0_5tupleIJPlSF_EEENSH_IJSI_SG_EEENS0_18inequality_wrapperIN6hipcub16HIPCUB_304000_NS8EqualityEEESI_JSF_EEE10hipError_tPvRmT3_T4_T5_T6_T7_T9_mT8_P12ihipStream_tbDpT10_ENKUlT_T0_E_clISt17integral_constantIbLb0EES19_EEDaS14_S15_EUlS14_E_NS1_11comp_targetILNS1_3genE9ELNS1_11target_archE1100ELNS1_3gpuE3ELNS1_3repE0EEENS1_30default_config_static_selectorELNS0_4arch9wavefront6targetE0EEEvT1_
	.globl	_ZN7rocprim17ROCPRIM_400000_NS6detail17trampoline_kernelINS0_14default_configENS1_25partition_config_selectorILNS1_17partition_subalgoE9EllbEEZZNS1_14partition_implILS5_9ELb0ES3_jPKlN6thrust23THRUST_200600_302600_NS17counting_iteratorIlNSB_11use_defaultESD_SD_EEPNS0_10empty_typeENS0_5tupleIJPlSF_EEENSH_IJSI_SG_EEENS0_18inequality_wrapperIN6hipcub16HIPCUB_304000_NS8EqualityEEESI_JSF_EEE10hipError_tPvRmT3_T4_T5_T6_T7_T9_mT8_P12ihipStream_tbDpT10_ENKUlT_T0_E_clISt17integral_constantIbLb0EES19_EEDaS14_S15_EUlS14_E_NS1_11comp_targetILNS1_3genE9ELNS1_11target_archE1100ELNS1_3gpuE3ELNS1_3repE0EEENS1_30default_config_static_selectorELNS0_4arch9wavefront6targetE0EEEvT1_
	.p2align	8
	.type	_ZN7rocprim17ROCPRIM_400000_NS6detail17trampoline_kernelINS0_14default_configENS1_25partition_config_selectorILNS1_17partition_subalgoE9EllbEEZZNS1_14partition_implILS5_9ELb0ES3_jPKlN6thrust23THRUST_200600_302600_NS17counting_iteratorIlNSB_11use_defaultESD_SD_EEPNS0_10empty_typeENS0_5tupleIJPlSF_EEENSH_IJSI_SG_EEENS0_18inequality_wrapperIN6hipcub16HIPCUB_304000_NS8EqualityEEESI_JSF_EEE10hipError_tPvRmT3_T4_T5_T6_T7_T9_mT8_P12ihipStream_tbDpT10_ENKUlT_T0_E_clISt17integral_constantIbLb0EES19_EEDaS14_S15_EUlS14_E_NS1_11comp_targetILNS1_3genE9ELNS1_11target_archE1100ELNS1_3gpuE3ELNS1_3repE0EEENS1_30default_config_static_selectorELNS0_4arch9wavefront6targetE0EEEvT1_,@function
_ZN7rocprim17ROCPRIM_400000_NS6detail17trampoline_kernelINS0_14default_configENS1_25partition_config_selectorILNS1_17partition_subalgoE9EllbEEZZNS1_14partition_implILS5_9ELb0ES3_jPKlN6thrust23THRUST_200600_302600_NS17counting_iteratorIlNSB_11use_defaultESD_SD_EEPNS0_10empty_typeENS0_5tupleIJPlSF_EEENSH_IJSI_SG_EEENS0_18inequality_wrapperIN6hipcub16HIPCUB_304000_NS8EqualityEEESI_JSF_EEE10hipError_tPvRmT3_T4_T5_T6_T7_T9_mT8_P12ihipStream_tbDpT10_ENKUlT_T0_E_clISt17integral_constantIbLb0EES19_EEDaS14_S15_EUlS14_E_NS1_11comp_targetILNS1_3genE9ELNS1_11target_archE1100ELNS1_3gpuE3ELNS1_3repE0EEENS1_30default_config_static_selectorELNS0_4arch9wavefront6targetE0EEEvT1_: ; @_ZN7rocprim17ROCPRIM_400000_NS6detail17trampoline_kernelINS0_14default_configENS1_25partition_config_selectorILNS1_17partition_subalgoE9EllbEEZZNS1_14partition_implILS5_9ELb0ES3_jPKlN6thrust23THRUST_200600_302600_NS17counting_iteratorIlNSB_11use_defaultESD_SD_EEPNS0_10empty_typeENS0_5tupleIJPlSF_EEENSH_IJSI_SG_EEENS0_18inequality_wrapperIN6hipcub16HIPCUB_304000_NS8EqualityEEESI_JSF_EEE10hipError_tPvRmT3_T4_T5_T6_T7_T9_mT8_P12ihipStream_tbDpT10_ENKUlT_T0_E_clISt17integral_constantIbLb0EES19_EEDaS14_S15_EUlS14_E_NS1_11comp_targetILNS1_3genE9ELNS1_11target_archE1100ELNS1_3gpuE3ELNS1_3repE0EEENS1_30default_config_static_selectorELNS0_4arch9wavefront6targetE0EEEvT1_
; %bb.0:
	.section	.rodata,"a",@progbits
	.p2align	6, 0x0
	.amdhsa_kernel _ZN7rocprim17ROCPRIM_400000_NS6detail17trampoline_kernelINS0_14default_configENS1_25partition_config_selectorILNS1_17partition_subalgoE9EllbEEZZNS1_14partition_implILS5_9ELb0ES3_jPKlN6thrust23THRUST_200600_302600_NS17counting_iteratorIlNSB_11use_defaultESD_SD_EEPNS0_10empty_typeENS0_5tupleIJPlSF_EEENSH_IJSI_SG_EEENS0_18inequality_wrapperIN6hipcub16HIPCUB_304000_NS8EqualityEEESI_JSF_EEE10hipError_tPvRmT3_T4_T5_T6_T7_T9_mT8_P12ihipStream_tbDpT10_ENKUlT_T0_E_clISt17integral_constantIbLb0EES19_EEDaS14_S15_EUlS14_E_NS1_11comp_targetILNS1_3genE9ELNS1_11target_archE1100ELNS1_3gpuE3ELNS1_3repE0EEENS1_30default_config_static_selectorELNS0_4arch9wavefront6targetE0EEEvT1_
		.amdhsa_group_segment_fixed_size 0
		.amdhsa_private_segment_fixed_size 0
		.amdhsa_kernarg_size 112
		.amdhsa_user_sgpr_count 2
		.amdhsa_user_sgpr_dispatch_ptr 0
		.amdhsa_user_sgpr_queue_ptr 0
		.amdhsa_user_sgpr_kernarg_segment_ptr 1
		.amdhsa_user_sgpr_dispatch_id 0
		.amdhsa_user_sgpr_private_segment_size 0
		.amdhsa_wavefront_size32 1
		.amdhsa_uses_dynamic_stack 0
		.amdhsa_enable_private_segment 0
		.amdhsa_system_sgpr_workgroup_id_x 1
		.amdhsa_system_sgpr_workgroup_id_y 0
		.amdhsa_system_sgpr_workgroup_id_z 0
		.amdhsa_system_sgpr_workgroup_info 0
		.amdhsa_system_vgpr_workitem_id 0
		.amdhsa_next_free_vgpr 1
		.amdhsa_next_free_sgpr 1
		.amdhsa_reserve_vcc 0
		.amdhsa_float_round_mode_32 0
		.amdhsa_float_round_mode_16_64 0
		.amdhsa_float_denorm_mode_32 3
		.amdhsa_float_denorm_mode_16_64 3
		.amdhsa_fp16_overflow 0
		.amdhsa_workgroup_processor_mode 1
		.amdhsa_memory_ordered 1
		.amdhsa_forward_progress 1
		.amdhsa_inst_pref_size 0
		.amdhsa_round_robin_scheduling 0
		.amdhsa_exception_fp_ieee_invalid_op 0
		.amdhsa_exception_fp_denorm_src 0
		.amdhsa_exception_fp_ieee_div_zero 0
		.amdhsa_exception_fp_ieee_overflow 0
		.amdhsa_exception_fp_ieee_underflow 0
		.amdhsa_exception_fp_ieee_inexact 0
		.amdhsa_exception_int_div_zero 0
	.end_amdhsa_kernel
	.section	.text._ZN7rocprim17ROCPRIM_400000_NS6detail17trampoline_kernelINS0_14default_configENS1_25partition_config_selectorILNS1_17partition_subalgoE9EllbEEZZNS1_14partition_implILS5_9ELb0ES3_jPKlN6thrust23THRUST_200600_302600_NS17counting_iteratorIlNSB_11use_defaultESD_SD_EEPNS0_10empty_typeENS0_5tupleIJPlSF_EEENSH_IJSI_SG_EEENS0_18inequality_wrapperIN6hipcub16HIPCUB_304000_NS8EqualityEEESI_JSF_EEE10hipError_tPvRmT3_T4_T5_T6_T7_T9_mT8_P12ihipStream_tbDpT10_ENKUlT_T0_E_clISt17integral_constantIbLb0EES19_EEDaS14_S15_EUlS14_E_NS1_11comp_targetILNS1_3genE9ELNS1_11target_archE1100ELNS1_3gpuE3ELNS1_3repE0EEENS1_30default_config_static_selectorELNS0_4arch9wavefront6targetE0EEEvT1_,"axG",@progbits,_ZN7rocprim17ROCPRIM_400000_NS6detail17trampoline_kernelINS0_14default_configENS1_25partition_config_selectorILNS1_17partition_subalgoE9EllbEEZZNS1_14partition_implILS5_9ELb0ES3_jPKlN6thrust23THRUST_200600_302600_NS17counting_iteratorIlNSB_11use_defaultESD_SD_EEPNS0_10empty_typeENS0_5tupleIJPlSF_EEENSH_IJSI_SG_EEENS0_18inequality_wrapperIN6hipcub16HIPCUB_304000_NS8EqualityEEESI_JSF_EEE10hipError_tPvRmT3_T4_T5_T6_T7_T9_mT8_P12ihipStream_tbDpT10_ENKUlT_T0_E_clISt17integral_constantIbLb0EES19_EEDaS14_S15_EUlS14_E_NS1_11comp_targetILNS1_3genE9ELNS1_11target_archE1100ELNS1_3gpuE3ELNS1_3repE0EEENS1_30default_config_static_selectorELNS0_4arch9wavefront6targetE0EEEvT1_,comdat
.Lfunc_end50:
	.size	_ZN7rocprim17ROCPRIM_400000_NS6detail17trampoline_kernelINS0_14default_configENS1_25partition_config_selectorILNS1_17partition_subalgoE9EllbEEZZNS1_14partition_implILS5_9ELb0ES3_jPKlN6thrust23THRUST_200600_302600_NS17counting_iteratorIlNSB_11use_defaultESD_SD_EEPNS0_10empty_typeENS0_5tupleIJPlSF_EEENSH_IJSI_SG_EEENS0_18inequality_wrapperIN6hipcub16HIPCUB_304000_NS8EqualityEEESI_JSF_EEE10hipError_tPvRmT3_T4_T5_T6_T7_T9_mT8_P12ihipStream_tbDpT10_ENKUlT_T0_E_clISt17integral_constantIbLb0EES19_EEDaS14_S15_EUlS14_E_NS1_11comp_targetILNS1_3genE9ELNS1_11target_archE1100ELNS1_3gpuE3ELNS1_3repE0EEENS1_30default_config_static_selectorELNS0_4arch9wavefront6targetE0EEEvT1_, .Lfunc_end50-_ZN7rocprim17ROCPRIM_400000_NS6detail17trampoline_kernelINS0_14default_configENS1_25partition_config_selectorILNS1_17partition_subalgoE9EllbEEZZNS1_14partition_implILS5_9ELb0ES3_jPKlN6thrust23THRUST_200600_302600_NS17counting_iteratorIlNSB_11use_defaultESD_SD_EEPNS0_10empty_typeENS0_5tupleIJPlSF_EEENSH_IJSI_SG_EEENS0_18inequality_wrapperIN6hipcub16HIPCUB_304000_NS8EqualityEEESI_JSF_EEE10hipError_tPvRmT3_T4_T5_T6_T7_T9_mT8_P12ihipStream_tbDpT10_ENKUlT_T0_E_clISt17integral_constantIbLb0EES19_EEDaS14_S15_EUlS14_E_NS1_11comp_targetILNS1_3genE9ELNS1_11target_archE1100ELNS1_3gpuE3ELNS1_3repE0EEENS1_30default_config_static_selectorELNS0_4arch9wavefront6targetE0EEEvT1_
                                        ; -- End function
	.set _ZN7rocprim17ROCPRIM_400000_NS6detail17trampoline_kernelINS0_14default_configENS1_25partition_config_selectorILNS1_17partition_subalgoE9EllbEEZZNS1_14partition_implILS5_9ELb0ES3_jPKlN6thrust23THRUST_200600_302600_NS17counting_iteratorIlNSB_11use_defaultESD_SD_EEPNS0_10empty_typeENS0_5tupleIJPlSF_EEENSH_IJSI_SG_EEENS0_18inequality_wrapperIN6hipcub16HIPCUB_304000_NS8EqualityEEESI_JSF_EEE10hipError_tPvRmT3_T4_T5_T6_T7_T9_mT8_P12ihipStream_tbDpT10_ENKUlT_T0_E_clISt17integral_constantIbLb0EES19_EEDaS14_S15_EUlS14_E_NS1_11comp_targetILNS1_3genE9ELNS1_11target_archE1100ELNS1_3gpuE3ELNS1_3repE0EEENS1_30default_config_static_selectorELNS0_4arch9wavefront6targetE0EEEvT1_.num_vgpr, 0
	.set _ZN7rocprim17ROCPRIM_400000_NS6detail17trampoline_kernelINS0_14default_configENS1_25partition_config_selectorILNS1_17partition_subalgoE9EllbEEZZNS1_14partition_implILS5_9ELb0ES3_jPKlN6thrust23THRUST_200600_302600_NS17counting_iteratorIlNSB_11use_defaultESD_SD_EEPNS0_10empty_typeENS0_5tupleIJPlSF_EEENSH_IJSI_SG_EEENS0_18inequality_wrapperIN6hipcub16HIPCUB_304000_NS8EqualityEEESI_JSF_EEE10hipError_tPvRmT3_T4_T5_T6_T7_T9_mT8_P12ihipStream_tbDpT10_ENKUlT_T0_E_clISt17integral_constantIbLb0EES19_EEDaS14_S15_EUlS14_E_NS1_11comp_targetILNS1_3genE9ELNS1_11target_archE1100ELNS1_3gpuE3ELNS1_3repE0EEENS1_30default_config_static_selectorELNS0_4arch9wavefront6targetE0EEEvT1_.num_agpr, 0
	.set _ZN7rocprim17ROCPRIM_400000_NS6detail17trampoline_kernelINS0_14default_configENS1_25partition_config_selectorILNS1_17partition_subalgoE9EllbEEZZNS1_14partition_implILS5_9ELb0ES3_jPKlN6thrust23THRUST_200600_302600_NS17counting_iteratorIlNSB_11use_defaultESD_SD_EEPNS0_10empty_typeENS0_5tupleIJPlSF_EEENSH_IJSI_SG_EEENS0_18inequality_wrapperIN6hipcub16HIPCUB_304000_NS8EqualityEEESI_JSF_EEE10hipError_tPvRmT3_T4_T5_T6_T7_T9_mT8_P12ihipStream_tbDpT10_ENKUlT_T0_E_clISt17integral_constantIbLb0EES19_EEDaS14_S15_EUlS14_E_NS1_11comp_targetILNS1_3genE9ELNS1_11target_archE1100ELNS1_3gpuE3ELNS1_3repE0EEENS1_30default_config_static_selectorELNS0_4arch9wavefront6targetE0EEEvT1_.numbered_sgpr, 0
	.set _ZN7rocprim17ROCPRIM_400000_NS6detail17trampoline_kernelINS0_14default_configENS1_25partition_config_selectorILNS1_17partition_subalgoE9EllbEEZZNS1_14partition_implILS5_9ELb0ES3_jPKlN6thrust23THRUST_200600_302600_NS17counting_iteratorIlNSB_11use_defaultESD_SD_EEPNS0_10empty_typeENS0_5tupleIJPlSF_EEENSH_IJSI_SG_EEENS0_18inequality_wrapperIN6hipcub16HIPCUB_304000_NS8EqualityEEESI_JSF_EEE10hipError_tPvRmT3_T4_T5_T6_T7_T9_mT8_P12ihipStream_tbDpT10_ENKUlT_T0_E_clISt17integral_constantIbLb0EES19_EEDaS14_S15_EUlS14_E_NS1_11comp_targetILNS1_3genE9ELNS1_11target_archE1100ELNS1_3gpuE3ELNS1_3repE0EEENS1_30default_config_static_selectorELNS0_4arch9wavefront6targetE0EEEvT1_.num_named_barrier, 0
	.set _ZN7rocprim17ROCPRIM_400000_NS6detail17trampoline_kernelINS0_14default_configENS1_25partition_config_selectorILNS1_17partition_subalgoE9EllbEEZZNS1_14partition_implILS5_9ELb0ES3_jPKlN6thrust23THRUST_200600_302600_NS17counting_iteratorIlNSB_11use_defaultESD_SD_EEPNS0_10empty_typeENS0_5tupleIJPlSF_EEENSH_IJSI_SG_EEENS0_18inequality_wrapperIN6hipcub16HIPCUB_304000_NS8EqualityEEESI_JSF_EEE10hipError_tPvRmT3_T4_T5_T6_T7_T9_mT8_P12ihipStream_tbDpT10_ENKUlT_T0_E_clISt17integral_constantIbLb0EES19_EEDaS14_S15_EUlS14_E_NS1_11comp_targetILNS1_3genE9ELNS1_11target_archE1100ELNS1_3gpuE3ELNS1_3repE0EEENS1_30default_config_static_selectorELNS0_4arch9wavefront6targetE0EEEvT1_.private_seg_size, 0
	.set _ZN7rocprim17ROCPRIM_400000_NS6detail17trampoline_kernelINS0_14default_configENS1_25partition_config_selectorILNS1_17partition_subalgoE9EllbEEZZNS1_14partition_implILS5_9ELb0ES3_jPKlN6thrust23THRUST_200600_302600_NS17counting_iteratorIlNSB_11use_defaultESD_SD_EEPNS0_10empty_typeENS0_5tupleIJPlSF_EEENSH_IJSI_SG_EEENS0_18inequality_wrapperIN6hipcub16HIPCUB_304000_NS8EqualityEEESI_JSF_EEE10hipError_tPvRmT3_T4_T5_T6_T7_T9_mT8_P12ihipStream_tbDpT10_ENKUlT_T0_E_clISt17integral_constantIbLb0EES19_EEDaS14_S15_EUlS14_E_NS1_11comp_targetILNS1_3genE9ELNS1_11target_archE1100ELNS1_3gpuE3ELNS1_3repE0EEENS1_30default_config_static_selectorELNS0_4arch9wavefront6targetE0EEEvT1_.uses_vcc, 0
	.set _ZN7rocprim17ROCPRIM_400000_NS6detail17trampoline_kernelINS0_14default_configENS1_25partition_config_selectorILNS1_17partition_subalgoE9EllbEEZZNS1_14partition_implILS5_9ELb0ES3_jPKlN6thrust23THRUST_200600_302600_NS17counting_iteratorIlNSB_11use_defaultESD_SD_EEPNS0_10empty_typeENS0_5tupleIJPlSF_EEENSH_IJSI_SG_EEENS0_18inequality_wrapperIN6hipcub16HIPCUB_304000_NS8EqualityEEESI_JSF_EEE10hipError_tPvRmT3_T4_T5_T6_T7_T9_mT8_P12ihipStream_tbDpT10_ENKUlT_T0_E_clISt17integral_constantIbLb0EES19_EEDaS14_S15_EUlS14_E_NS1_11comp_targetILNS1_3genE9ELNS1_11target_archE1100ELNS1_3gpuE3ELNS1_3repE0EEENS1_30default_config_static_selectorELNS0_4arch9wavefront6targetE0EEEvT1_.uses_flat_scratch, 0
	.set _ZN7rocprim17ROCPRIM_400000_NS6detail17trampoline_kernelINS0_14default_configENS1_25partition_config_selectorILNS1_17partition_subalgoE9EllbEEZZNS1_14partition_implILS5_9ELb0ES3_jPKlN6thrust23THRUST_200600_302600_NS17counting_iteratorIlNSB_11use_defaultESD_SD_EEPNS0_10empty_typeENS0_5tupleIJPlSF_EEENSH_IJSI_SG_EEENS0_18inequality_wrapperIN6hipcub16HIPCUB_304000_NS8EqualityEEESI_JSF_EEE10hipError_tPvRmT3_T4_T5_T6_T7_T9_mT8_P12ihipStream_tbDpT10_ENKUlT_T0_E_clISt17integral_constantIbLb0EES19_EEDaS14_S15_EUlS14_E_NS1_11comp_targetILNS1_3genE9ELNS1_11target_archE1100ELNS1_3gpuE3ELNS1_3repE0EEENS1_30default_config_static_selectorELNS0_4arch9wavefront6targetE0EEEvT1_.has_dyn_sized_stack, 0
	.set _ZN7rocprim17ROCPRIM_400000_NS6detail17trampoline_kernelINS0_14default_configENS1_25partition_config_selectorILNS1_17partition_subalgoE9EllbEEZZNS1_14partition_implILS5_9ELb0ES3_jPKlN6thrust23THRUST_200600_302600_NS17counting_iteratorIlNSB_11use_defaultESD_SD_EEPNS0_10empty_typeENS0_5tupleIJPlSF_EEENSH_IJSI_SG_EEENS0_18inequality_wrapperIN6hipcub16HIPCUB_304000_NS8EqualityEEESI_JSF_EEE10hipError_tPvRmT3_T4_T5_T6_T7_T9_mT8_P12ihipStream_tbDpT10_ENKUlT_T0_E_clISt17integral_constantIbLb0EES19_EEDaS14_S15_EUlS14_E_NS1_11comp_targetILNS1_3genE9ELNS1_11target_archE1100ELNS1_3gpuE3ELNS1_3repE0EEENS1_30default_config_static_selectorELNS0_4arch9wavefront6targetE0EEEvT1_.has_recursion, 0
	.set _ZN7rocprim17ROCPRIM_400000_NS6detail17trampoline_kernelINS0_14default_configENS1_25partition_config_selectorILNS1_17partition_subalgoE9EllbEEZZNS1_14partition_implILS5_9ELb0ES3_jPKlN6thrust23THRUST_200600_302600_NS17counting_iteratorIlNSB_11use_defaultESD_SD_EEPNS0_10empty_typeENS0_5tupleIJPlSF_EEENSH_IJSI_SG_EEENS0_18inequality_wrapperIN6hipcub16HIPCUB_304000_NS8EqualityEEESI_JSF_EEE10hipError_tPvRmT3_T4_T5_T6_T7_T9_mT8_P12ihipStream_tbDpT10_ENKUlT_T0_E_clISt17integral_constantIbLb0EES19_EEDaS14_S15_EUlS14_E_NS1_11comp_targetILNS1_3genE9ELNS1_11target_archE1100ELNS1_3gpuE3ELNS1_3repE0EEENS1_30default_config_static_selectorELNS0_4arch9wavefront6targetE0EEEvT1_.has_indirect_call, 0
	.section	.AMDGPU.csdata,"",@progbits
; Kernel info:
; codeLenInByte = 0
; TotalNumSgprs: 0
; NumVgprs: 0
; ScratchSize: 0
; MemoryBound: 0
; FloatMode: 240
; IeeeMode: 1
; LDSByteSize: 0 bytes/workgroup (compile time only)
; SGPRBlocks: 0
; VGPRBlocks: 0
; NumSGPRsForWavesPerEU: 1
; NumVGPRsForWavesPerEU: 1
; Occupancy: 16
; WaveLimiterHint : 0
; COMPUTE_PGM_RSRC2:SCRATCH_EN: 0
; COMPUTE_PGM_RSRC2:USER_SGPR: 2
; COMPUTE_PGM_RSRC2:TRAP_HANDLER: 0
; COMPUTE_PGM_RSRC2:TGID_X_EN: 1
; COMPUTE_PGM_RSRC2:TGID_Y_EN: 0
; COMPUTE_PGM_RSRC2:TGID_Z_EN: 0
; COMPUTE_PGM_RSRC2:TIDIG_COMP_CNT: 0
	.section	.text._ZN7rocprim17ROCPRIM_400000_NS6detail17trampoline_kernelINS0_14default_configENS1_25partition_config_selectorILNS1_17partition_subalgoE9EllbEEZZNS1_14partition_implILS5_9ELb0ES3_jPKlN6thrust23THRUST_200600_302600_NS17counting_iteratorIlNSB_11use_defaultESD_SD_EEPNS0_10empty_typeENS0_5tupleIJPlSF_EEENSH_IJSI_SG_EEENS0_18inequality_wrapperIN6hipcub16HIPCUB_304000_NS8EqualityEEESI_JSF_EEE10hipError_tPvRmT3_T4_T5_T6_T7_T9_mT8_P12ihipStream_tbDpT10_ENKUlT_T0_E_clISt17integral_constantIbLb0EES19_EEDaS14_S15_EUlS14_E_NS1_11comp_targetILNS1_3genE8ELNS1_11target_archE1030ELNS1_3gpuE2ELNS1_3repE0EEENS1_30default_config_static_selectorELNS0_4arch9wavefront6targetE0EEEvT1_,"axG",@progbits,_ZN7rocprim17ROCPRIM_400000_NS6detail17trampoline_kernelINS0_14default_configENS1_25partition_config_selectorILNS1_17partition_subalgoE9EllbEEZZNS1_14partition_implILS5_9ELb0ES3_jPKlN6thrust23THRUST_200600_302600_NS17counting_iteratorIlNSB_11use_defaultESD_SD_EEPNS0_10empty_typeENS0_5tupleIJPlSF_EEENSH_IJSI_SG_EEENS0_18inequality_wrapperIN6hipcub16HIPCUB_304000_NS8EqualityEEESI_JSF_EEE10hipError_tPvRmT3_T4_T5_T6_T7_T9_mT8_P12ihipStream_tbDpT10_ENKUlT_T0_E_clISt17integral_constantIbLb0EES19_EEDaS14_S15_EUlS14_E_NS1_11comp_targetILNS1_3genE8ELNS1_11target_archE1030ELNS1_3gpuE2ELNS1_3repE0EEENS1_30default_config_static_selectorELNS0_4arch9wavefront6targetE0EEEvT1_,comdat
	.protected	_ZN7rocprim17ROCPRIM_400000_NS6detail17trampoline_kernelINS0_14default_configENS1_25partition_config_selectorILNS1_17partition_subalgoE9EllbEEZZNS1_14partition_implILS5_9ELb0ES3_jPKlN6thrust23THRUST_200600_302600_NS17counting_iteratorIlNSB_11use_defaultESD_SD_EEPNS0_10empty_typeENS0_5tupleIJPlSF_EEENSH_IJSI_SG_EEENS0_18inequality_wrapperIN6hipcub16HIPCUB_304000_NS8EqualityEEESI_JSF_EEE10hipError_tPvRmT3_T4_T5_T6_T7_T9_mT8_P12ihipStream_tbDpT10_ENKUlT_T0_E_clISt17integral_constantIbLb0EES19_EEDaS14_S15_EUlS14_E_NS1_11comp_targetILNS1_3genE8ELNS1_11target_archE1030ELNS1_3gpuE2ELNS1_3repE0EEENS1_30default_config_static_selectorELNS0_4arch9wavefront6targetE0EEEvT1_ ; -- Begin function _ZN7rocprim17ROCPRIM_400000_NS6detail17trampoline_kernelINS0_14default_configENS1_25partition_config_selectorILNS1_17partition_subalgoE9EllbEEZZNS1_14partition_implILS5_9ELb0ES3_jPKlN6thrust23THRUST_200600_302600_NS17counting_iteratorIlNSB_11use_defaultESD_SD_EEPNS0_10empty_typeENS0_5tupleIJPlSF_EEENSH_IJSI_SG_EEENS0_18inequality_wrapperIN6hipcub16HIPCUB_304000_NS8EqualityEEESI_JSF_EEE10hipError_tPvRmT3_T4_T5_T6_T7_T9_mT8_P12ihipStream_tbDpT10_ENKUlT_T0_E_clISt17integral_constantIbLb0EES19_EEDaS14_S15_EUlS14_E_NS1_11comp_targetILNS1_3genE8ELNS1_11target_archE1030ELNS1_3gpuE2ELNS1_3repE0EEENS1_30default_config_static_selectorELNS0_4arch9wavefront6targetE0EEEvT1_
	.globl	_ZN7rocprim17ROCPRIM_400000_NS6detail17trampoline_kernelINS0_14default_configENS1_25partition_config_selectorILNS1_17partition_subalgoE9EllbEEZZNS1_14partition_implILS5_9ELb0ES3_jPKlN6thrust23THRUST_200600_302600_NS17counting_iteratorIlNSB_11use_defaultESD_SD_EEPNS0_10empty_typeENS0_5tupleIJPlSF_EEENSH_IJSI_SG_EEENS0_18inequality_wrapperIN6hipcub16HIPCUB_304000_NS8EqualityEEESI_JSF_EEE10hipError_tPvRmT3_T4_T5_T6_T7_T9_mT8_P12ihipStream_tbDpT10_ENKUlT_T0_E_clISt17integral_constantIbLb0EES19_EEDaS14_S15_EUlS14_E_NS1_11comp_targetILNS1_3genE8ELNS1_11target_archE1030ELNS1_3gpuE2ELNS1_3repE0EEENS1_30default_config_static_selectorELNS0_4arch9wavefront6targetE0EEEvT1_
	.p2align	8
	.type	_ZN7rocprim17ROCPRIM_400000_NS6detail17trampoline_kernelINS0_14default_configENS1_25partition_config_selectorILNS1_17partition_subalgoE9EllbEEZZNS1_14partition_implILS5_9ELb0ES3_jPKlN6thrust23THRUST_200600_302600_NS17counting_iteratorIlNSB_11use_defaultESD_SD_EEPNS0_10empty_typeENS0_5tupleIJPlSF_EEENSH_IJSI_SG_EEENS0_18inequality_wrapperIN6hipcub16HIPCUB_304000_NS8EqualityEEESI_JSF_EEE10hipError_tPvRmT3_T4_T5_T6_T7_T9_mT8_P12ihipStream_tbDpT10_ENKUlT_T0_E_clISt17integral_constantIbLb0EES19_EEDaS14_S15_EUlS14_E_NS1_11comp_targetILNS1_3genE8ELNS1_11target_archE1030ELNS1_3gpuE2ELNS1_3repE0EEENS1_30default_config_static_selectorELNS0_4arch9wavefront6targetE0EEEvT1_,@function
_ZN7rocprim17ROCPRIM_400000_NS6detail17trampoline_kernelINS0_14default_configENS1_25partition_config_selectorILNS1_17partition_subalgoE9EllbEEZZNS1_14partition_implILS5_9ELb0ES3_jPKlN6thrust23THRUST_200600_302600_NS17counting_iteratorIlNSB_11use_defaultESD_SD_EEPNS0_10empty_typeENS0_5tupleIJPlSF_EEENSH_IJSI_SG_EEENS0_18inequality_wrapperIN6hipcub16HIPCUB_304000_NS8EqualityEEESI_JSF_EEE10hipError_tPvRmT3_T4_T5_T6_T7_T9_mT8_P12ihipStream_tbDpT10_ENKUlT_T0_E_clISt17integral_constantIbLb0EES19_EEDaS14_S15_EUlS14_E_NS1_11comp_targetILNS1_3genE8ELNS1_11target_archE1030ELNS1_3gpuE2ELNS1_3repE0EEENS1_30default_config_static_selectorELNS0_4arch9wavefront6targetE0EEEvT1_: ; @_ZN7rocprim17ROCPRIM_400000_NS6detail17trampoline_kernelINS0_14default_configENS1_25partition_config_selectorILNS1_17partition_subalgoE9EllbEEZZNS1_14partition_implILS5_9ELb0ES3_jPKlN6thrust23THRUST_200600_302600_NS17counting_iteratorIlNSB_11use_defaultESD_SD_EEPNS0_10empty_typeENS0_5tupleIJPlSF_EEENSH_IJSI_SG_EEENS0_18inequality_wrapperIN6hipcub16HIPCUB_304000_NS8EqualityEEESI_JSF_EEE10hipError_tPvRmT3_T4_T5_T6_T7_T9_mT8_P12ihipStream_tbDpT10_ENKUlT_T0_E_clISt17integral_constantIbLb0EES19_EEDaS14_S15_EUlS14_E_NS1_11comp_targetILNS1_3genE8ELNS1_11target_archE1030ELNS1_3gpuE2ELNS1_3repE0EEENS1_30default_config_static_selectorELNS0_4arch9wavefront6targetE0EEEvT1_
; %bb.0:
	.section	.rodata,"a",@progbits
	.p2align	6, 0x0
	.amdhsa_kernel _ZN7rocprim17ROCPRIM_400000_NS6detail17trampoline_kernelINS0_14default_configENS1_25partition_config_selectorILNS1_17partition_subalgoE9EllbEEZZNS1_14partition_implILS5_9ELb0ES3_jPKlN6thrust23THRUST_200600_302600_NS17counting_iteratorIlNSB_11use_defaultESD_SD_EEPNS0_10empty_typeENS0_5tupleIJPlSF_EEENSH_IJSI_SG_EEENS0_18inequality_wrapperIN6hipcub16HIPCUB_304000_NS8EqualityEEESI_JSF_EEE10hipError_tPvRmT3_T4_T5_T6_T7_T9_mT8_P12ihipStream_tbDpT10_ENKUlT_T0_E_clISt17integral_constantIbLb0EES19_EEDaS14_S15_EUlS14_E_NS1_11comp_targetILNS1_3genE8ELNS1_11target_archE1030ELNS1_3gpuE2ELNS1_3repE0EEENS1_30default_config_static_selectorELNS0_4arch9wavefront6targetE0EEEvT1_
		.amdhsa_group_segment_fixed_size 0
		.amdhsa_private_segment_fixed_size 0
		.amdhsa_kernarg_size 112
		.amdhsa_user_sgpr_count 2
		.amdhsa_user_sgpr_dispatch_ptr 0
		.amdhsa_user_sgpr_queue_ptr 0
		.amdhsa_user_sgpr_kernarg_segment_ptr 1
		.amdhsa_user_sgpr_dispatch_id 0
		.amdhsa_user_sgpr_private_segment_size 0
		.amdhsa_wavefront_size32 1
		.amdhsa_uses_dynamic_stack 0
		.amdhsa_enable_private_segment 0
		.amdhsa_system_sgpr_workgroup_id_x 1
		.amdhsa_system_sgpr_workgroup_id_y 0
		.amdhsa_system_sgpr_workgroup_id_z 0
		.amdhsa_system_sgpr_workgroup_info 0
		.amdhsa_system_vgpr_workitem_id 0
		.amdhsa_next_free_vgpr 1
		.amdhsa_next_free_sgpr 1
		.amdhsa_reserve_vcc 0
		.amdhsa_float_round_mode_32 0
		.amdhsa_float_round_mode_16_64 0
		.amdhsa_float_denorm_mode_32 3
		.amdhsa_float_denorm_mode_16_64 3
		.amdhsa_fp16_overflow 0
		.amdhsa_workgroup_processor_mode 1
		.amdhsa_memory_ordered 1
		.amdhsa_forward_progress 1
		.amdhsa_inst_pref_size 0
		.amdhsa_round_robin_scheduling 0
		.amdhsa_exception_fp_ieee_invalid_op 0
		.amdhsa_exception_fp_denorm_src 0
		.amdhsa_exception_fp_ieee_div_zero 0
		.amdhsa_exception_fp_ieee_overflow 0
		.amdhsa_exception_fp_ieee_underflow 0
		.amdhsa_exception_fp_ieee_inexact 0
		.amdhsa_exception_int_div_zero 0
	.end_amdhsa_kernel
	.section	.text._ZN7rocprim17ROCPRIM_400000_NS6detail17trampoline_kernelINS0_14default_configENS1_25partition_config_selectorILNS1_17partition_subalgoE9EllbEEZZNS1_14partition_implILS5_9ELb0ES3_jPKlN6thrust23THRUST_200600_302600_NS17counting_iteratorIlNSB_11use_defaultESD_SD_EEPNS0_10empty_typeENS0_5tupleIJPlSF_EEENSH_IJSI_SG_EEENS0_18inequality_wrapperIN6hipcub16HIPCUB_304000_NS8EqualityEEESI_JSF_EEE10hipError_tPvRmT3_T4_T5_T6_T7_T9_mT8_P12ihipStream_tbDpT10_ENKUlT_T0_E_clISt17integral_constantIbLb0EES19_EEDaS14_S15_EUlS14_E_NS1_11comp_targetILNS1_3genE8ELNS1_11target_archE1030ELNS1_3gpuE2ELNS1_3repE0EEENS1_30default_config_static_selectorELNS0_4arch9wavefront6targetE0EEEvT1_,"axG",@progbits,_ZN7rocprim17ROCPRIM_400000_NS6detail17trampoline_kernelINS0_14default_configENS1_25partition_config_selectorILNS1_17partition_subalgoE9EllbEEZZNS1_14partition_implILS5_9ELb0ES3_jPKlN6thrust23THRUST_200600_302600_NS17counting_iteratorIlNSB_11use_defaultESD_SD_EEPNS0_10empty_typeENS0_5tupleIJPlSF_EEENSH_IJSI_SG_EEENS0_18inequality_wrapperIN6hipcub16HIPCUB_304000_NS8EqualityEEESI_JSF_EEE10hipError_tPvRmT3_T4_T5_T6_T7_T9_mT8_P12ihipStream_tbDpT10_ENKUlT_T0_E_clISt17integral_constantIbLb0EES19_EEDaS14_S15_EUlS14_E_NS1_11comp_targetILNS1_3genE8ELNS1_11target_archE1030ELNS1_3gpuE2ELNS1_3repE0EEENS1_30default_config_static_selectorELNS0_4arch9wavefront6targetE0EEEvT1_,comdat
.Lfunc_end51:
	.size	_ZN7rocprim17ROCPRIM_400000_NS6detail17trampoline_kernelINS0_14default_configENS1_25partition_config_selectorILNS1_17partition_subalgoE9EllbEEZZNS1_14partition_implILS5_9ELb0ES3_jPKlN6thrust23THRUST_200600_302600_NS17counting_iteratorIlNSB_11use_defaultESD_SD_EEPNS0_10empty_typeENS0_5tupleIJPlSF_EEENSH_IJSI_SG_EEENS0_18inequality_wrapperIN6hipcub16HIPCUB_304000_NS8EqualityEEESI_JSF_EEE10hipError_tPvRmT3_T4_T5_T6_T7_T9_mT8_P12ihipStream_tbDpT10_ENKUlT_T0_E_clISt17integral_constantIbLb0EES19_EEDaS14_S15_EUlS14_E_NS1_11comp_targetILNS1_3genE8ELNS1_11target_archE1030ELNS1_3gpuE2ELNS1_3repE0EEENS1_30default_config_static_selectorELNS0_4arch9wavefront6targetE0EEEvT1_, .Lfunc_end51-_ZN7rocprim17ROCPRIM_400000_NS6detail17trampoline_kernelINS0_14default_configENS1_25partition_config_selectorILNS1_17partition_subalgoE9EllbEEZZNS1_14partition_implILS5_9ELb0ES3_jPKlN6thrust23THRUST_200600_302600_NS17counting_iteratorIlNSB_11use_defaultESD_SD_EEPNS0_10empty_typeENS0_5tupleIJPlSF_EEENSH_IJSI_SG_EEENS0_18inequality_wrapperIN6hipcub16HIPCUB_304000_NS8EqualityEEESI_JSF_EEE10hipError_tPvRmT3_T4_T5_T6_T7_T9_mT8_P12ihipStream_tbDpT10_ENKUlT_T0_E_clISt17integral_constantIbLb0EES19_EEDaS14_S15_EUlS14_E_NS1_11comp_targetILNS1_3genE8ELNS1_11target_archE1030ELNS1_3gpuE2ELNS1_3repE0EEENS1_30default_config_static_selectorELNS0_4arch9wavefront6targetE0EEEvT1_
                                        ; -- End function
	.set _ZN7rocprim17ROCPRIM_400000_NS6detail17trampoline_kernelINS0_14default_configENS1_25partition_config_selectorILNS1_17partition_subalgoE9EllbEEZZNS1_14partition_implILS5_9ELb0ES3_jPKlN6thrust23THRUST_200600_302600_NS17counting_iteratorIlNSB_11use_defaultESD_SD_EEPNS0_10empty_typeENS0_5tupleIJPlSF_EEENSH_IJSI_SG_EEENS0_18inequality_wrapperIN6hipcub16HIPCUB_304000_NS8EqualityEEESI_JSF_EEE10hipError_tPvRmT3_T4_T5_T6_T7_T9_mT8_P12ihipStream_tbDpT10_ENKUlT_T0_E_clISt17integral_constantIbLb0EES19_EEDaS14_S15_EUlS14_E_NS1_11comp_targetILNS1_3genE8ELNS1_11target_archE1030ELNS1_3gpuE2ELNS1_3repE0EEENS1_30default_config_static_selectorELNS0_4arch9wavefront6targetE0EEEvT1_.num_vgpr, 0
	.set _ZN7rocprim17ROCPRIM_400000_NS6detail17trampoline_kernelINS0_14default_configENS1_25partition_config_selectorILNS1_17partition_subalgoE9EllbEEZZNS1_14partition_implILS5_9ELb0ES3_jPKlN6thrust23THRUST_200600_302600_NS17counting_iteratorIlNSB_11use_defaultESD_SD_EEPNS0_10empty_typeENS0_5tupleIJPlSF_EEENSH_IJSI_SG_EEENS0_18inequality_wrapperIN6hipcub16HIPCUB_304000_NS8EqualityEEESI_JSF_EEE10hipError_tPvRmT3_T4_T5_T6_T7_T9_mT8_P12ihipStream_tbDpT10_ENKUlT_T0_E_clISt17integral_constantIbLb0EES19_EEDaS14_S15_EUlS14_E_NS1_11comp_targetILNS1_3genE8ELNS1_11target_archE1030ELNS1_3gpuE2ELNS1_3repE0EEENS1_30default_config_static_selectorELNS0_4arch9wavefront6targetE0EEEvT1_.num_agpr, 0
	.set _ZN7rocprim17ROCPRIM_400000_NS6detail17trampoline_kernelINS0_14default_configENS1_25partition_config_selectorILNS1_17partition_subalgoE9EllbEEZZNS1_14partition_implILS5_9ELb0ES3_jPKlN6thrust23THRUST_200600_302600_NS17counting_iteratorIlNSB_11use_defaultESD_SD_EEPNS0_10empty_typeENS0_5tupleIJPlSF_EEENSH_IJSI_SG_EEENS0_18inequality_wrapperIN6hipcub16HIPCUB_304000_NS8EqualityEEESI_JSF_EEE10hipError_tPvRmT3_T4_T5_T6_T7_T9_mT8_P12ihipStream_tbDpT10_ENKUlT_T0_E_clISt17integral_constantIbLb0EES19_EEDaS14_S15_EUlS14_E_NS1_11comp_targetILNS1_3genE8ELNS1_11target_archE1030ELNS1_3gpuE2ELNS1_3repE0EEENS1_30default_config_static_selectorELNS0_4arch9wavefront6targetE0EEEvT1_.numbered_sgpr, 0
	.set _ZN7rocprim17ROCPRIM_400000_NS6detail17trampoline_kernelINS0_14default_configENS1_25partition_config_selectorILNS1_17partition_subalgoE9EllbEEZZNS1_14partition_implILS5_9ELb0ES3_jPKlN6thrust23THRUST_200600_302600_NS17counting_iteratorIlNSB_11use_defaultESD_SD_EEPNS0_10empty_typeENS0_5tupleIJPlSF_EEENSH_IJSI_SG_EEENS0_18inequality_wrapperIN6hipcub16HIPCUB_304000_NS8EqualityEEESI_JSF_EEE10hipError_tPvRmT3_T4_T5_T6_T7_T9_mT8_P12ihipStream_tbDpT10_ENKUlT_T0_E_clISt17integral_constantIbLb0EES19_EEDaS14_S15_EUlS14_E_NS1_11comp_targetILNS1_3genE8ELNS1_11target_archE1030ELNS1_3gpuE2ELNS1_3repE0EEENS1_30default_config_static_selectorELNS0_4arch9wavefront6targetE0EEEvT1_.num_named_barrier, 0
	.set _ZN7rocprim17ROCPRIM_400000_NS6detail17trampoline_kernelINS0_14default_configENS1_25partition_config_selectorILNS1_17partition_subalgoE9EllbEEZZNS1_14partition_implILS5_9ELb0ES3_jPKlN6thrust23THRUST_200600_302600_NS17counting_iteratorIlNSB_11use_defaultESD_SD_EEPNS0_10empty_typeENS0_5tupleIJPlSF_EEENSH_IJSI_SG_EEENS0_18inequality_wrapperIN6hipcub16HIPCUB_304000_NS8EqualityEEESI_JSF_EEE10hipError_tPvRmT3_T4_T5_T6_T7_T9_mT8_P12ihipStream_tbDpT10_ENKUlT_T0_E_clISt17integral_constantIbLb0EES19_EEDaS14_S15_EUlS14_E_NS1_11comp_targetILNS1_3genE8ELNS1_11target_archE1030ELNS1_3gpuE2ELNS1_3repE0EEENS1_30default_config_static_selectorELNS0_4arch9wavefront6targetE0EEEvT1_.private_seg_size, 0
	.set _ZN7rocprim17ROCPRIM_400000_NS6detail17trampoline_kernelINS0_14default_configENS1_25partition_config_selectorILNS1_17partition_subalgoE9EllbEEZZNS1_14partition_implILS5_9ELb0ES3_jPKlN6thrust23THRUST_200600_302600_NS17counting_iteratorIlNSB_11use_defaultESD_SD_EEPNS0_10empty_typeENS0_5tupleIJPlSF_EEENSH_IJSI_SG_EEENS0_18inequality_wrapperIN6hipcub16HIPCUB_304000_NS8EqualityEEESI_JSF_EEE10hipError_tPvRmT3_T4_T5_T6_T7_T9_mT8_P12ihipStream_tbDpT10_ENKUlT_T0_E_clISt17integral_constantIbLb0EES19_EEDaS14_S15_EUlS14_E_NS1_11comp_targetILNS1_3genE8ELNS1_11target_archE1030ELNS1_3gpuE2ELNS1_3repE0EEENS1_30default_config_static_selectorELNS0_4arch9wavefront6targetE0EEEvT1_.uses_vcc, 0
	.set _ZN7rocprim17ROCPRIM_400000_NS6detail17trampoline_kernelINS0_14default_configENS1_25partition_config_selectorILNS1_17partition_subalgoE9EllbEEZZNS1_14partition_implILS5_9ELb0ES3_jPKlN6thrust23THRUST_200600_302600_NS17counting_iteratorIlNSB_11use_defaultESD_SD_EEPNS0_10empty_typeENS0_5tupleIJPlSF_EEENSH_IJSI_SG_EEENS0_18inequality_wrapperIN6hipcub16HIPCUB_304000_NS8EqualityEEESI_JSF_EEE10hipError_tPvRmT3_T4_T5_T6_T7_T9_mT8_P12ihipStream_tbDpT10_ENKUlT_T0_E_clISt17integral_constantIbLb0EES19_EEDaS14_S15_EUlS14_E_NS1_11comp_targetILNS1_3genE8ELNS1_11target_archE1030ELNS1_3gpuE2ELNS1_3repE0EEENS1_30default_config_static_selectorELNS0_4arch9wavefront6targetE0EEEvT1_.uses_flat_scratch, 0
	.set _ZN7rocprim17ROCPRIM_400000_NS6detail17trampoline_kernelINS0_14default_configENS1_25partition_config_selectorILNS1_17partition_subalgoE9EllbEEZZNS1_14partition_implILS5_9ELb0ES3_jPKlN6thrust23THRUST_200600_302600_NS17counting_iteratorIlNSB_11use_defaultESD_SD_EEPNS0_10empty_typeENS0_5tupleIJPlSF_EEENSH_IJSI_SG_EEENS0_18inequality_wrapperIN6hipcub16HIPCUB_304000_NS8EqualityEEESI_JSF_EEE10hipError_tPvRmT3_T4_T5_T6_T7_T9_mT8_P12ihipStream_tbDpT10_ENKUlT_T0_E_clISt17integral_constantIbLb0EES19_EEDaS14_S15_EUlS14_E_NS1_11comp_targetILNS1_3genE8ELNS1_11target_archE1030ELNS1_3gpuE2ELNS1_3repE0EEENS1_30default_config_static_selectorELNS0_4arch9wavefront6targetE0EEEvT1_.has_dyn_sized_stack, 0
	.set _ZN7rocprim17ROCPRIM_400000_NS6detail17trampoline_kernelINS0_14default_configENS1_25partition_config_selectorILNS1_17partition_subalgoE9EllbEEZZNS1_14partition_implILS5_9ELb0ES3_jPKlN6thrust23THRUST_200600_302600_NS17counting_iteratorIlNSB_11use_defaultESD_SD_EEPNS0_10empty_typeENS0_5tupleIJPlSF_EEENSH_IJSI_SG_EEENS0_18inequality_wrapperIN6hipcub16HIPCUB_304000_NS8EqualityEEESI_JSF_EEE10hipError_tPvRmT3_T4_T5_T6_T7_T9_mT8_P12ihipStream_tbDpT10_ENKUlT_T0_E_clISt17integral_constantIbLb0EES19_EEDaS14_S15_EUlS14_E_NS1_11comp_targetILNS1_3genE8ELNS1_11target_archE1030ELNS1_3gpuE2ELNS1_3repE0EEENS1_30default_config_static_selectorELNS0_4arch9wavefront6targetE0EEEvT1_.has_recursion, 0
	.set _ZN7rocprim17ROCPRIM_400000_NS6detail17trampoline_kernelINS0_14default_configENS1_25partition_config_selectorILNS1_17partition_subalgoE9EllbEEZZNS1_14partition_implILS5_9ELb0ES3_jPKlN6thrust23THRUST_200600_302600_NS17counting_iteratorIlNSB_11use_defaultESD_SD_EEPNS0_10empty_typeENS0_5tupleIJPlSF_EEENSH_IJSI_SG_EEENS0_18inequality_wrapperIN6hipcub16HIPCUB_304000_NS8EqualityEEESI_JSF_EEE10hipError_tPvRmT3_T4_T5_T6_T7_T9_mT8_P12ihipStream_tbDpT10_ENKUlT_T0_E_clISt17integral_constantIbLb0EES19_EEDaS14_S15_EUlS14_E_NS1_11comp_targetILNS1_3genE8ELNS1_11target_archE1030ELNS1_3gpuE2ELNS1_3repE0EEENS1_30default_config_static_selectorELNS0_4arch9wavefront6targetE0EEEvT1_.has_indirect_call, 0
	.section	.AMDGPU.csdata,"",@progbits
; Kernel info:
; codeLenInByte = 0
; TotalNumSgprs: 0
; NumVgprs: 0
; ScratchSize: 0
; MemoryBound: 0
; FloatMode: 240
; IeeeMode: 1
; LDSByteSize: 0 bytes/workgroup (compile time only)
; SGPRBlocks: 0
; VGPRBlocks: 0
; NumSGPRsForWavesPerEU: 1
; NumVGPRsForWavesPerEU: 1
; Occupancy: 16
; WaveLimiterHint : 0
; COMPUTE_PGM_RSRC2:SCRATCH_EN: 0
; COMPUTE_PGM_RSRC2:USER_SGPR: 2
; COMPUTE_PGM_RSRC2:TRAP_HANDLER: 0
; COMPUTE_PGM_RSRC2:TGID_X_EN: 1
; COMPUTE_PGM_RSRC2:TGID_Y_EN: 0
; COMPUTE_PGM_RSRC2:TGID_Z_EN: 0
; COMPUTE_PGM_RSRC2:TIDIG_COMP_CNT: 0
	.section	.text._ZN7rocprim17ROCPRIM_400000_NS6detail17trampoline_kernelINS0_14default_configENS1_25partition_config_selectorILNS1_17partition_subalgoE9EllbEEZZNS1_14partition_implILS5_9ELb0ES3_jPKlN6thrust23THRUST_200600_302600_NS17counting_iteratorIlNSB_11use_defaultESD_SD_EEPNS0_10empty_typeENS0_5tupleIJPlSF_EEENSH_IJSI_SG_EEENS0_18inequality_wrapperIN6hipcub16HIPCUB_304000_NS8EqualityEEESI_JSF_EEE10hipError_tPvRmT3_T4_T5_T6_T7_T9_mT8_P12ihipStream_tbDpT10_ENKUlT_T0_E_clISt17integral_constantIbLb1EES19_EEDaS14_S15_EUlS14_E_NS1_11comp_targetILNS1_3genE0ELNS1_11target_archE4294967295ELNS1_3gpuE0ELNS1_3repE0EEENS1_30default_config_static_selectorELNS0_4arch9wavefront6targetE0EEEvT1_,"axG",@progbits,_ZN7rocprim17ROCPRIM_400000_NS6detail17trampoline_kernelINS0_14default_configENS1_25partition_config_selectorILNS1_17partition_subalgoE9EllbEEZZNS1_14partition_implILS5_9ELb0ES3_jPKlN6thrust23THRUST_200600_302600_NS17counting_iteratorIlNSB_11use_defaultESD_SD_EEPNS0_10empty_typeENS0_5tupleIJPlSF_EEENSH_IJSI_SG_EEENS0_18inequality_wrapperIN6hipcub16HIPCUB_304000_NS8EqualityEEESI_JSF_EEE10hipError_tPvRmT3_T4_T5_T6_T7_T9_mT8_P12ihipStream_tbDpT10_ENKUlT_T0_E_clISt17integral_constantIbLb1EES19_EEDaS14_S15_EUlS14_E_NS1_11comp_targetILNS1_3genE0ELNS1_11target_archE4294967295ELNS1_3gpuE0ELNS1_3repE0EEENS1_30default_config_static_selectorELNS0_4arch9wavefront6targetE0EEEvT1_,comdat
	.protected	_ZN7rocprim17ROCPRIM_400000_NS6detail17trampoline_kernelINS0_14default_configENS1_25partition_config_selectorILNS1_17partition_subalgoE9EllbEEZZNS1_14partition_implILS5_9ELb0ES3_jPKlN6thrust23THRUST_200600_302600_NS17counting_iteratorIlNSB_11use_defaultESD_SD_EEPNS0_10empty_typeENS0_5tupleIJPlSF_EEENSH_IJSI_SG_EEENS0_18inequality_wrapperIN6hipcub16HIPCUB_304000_NS8EqualityEEESI_JSF_EEE10hipError_tPvRmT3_T4_T5_T6_T7_T9_mT8_P12ihipStream_tbDpT10_ENKUlT_T0_E_clISt17integral_constantIbLb1EES19_EEDaS14_S15_EUlS14_E_NS1_11comp_targetILNS1_3genE0ELNS1_11target_archE4294967295ELNS1_3gpuE0ELNS1_3repE0EEENS1_30default_config_static_selectorELNS0_4arch9wavefront6targetE0EEEvT1_ ; -- Begin function _ZN7rocprim17ROCPRIM_400000_NS6detail17trampoline_kernelINS0_14default_configENS1_25partition_config_selectorILNS1_17partition_subalgoE9EllbEEZZNS1_14partition_implILS5_9ELb0ES3_jPKlN6thrust23THRUST_200600_302600_NS17counting_iteratorIlNSB_11use_defaultESD_SD_EEPNS0_10empty_typeENS0_5tupleIJPlSF_EEENSH_IJSI_SG_EEENS0_18inequality_wrapperIN6hipcub16HIPCUB_304000_NS8EqualityEEESI_JSF_EEE10hipError_tPvRmT3_T4_T5_T6_T7_T9_mT8_P12ihipStream_tbDpT10_ENKUlT_T0_E_clISt17integral_constantIbLb1EES19_EEDaS14_S15_EUlS14_E_NS1_11comp_targetILNS1_3genE0ELNS1_11target_archE4294967295ELNS1_3gpuE0ELNS1_3repE0EEENS1_30default_config_static_selectorELNS0_4arch9wavefront6targetE0EEEvT1_
	.globl	_ZN7rocprim17ROCPRIM_400000_NS6detail17trampoline_kernelINS0_14default_configENS1_25partition_config_selectorILNS1_17partition_subalgoE9EllbEEZZNS1_14partition_implILS5_9ELb0ES3_jPKlN6thrust23THRUST_200600_302600_NS17counting_iteratorIlNSB_11use_defaultESD_SD_EEPNS0_10empty_typeENS0_5tupleIJPlSF_EEENSH_IJSI_SG_EEENS0_18inequality_wrapperIN6hipcub16HIPCUB_304000_NS8EqualityEEESI_JSF_EEE10hipError_tPvRmT3_T4_T5_T6_T7_T9_mT8_P12ihipStream_tbDpT10_ENKUlT_T0_E_clISt17integral_constantIbLb1EES19_EEDaS14_S15_EUlS14_E_NS1_11comp_targetILNS1_3genE0ELNS1_11target_archE4294967295ELNS1_3gpuE0ELNS1_3repE0EEENS1_30default_config_static_selectorELNS0_4arch9wavefront6targetE0EEEvT1_
	.p2align	8
	.type	_ZN7rocprim17ROCPRIM_400000_NS6detail17trampoline_kernelINS0_14default_configENS1_25partition_config_selectorILNS1_17partition_subalgoE9EllbEEZZNS1_14partition_implILS5_9ELb0ES3_jPKlN6thrust23THRUST_200600_302600_NS17counting_iteratorIlNSB_11use_defaultESD_SD_EEPNS0_10empty_typeENS0_5tupleIJPlSF_EEENSH_IJSI_SG_EEENS0_18inequality_wrapperIN6hipcub16HIPCUB_304000_NS8EqualityEEESI_JSF_EEE10hipError_tPvRmT3_T4_T5_T6_T7_T9_mT8_P12ihipStream_tbDpT10_ENKUlT_T0_E_clISt17integral_constantIbLb1EES19_EEDaS14_S15_EUlS14_E_NS1_11comp_targetILNS1_3genE0ELNS1_11target_archE4294967295ELNS1_3gpuE0ELNS1_3repE0EEENS1_30default_config_static_selectorELNS0_4arch9wavefront6targetE0EEEvT1_,@function
_ZN7rocprim17ROCPRIM_400000_NS6detail17trampoline_kernelINS0_14default_configENS1_25partition_config_selectorILNS1_17partition_subalgoE9EllbEEZZNS1_14partition_implILS5_9ELb0ES3_jPKlN6thrust23THRUST_200600_302600_NS17counting_iteratorIlNSB_11use_defaultESD_SD_EEPNS0_10empty_typeENS0_5tupleIJPlSF_EEENSH_IJSI_SG_EEENS0_18inequality_wrapperIN6hipcub16HIPCUB_304000_NS8EqualityEEESI_JSF_EEE10hipError_tPvRmT3_T4_T5_T6_T7_T9_mT8_P12ihipStream_tbDpT10_ENKUlT_T0_E_clISt17integral_constantIbLb1EES19_EEDaS14_S15_EUlS14_E_NS1_11comp_targetILNS1_3genE0ELNS1_11target_archE4294967295ELNS1_3gpuE0ELNS1_3repE0EEENS1_30default_config_static_selectorELNS0_4arch9wavefront6targetE0EEEvT1_: ; @_ZN7rocprim17ROCPRIM_400000_NS6detail17trampoline_kernelINS0_14default_configENS1_25partition_config_selectorILNS1_17partition_subalgoE9EllbEEZZNS1_14partition_implILS5_9ELb0ES3_jPKlN6thrust23THRUST_200600_302600_NS17counting_iteratorIlNSB_11use_defaultESD_SD_EEPNS0_10empty_typeENS0_5tupleIJPlSF_EEENSH_IJSI_SG_EEENS0_18inequality_wrapperIN6hipcub16HIPCUB_304000_NS8EqualityEEESI_JSF_EEE10hipError_tPvRmT3_T4_T5_T6_T7_T9_mT8_P12ihipStream_tbDpT10_ENKUlT_T0_E_clISt17integral_constantIbLb1EES19_EEDaS14_S15_EUlS14_E_NS1_11comp_targetILNS1_3genE0ELNS1_11target_archE4294967295ELNS1_3gpuE0ELNS1_3repE0EEENS1_30default_config_static_selectorELNS0_4arch9wavefront6targetE0EEEvT1_
; %bb.0:
	.section	.rodata,"a",@progbits
	.p2align	6, 0x0
	.amdhsa_kernel _ZN7rocprim17ROCPRIM_400000_NS6detail17trampoline_kernelINS0_14default_configENS1_25partition_config_selectorILNS1_17partition_subalgoE9EllbEEZZNS1_14partition_implILS5_9ELb0ES3_jPKlN6thrust23THRUST_200600_302600_NS17counting_iteratorIlNSB_11use_defaultESD_SD_EEPNS0_10empty_typeENS0_5tupleIJPlSF_EEENSH_IJSI_SG_EEENS0_18inequality_wrapperIN6hipcub16HIPCUB_304000_NS8EqualityEEESI_JSF_EEE10hipError_tPvRmT3_T4_T5_T6_T7_T9_mT8_P12ihipStream_tbDpT10_ENKUlT_T0_E_clISt17integral_constantIbLb1EES19_EEDaS14_S15_EUlS14_E_NS1_11comp_targetILNS1_3genE0ELNS1_11target_archE4294967295ELNS1_3gpuE0ELNS1_3repE0EEENS1_30default_config_static_selectorELNS0_4arch9wavefront6targetE0EEEvT1_
		.amdhsa_group_segment_fixed_size 0
		.amdhsa_private_segment_fixed_size 0
		.amdhsa_kernarg_size 128
		.amdhsa_user_sgpr_count 2
		.amdhsa_user_sgpr_dispatch_ptr 0
		.amdhsa_user_sgpr_queue_ptr 0
		.amdhsa_user_sgpr_kernarg_segment_ptr 1
		.amdhsa_user_sgpr_dispatch_id 0
		.amdhsa_user_sgpr_private_segment_size 0
		.amdhsa_wavefront_size32 1
		.amdhsa_uses_dynamic_stack 0
		.amdhsa_enable_private_segment 0
		.amdhsa_system_sgpr_workgroup_id_x 1
		.amdhsa_system_sgpr_workgroup_id_y 0
		.amdhsa_system_sgpr_workgroup_id_z 0
		.amdhsa_system_sgpr_workgroup_info 0
		.amdhsa_system_vgpr_workitem_id 0
		.amdhsa_next_free_vgpr 1
		.amdhsa_next_free_sgpr 1
		.amdhsa_reserve_vcc 0
		.amdhsa_float_round_mode_32 0
		.amdhsa_float_round_mode_16_64 0
		.amdhsa_float_denorm_mode_32 3
		.amdhsa_float_denorm_mode_16_64 3
		.amdhsa_fp16_overflow 0
		.amdhsa_workgroup_processor_mode 1
		.amdhsa_memory_ordered 1
		.amdhsa_forward_progress 1
		.amdhsa_inst_pref_size 0
		.amdhsa_round_robin_scheduling 0
		.amdhsa_exception_fp_ieee_invalid_op 0
		.amdhsa_exception_fp_denorm_src 0
		.amdhsa_exception_fp_ieee_div_zero 0
		.amdhsa_exception_fp_ieee_overflow 0
		.amdhsa_exception_fp_ieee_underflow 0
		.amdhsa_exception_fp_ieee_inexact 0
		.amdhsa_exception_int_div_zero 0
	.end_amdhsa_kernel
	.section	.text._ZN7rocprim17ROCPRIM_400000_NS6detail17trampoline_kernelINS0_14default_configENS1_25partition_config_selectorILNS1_17partition_subalgoE9EllbEEZZNS1_14partition_implILS5_9ELb0ES3_jPKlN6thrust23THRUST_200600_302600_NS17counting_iteratorIlNSB_11use_defaultESD_SD_EEPNS0_10empty_typeENS0_5tupleIJPlSF_EEENSH_IJSI_SG_EEENS0_18inequality_wrapperIN6hipcub16HIPCUB_304000_NS8EqualityEEESI_JSF_EEE10hipError_tPvRmT3_T4_T5_T6_T7_T9_mT8_P12ihipStream_tbDpT10_ENKUlT_T0_E_clISt17integral_constantIbLb1EES19_EEDaS14_S15_EUlS14_E_NS1_11comp_targetILNS1_3genE0ELNS1_11target_archE4294967295ELNS1_3gpuE0ELNS1_3repE0EEENS1_30default_config_static_selectorELNS0_4arch9wavefront6targetE0EEEvT1_,"axG",@progbits,_ZN7rocprim17ROCPRIM_400000_NS6detail17trampoline_kernelINS0_14default_configENS1_25partition_config_selectorILNS1_17partition_subalgoE9EllbEEZZNS1_14partition_implILS5_9ELb0ES3_jPKlN6thrust23THRUST_200600_302600_NS17counting_iteratorIlNSB_11use_defaultESD_SD_EEPNS0_10empty_typeENS0_5tupleIJPlSF_EEENSH_IJSI_SG_EEENS0_18inequality_wrapperIN6hipcub16HIPCUB_304000_NS8EqualityEEESI_JSF_EEE10hipError_tPvRmT3_T4_T5_T6_T7_T9_mT8_P12ihipStream_tbDpT10_ENKUlT_T0_E_clISt17integral_constantIbLb1EES19_EEDaS14_S15_EUlS14_E_NS1_11comp_targetILNS1_3genE0ELNS1_11target_archE4294967295ELNS1_3gpuE0ELNS1_3repE0EEENS1_30default_config_static_selectorELNS0_4arch9wavefront6targetE0EEEvT1_,comdat
.Lfunc_end52:
	.size	_ZN7rocprim17ROCPRIM_400000_NS6detail17trampoline_kernelINS0_14default_configENS1_25partition_config_selectorILNS1_17partition_subalgoE9EllbEEZZNS1_14partition_implILS5_9ELb0ES3_jPKlN6thrust23THRUST_200600_302600_NS17counting_iteratorIlNSB_11use_defaultESD_SD_EEPNS0_10empty_typeENS0_5tupleIJPlSF_EEENSH_IJSI_SG_EEENS0_18inequality_wrapperIN6hipcub16HIPCUB_304000_NS8EqualityEEESI_JSF_EEE10hipError_tPvRmT3_T4_T5_T6_T7_T9_mT8_P12ihipStream_tbDpT10_ENKUlT_T0_E_clISt17integral_constantIbLb1EES19_EEDaS14_S15_EUlS14_E_NS1_11comp_targetILNS1_3genE0ELNS1_11target_archE4294967295ELNS1_3gpuE0ELNS1_3repE0EEENS1_30default_config_static_selectorELNS0_4arch9wavefront6targetE0EEEvT1_, .Lfunc_end52-_ZN7rocprim17ROCPRIM_400000_NS6detail17trampoline_kernelINS0_14default_configENS1_25partition_config_selectorILNS1_17partition_subalgoE9EllbEEZZNS1_14partition_implILS5_9ELb0ES3_jPKlN6thrust23THRUST_200600_302600_NS17counting_iteratorIlNSB_11use_defaultESD_SD_EEPNS0_10empty_typeENS0_5tupleIJPlSF_EEENSH_IJSI_SG_EEENS0_18inequality_wrapperIN6hipcub16HIPCUB_304000_NS8EqualityEEESI_JSF_EEE10hipError_tPvRmT3_T4_T5_T6_T7_T9_mT8_P12ihipStream_tbDpT10_ENKUlT_T0_E_clISt17integral_constantIbLb1EES19_EEDaS14_S15_EUlS14_E_NS1_11comp_targetILNS1_3genE0ELNS1_11target_archE4294967295ELNS1_3gpuE0ELNS1_3repE0EEENS1_30default_config_static_selectorELNS0_4arch9wavefront6targetE0EEEvT1_
                                        ; -- End function
	.set _ZN7rocprim17ROCPRIM_400000_NS6detail17trampoline_kernelINS0_14default_configENS1_25partition_config_selectorILNS1_17partition_subalgoE9EllbEEZZNS1_14partition_implILS5_9ELb0ES3_jPKlN6thrust23THRUST_200600_302600_NS17counting_iteratorIlNSB_11use_defaultESD_SD_EEPNS0_10empty_typeENS0_5tupleIJPlSF_EEENSH_IJSI_SG_EEENS0_18inequality_wrapperIN6hipcub16HIPCUB_304000_NS8EqualityEEESI_JSF_EEE10hipError_tPvRmT3_T4_T5_T6_T7_T9_mT8_P12ihipStream_tbDpT10_ENKUlT_T0_E_clISt17integral_constantIbLb1EES19_EEDaS14_S15_EUlS14_E_NS1_11comp_targetILNS1_3genE0ELNS1_11target_archE4294967295ELNS1_3gpuE0ELNS1_3repE0EEENS1_30default_config_static_selectorELNS0_4arch9wavefront6targetE0EEEvT1_.num_vgpr, 0
	.set _ZN7rocprim17ROCPRIM_400000_NS6detail17trampoline_kernelINS0_14default_configENS1_25partition_config_selectorILNS1_17partition_subalgoE9EllbEEZZNS1_14partition_implILS5_9ELb0ES3_jPKlN6thrust23THRUST_200600_302600_NS17counting_iteratorIlNSB_11use_defaultESD_SD_EEPNS0_10empty_typeENS0_5tupleIJPlSF_EEENSH_IJSI_SG_EEENS0_18inequality_wrapperIN6hipcub16HIPCUB_304000_NS8EqualityEEESI_JSF_EEE10hipError_tPvRmT3_T4_T5_T6_T7_T9_mT8_P12ihipStream_tbDpT10_ENKUlT_T0_E_clISt17integral_constantIbLb1EES19_EEDaS14_S15_EUlS14_E_NS1_11comp_targetILNS1_3genE0ELNS1_11target_archE4294967295ELNS1_3gpuE0ELNS1_3repE0EEENS1_30default_config_static_selectorELNS0_4arch9wavefront6targetE0EEEvT1_.num_agpr, 0
	.set _ZN7rocprim17ROCPRIM_400000_NS6detail17trampoline_kernelINS0_14default_configENS1_25partition_config_selectorILNS1_17partition_subalgoE9EllbEEZZNS1_14partition_implILS5_9ELb0ES3_jPKlN6thrust23THRUST_200600_302600_NS17counting_iteratorIlNSB_11use_defaultESD_SD_EEPNS0_10empty_typeENS0_5tupleIJPlSF_EEENSH_IJSI_SG_EEENS0_18inequality_wrapperIN6hipcub16HIPCUB_304000_NS8EqualityEEESI_JSF_EEE10hipError_tPvRmT3_T4_T5_T6_T7_T9_mT8_P12ihipStream_tbDpT10_ENKUlT_T0_E_clISt17integral_constantIbLb1EES19_EEDaS14_S15_EUlS14_E_NS1_11comp_targetILNS1_3genE0ELNS1_11target_archE4294967295ELNS1_3gpuE0ELNS1_3repE0EEENS1_30default_config_static_selectorELNS0_4arch9wavefront6targetE0EEEvT1_.numbered_sgpr, 0
	.set _ZN7rocprim17ROCPRIM_400000_NS6detail17trampoline_kernelINS0_14default_configENS1_25partition_config_selectorILNS1_17partition_subalgoE9EllbEEZZNS1_14partition_implILS5_9ELb0ES3_jPKlN6thrust23THRUST_200600_302600_NS17counting_iteratorIlNSB_11use_defaultESD_SD_EEPNS0_10empty_typeENS0_5tupleIJPlSF_EEENSH_IJSI_SG_EEENS0_18inequality_wrapperIN6hipcub16HIPCUB_304000_NS8EqualityEEESI_JSF_EEE10hipError_tPvRmT3_T4_T5_T6_T7_T9_mT8_P12ihipStream_tbDpT10_ENKUlT_T0_E_clISt17integral_constantIbLb1EES19_EEDaS14_S15_EUlS14_E_NS1_11comp_targetILNS1_3genE0ELNS1_11target_archE4294967295ELNS1_3gpuE0ELNS1_3repE0EEENS1_30default_config_static_selectorELNS0_4arch9wavefront6targetE0EEEvT1_.num_named_barrier, 0
	.set _ZN7rocprim17ROCPRIM_400000_NS6detail17trampoline_kernelINS0_14default_configENS1_25partition_config_selectorILNS1_17partition_subalgoE9EllbEEZZNS1_14partition_implILS5_9ELb0ES3_jPKlN6thrust23THRUST_200600_302600_NS17counting_iteratorIlNSB_11use_defaultESD_SD_EEPNS0_10empty_typeENS0_5tupleIJPlSF_EEENSH_IJSI_SG_EEENS0_18inequality_wrapperIN6hipcub16HIPCUB_304000_NS8EqualityEEESI_JSF_EEE10hipError_tPvRmT3_T4_T5_T6_T7_T9_mT8_P12ihipStream_tbDpT10_ENKUlT_T0_E_clISt17integral_constantIbLb1EES19_EEDaS14_S15_EUlS14_E_NS1_11comp_targetILNS1_3genE0ELNS1_11target_archE4294967295ELNS1_3gpuE0ELNS1_3repE0EEENS1_30default_config_static_selectorELNS0_4arch9wavefront6targetE0EEEvT1_.private_seg_size, 0
	.set _ZN7rocprim17ROCPRIM_400000_NS6detail17trampoline_kernelINS0_14default_configENS1_25partition_config_selectorILNS1_17partition_subalgoE9EllbEEZZNS1_14partition_implILS5_9ELb0ES3_jPKlN6thrust23THRUST_200600_302600_NS17counting_iteratorIlNSB_11use_defaultESD_SD_EEPNS0_10empty_typeENS0_5tupleIJPlSF_EEENSH_IJSI_SG_EEENS0_18inequality_wrapperIN6hipcub16HIPCUB_304000_NS8EqualityEEESI_JSF_EEE10hipError_tPvRmT3_T4_T5_T6_T7_T9_mT8_P12ihipStream_tbDpT10_ENKUlT_T0_E_clISt17integral_constantIbLb1EES19_EEDaS14_S15_EUlS14_E_NS1_11comp_targetILNS1_3genE0ELNS1_11target_archE4294967295ELNS1_3gpuE0ELNS1_3repE0EEENS1_30default_config_static_selectorELNS0_4arch9wavefront6targetE0EEEvT1_.uses_vcc, 0
	.set _ZN7rocprim17ROCPRIM_400000_NS6detail17trampoline_kernelINS0_14default_configENS1_25partition_config_selectorILNS1_17partition_subalgoE9EllbEEZZNS1_14partition_implILS5_9ELb0ES3_jPKlN6thrust23THRUST_200600_302600_NS17counting_iteratorIlNSB_11use_defaultESD_SD_EEPNS0_10empty_typeENS0_5tupleIJPlSF_EEENSH_IJSI_SG_EEENS0_18inequality_wrapperIN6hipcub16HIPCUB_304000_NS8EqualityEEESI_JSF_EEE10hipError_tPvRmT3_T4_T5_T6_T7_T9_mT8_P12ihipStream_tbDpT10_ENKUlT_T0_E_clISt17integral_constantIbLb1EES19_EEDaS14_S15_EUlS14_E_NS1_11comp_targetILNS1_3genE0ELNS1_11target_archE4294967295ELNS1_3gpuE0ELNS1_3repE0EEENS1_30default_config_static_selectorELNS0_4arch9wavefront6targetE0EEEvT1_.uses_flat_scratch, 0
	.set _ZN7rocprim17ROCPRIM_400000_NS6detail17trampoline_kernelINS0_14default_configENS1_25partition_config_selectorILNS1_17partition_subalgoE9EllbEEZZNS1_14partition_implILS5_9ELb0ES3_jPKlN6thrust23THRUST_200600_302600_NS17counting_iteratorIlNSB_11use_defaultESD_SD_EEPNS0_10empty_typeENS0_5tupleIJPlSF_EEENSH_IJSI_SG_EEENS0_18inequality_wrapperIN6hipcub16HIPCUB_304000_NS8EqualityEEESI_JSF_EEE10hipError_tPvRmT3_T4_T5_T6_T7_T9_mT8_P12ihipStream_tbDpT10_ENKUlT_T0_E_clISt17integral_constantIbLb1EES19_EEDaS14_S15_EUlS14_E_NS1_11comp_targetILNS1_3genE0ELNS1_11target_archE4294967295ELNS1_3gpuE0ELNS1_3repE0EEENS1_30default_config_static_selectorELNS0_4arch9wavefront6targetE0EEEvT1_.has_dyn_sized_stack, 0
	.set _ZN7rocprim17ROCPRIM_400000_NS6detail17trampoline_kernelINS0_14default_configENS1_25partition_config_selectorILNS1_17partition_subalgoE9EllbEEZZNS1_14partition_implILS5_9ELb0ES3_jPKlN6thrust23THRUST_200600_302600_NS17counting_iteratorIlNSB_11use_defaultESD_SD_EEPNS0_10empty_typeENS0_5tupleIJPlSF_EEENSH_IJSI_SG_EEENS0_18inequality_wrapperIN6hipcub16HIPCUB_304000_NS8EqualityEEESI_JSF_EEE10hipError_tPvRmT3_T4_T5_T6_T7_T9_mT8_P12ihipStream_tbDpT10_ENKUlT_T0_E_clISt17integral_constantIbLb1EES19_EEDaS14_S15_EUlS14_E_NS1_11comp_targetILNS1_3genE0ELNS1_11target_archE4294967295ELNS1_3gpuE0ELNS1_3repE0EEENS1_30default_config_static_selectorELNS0_4arch9wavefront6targetE0EEEvT1_.has_recursion, 0
	.set _ZN7rocprim17ROCPRIM_400000_NS6detail17trampoline_kernelINS0_14default_configENS1_25partition_config_selectorILNS1_17partition_subalgoE9EllbEEZZNS1_14partition_implILS5_9ELb0ES3_jPKlN6thrust23THRUST_200600_302600_NS17counting_iteratorIlNSB_11use_defaultESD_SD_EEPNS0_10empty_typeENS0_5tupleIJPlSF_EEENSH_IJSI_SG_EEENS0_18inequality_wrapperIN6hipcub16HIPCUB_304000_NS8EqualityEEESI_JSF_EEE10hipError_tPvRmT3_T4_T5_T6_T7_T9_mT8_P12ihipStream_tbDpT10_ENKUlT_T0_E_clISt17integral_constantIbLb1EES19_EEDaS14_S15_EUlS14_E_NS1_11comp_targetILNS1_3genE0ELNS1_11target_archE4294967295ELNS1_3gpuE0ELNS1_3repE0EEENS1_30default_config_static_selectorELNS0_4arch9wavefront6targetE0EEEvT1_.has_indirect_call, 0
	.section	.AMDGPU.csdata,"",@progbits
; Kernel info:
; codeLenInByte = 0
; TotalNumSgprs: 0
; NumVgprs: 0
; ScratchSize: 0
; MemoryBound: 0
; FloatMode: 240
; IeeeMode: 1
; LDSByteSize: 0 bytes/workgroup (compile time only)
; SGPRBlocks: 0
; VGPRBlocks: 0
; NumSGPRsForWavesPerEU: 1
; NumVGPRsForWavesPerEU: 1
; Occupancy: 16
; WaveLimiterHint : 0
; COMPUTE_PGM_RSRC2:SCRATCH_EN: 0
; COMPUTE_PGM_RSRC2:USER_SGPR: 2
; COMPUTE_PGM_RSRC2:TRAP_HANDLER: 0
; COMPUTE_PGM_RSRC2:TGID_X_EN: 1
; COMPUTE_PGM_RSRC2:TGID_Y_EN: 0
; COMPUTE_PGM_RSRC2:TGID_Z_EN: 0
; COMPUTE_PGM_RSRC2:TIDIG_COMP_CNT: 0
	.section	.text._ZN7rocprim17ROCPRIM_400000_NS6detail17trampoline_kernelINS0_14default_configENS1_25partition_config_selectorILNS1_17partition_subalgoE9EllbEEZZNS1_14partition_implILS5_9ELb0ES3_jPKlN6thrust23THRUST_200600_302600_NS17counting_iteratorIlNSB_11use_defaultESD_SD_EEPNS0_10empty_typeENS0_5tupleIJPlSF_EEENSH_IJSI_SG_EEENS0_18inequality_wrapperIN6hipcub16HIPCUB_304000_NS8EqualityEEESI_JSF_EEE10hipError_tPvRmT3_T4_T5_T6_T7_T9_mT8_P12ihipStream_tbDpT10_ENKUlT_T0_E_clISt17integral_constantIbLb1EES19_EEDaS14_S15_EUlS14_E_NS1_11comp_targetILNS1_3genE5ELNS1_11target_archE942ELNS1_3gpuE9ELNS1_3repE0EEENS1_30default_config_static_selectorELNS0_4arch9wavefront6targetE0EEEvT1_,"axG",@progbits,_ZN7rocprim17ROCPRIM_400000_NS6detail17trampoline_kernelINS0_14default_configENS1_25partition_config_selectorILNS1_17partition_subalgoE9EllbEEZZNS1_14partition_implILS5_9ELb0ES3_jPKlN6thrust23THRUST_200600_302600_NS17counting_iteratorIlNSB_11use_defaultESD_SD_EEPNS0_10empty_typeENS0_5tupleIJPlSF_EEENSH_IJSI_SG_EEENS0_18inequality_wrapperIN6hipcub16HIPCUB_304000_NS8EqualityEEESI_JSF_EEE10hipError_tPvRmT3_T4_T5_T6_T7_T9_mT8_P12ihipStream_tbDpT10_ENKUlT_T0_E_clISt17integral_constantIbLb1EES19_EEDaS14_S15_EUlS14_E_NS1_11comp_targetILNS1_3genE5ELNS1_11target_archE942ELNS1_3gpuE9ELNS1_3repE0EEENS1_30default_config_static_selectorELNS0_4arch9wavefront6targetE0EEEvT1_,comdat
	.protected	_ZN7rocprim17ROCPRIM_400000_NS6detail17trampoline_kernelINS0_14default_configENS1_25partition_config_selectorILNS1_17partition_subalgoE9EllbEEZZNS1_14partition_implILS5_9ELb0ES3_jPKlN6thrust23THRUST_200600_302600_NS17counting_iteratorIlNSB_11use_defaultESD_SD_EEPNS0_10empty_typeENS0_5tupleIJPlSF_EEENSH_IJSI_SG_EEENS0_18inequality_wrapperIN6hipcub16HIPCUB_304000_NS8EqualityEEESI_JSF_EEE10hipError_tPvRmT3_T4_T5_T6_T7_T9_mT8_P12ihipStream_tbDpT10_ENKUlT_T0_E_clISt17integral_constantIbLb1EES19_EEDaS14_S15_EUlS14_E_NS1_11comp_targetILNS1_3genE5ELNS1_11target_archE942ELNS1_3gpuE9ELNS1_3repE0EEENS1_30default_config_static_selectorELNS0_4arch9wavefront6targetE0EEEvT1_ ; -- Begin function _ZN7rocprim17ROCPRIM_400000_NS6detail17trampoline_kernelINS0_14default_configENS1_25partition_config_selectorILNS1_17partition_subalgoE9EllbEEZZNS1_14partition_implILS5_9ELb0ES3_jPKlN6thrust23THRUST_200600_302600_NS17counting_iteratorIlNSB_11use_defaultESD_SD_EEPNS0_10empty_typeENS0_5tupleIJPlSF_EEENSH_IJSI_SG_EEENS0_18inequality_wrapperIN6hipcub16HIPCUB_304000_NS8EqualityEEESI_JSF_EEE10hipError_tPvRmT3_T4_T5_T6_T7_T9_mT8_P12ihipStream_tbDpT10_ENKUlT_T0_E_clISt17integral_constantIbLb1EES19_EEDaS14_S15_EUlS14_E_NS1_11comp_targetILNS1_3genE5ELNS1_11target_archE942ELNS1_3gpuE9ELNS1_3repE0EEENS1_30default_config_static_selectorELNS0_4arch9wavefront6targetE0EEEvT1_
	.globl	_ZN7rocprim17ROCPRIM_400000_NS6detail17trampoline_kernelINS0_14default_configENS1_25partition_config_selectorILNS1_17partition_subalgoE9EllbEEZZNS1_14partition_implILS5_9ELb0ES3_jPKlN6thrust23THRUST_200600_302600_NS17counting_iteratorIlNSB_11use_defaultESD_SD_EEPNS0_10empty_typeENS0_5tupleIJPlSF_EEENSH_IJSI_SG_EEENS0_18inequality_wrapperIN6hipcub16HIPCUB_304000_NS8EqualityEEESI_JSF_EEE10hipError_tPvRmT3_T4_T5_T6_T7_T9_mT8_P12ihipStream_tbDpT10_ENKUlT_T0_E_clISt17integral_constantIbLb1EES19_EEDaS14_S15_EUlS14_E_NS1_11comp_targetILNS1_3genE5ELNS1_11target_archE942ELNS1_3gpuE9ELNS1_3repE0EEENS1_30default_config_static_selectorELNS0_4arch9wavefront6targetE0EEEvT1_
	.p2align	8
	.type	_ZN7rocprim17ROCPRIM_400000_NS6detail17trampoline_kernelINS0_14default_configENS1_25partition_config_selectorILNS1_17partition_subalgoE9EllbEEZZNS1_14partition_implILS5_9ELb0ES3_jPKlN6thrust23THRUST_200600_302600_NS17counting_iteratorIlNSB_11use_defaultESD_SD_EEPNS0_10empty_typeENS0_5tupleIJPlSF_EEENSH_IJSI_SG_EEENS0_18inequality_wrapperIN6hipcub16HIPCUB_304000_NS8EqualityEEESI_JSF_EEE10hipError_tPvRmT3_T4_T5_T6_T7_T9_mT8_P12ihipStream_tbDpT10_ENKUlT_T0_E_clISt17integral_constantIbLb1EES19_EEDaS14_S15_EUlS14_E_NS1_11comp_targetILNS1_3genE5ELNS1_11target_archE942ELNS1_3gpuE9ELNS1_3repE0EEENS1_30default_config_static_selectorELNS0_4arch9wavefront6targetE0EEEvT1_,@function
_ZN7rocprim17ROCPRIM_400000_NS6detail17trampoline_kernelINS0_14default_configENS1_25partition_config_selectorILNS1_17partition_subalgoE9EllbEEZZNS1_14partition_implILS5_9ELb0ES3_jPKlN6thrust23THRUST_200600_302600_NS17counting_iteratorIlNSB_11use_defaultESD_SD_EEPNS0_10empty_typeENS0_5tupleIJPlSF_EEENSH_IJSI_SG_EEENS0_18inequality_wrapperIN6hipcub16HIPCUB_304000_NS8EqualityEEESI_JSF_EEE10hipError_tPvRmT3_T4_T5_T6_T7_T9_mT8_P12ihipStream_tbDpT10_ENKUlT_T0_E_clISt17integral_constantIbLb1EES19_EEDaS14_S15_EUlS14_E_NS1_11comp_targetILNS1_3genE5ELNS1_11target_archE942ELNS1_3gpuE9ELNS1_3repE0EEENS1_30default_config_static_selectorELNS0_4arch9wavefront6targetE0EEEvT1_: ; @_ZN7rocprim17ROCPRIM_400000_NS6detail17trampoline_kernelINS0_14default_configENS1_25partition_config_selectorILNS1_17partition_subalgoE9EllbEEZZNS1_14partition_implILS5_9ELb0ES3_jPKlN6thrust23THRUST_200600_302600_NS17counting_iteratorIlNSB_11use_defaultESD_SD_EEPNS0_10empty_typeENS0_5tupleIJPlSF_EEENSH_IJSI_SG_EEENS0_18inequality_wrapperIN6hipcub16HIPCUB_304000_NS8EqualityEEESI_JSF_EEE10hipError_tPvRmT3_T4_T5_T6_T7_T9_mT8_P12ihipStream_tbDpT10_ENKUlT_T0_E_clISt17integral_constantIbLb1EES19_EEDaS14_S15_EUlS14_E_NS1_11comp_targetILNS1_3genE5ELNS1_11target_archE942ELNS1_3gpuE9ELNS1_3repE0EEENS1_30default_config_static_selectorELNS0_4arch9wavefront6targetE0EEEvT1_
; %bb.0:
	.section	.rodata,"a",@progbits
	.p2align	6, 0x0
	.amdhsa_kernel _ZN7rocprim17ROCPRIM_400000_NS6detail17trampoline_kernelINS0_14default_configENS1_25partition_config_selectorILNS1_17partition_subalgoE9EllbEEZZNS1_14partition_implILS5_9ELb0ES3_jPKlN6thrust23THRUST_200600_302600_NS17counting_iteratorIlNSB_11use_defaultESD_SD_EEPNS0_10empty_typeENS0_5tupleIJPlSF_EEENSH_IJSI_SG_EEENS0_18inequality_wrapperIN6hipcub16HIPCUB_304000_NS8EqualityEEESI_JSF_EEE10hipError_tPvRmT3_T4_T5_T6_T7_T9_mT8_P12ihipStream_tbDpT10_ENKUlT_T0_E_clISt17integral_constantIbLb1EES19_EEDaS14_S15_EUlS14_E_NS1_11comp_targetILNS1_3genE5ELNS1_11target_archE942ELNS1_3gpuE9ELNS1_3repE0EEENS1_30default_config_static_selectorELNS0_4arch9wavefront6targetE0EEEvT1_
		.amdhsa_group_segment_fixed_size 0
		.amdhsa_private_segment_fixed_size 0
		.amdhsa_kernarg_size 128
		.amdhsa_user_sgpr_count 2
		.amdhsa_user_sgpr_dispatch_ptr 0
		.amdhsa_user_sgpr_queue_ptr 0
		.amdhsa_user_sgpr_kernarg_segment_ptr 1
		.amdhsa_user_sgpr_dispatch_id 0
		.amdhsa_user_sgpr_private_segment_size 0
		.amdhsa_wavefront_size32 1
		.amdhsa_uses_dynamic_stack 0
		.amdhsa_enable_private_segment 0
		.amdhsa_system_sgpr_workgroup_id_x 1
		.amdhsa_system_sgpr_workgroup_id_y 0
		.amdhsa_system_sgpr_workgroup_id_z 0
		.amdhsa_system_sgpr_workgroup_info 0
		.amdhsa_system_vgpr_workitem_id 0
		.amdhsa_next_free_vgpr 1
		.amdhsa_next_free_sgpr 1
		.amdhsa_reserve_vcc 0
		.amdhsa_float_round_mode_32 0
		.amdhsa_float_round_mode_16_64 0
		.amdhsa_float_denorm_mode_32 3
		.amdhsa_float_denorm_mode_16_64 3
		.amdhsa_fp16_overflow 0
		.amdhsa_workgroup_processor_mode 1
		.amdhsa_memory_ordered 1
		.amdhsa_forward_progress 1
		.amdhsa_inst_pref_size 0
		.amdhsa_round_robin_scheduling 0
		.amdhsa_exception_fp_ieee_invalid_op 0
		.amdhsa_exception_fp_denorm_src 0
		.amdhsa_exception_fp_ieee_div_zero 0
		.amdhsa_exception_fp_ieee_overflow 0
		.amdhsa_exception_fp_ieee_underflow 0
		.amdhsa_exception_fp_ieee_inexact 0
		.amdhsa_exception_int_div_zero 0
	.end_amdhsa_kernel
	.section	.text._ZN7rocprim17ROCPRIM_400000_NS6detail17trampoline_kernelINS0_14default_configENS1_25partition_config_selectorILNS1_17partition_subalgoE9EllbEEZZNS1_14partition_implILS5_9ELb0ES3_jPKlN6thrust23THRUST_200600_302600_NS17counting_iteratorIlNSB_11use_defaultESD_SD_EEPNS0_10empty_typeENS0_5tupleIJPlSF_EEENSH_IJSI_SG_EEENS0_18inequality_wrapperIN6hipcub16HIPCUB_304000_NS8EqualityEEESI_JSF_EEE10hipError_tPvRmT3_T4_T5_T6_T7_T9_mT8_P12ihipStream_tbDpT10_ENKUlT_T0_E_clISt17integral_constantIbLb1EES19_EEDaS14_S15_EUlS14_E_NS1_11comp_targetILNS1_3genE5ELNS1_11target_archE942ELNS1_3gpuE9ELNS1_3repE0EEENS1_30default_config_static_selectorELNS0_4arch9wavefront6targetE0EEEvT1_,"axG",@progbits,_ZN7rocprim17ROCPRIM_400000_NS6detail17trampoline_kernelINS0_14default_configENS1_25partition_config_selectorILNS1_17partition_subalgoE9EllbEEZZNS1_14partition_implILS5_9ELb0ES3_jPKlN6thrust23THRUST_200600_302600_NS17counting_iteratorIlNSB_11use_defaultESD_SD_EEPNS0_10empty_typeENS0_5tupleIJPlSF_EEENSH_IJSI_SG_EEENS0_18inequality_wrapperIN6hipcub16HIPCUB_304000_NS8EqualityEEESI_JSF_EEE10hipError_tPvRmT3_T4_T5_T6_T7_T9_mT8_P12ihipStream_tbDpT10_ENKUlT_T0_E_clISt17integral_constantIbLb1EES19_EEDaS14_S15_EUlS14_E_NS1_11comp_targetILNS1_3genE5ELNS1_11target_archE942ELNS1_3gpuE9ELNS1_3repE0EEENS1_30default_config_static_selectorELNS0_4arch9wavefront6targetE0EEEvT1_,comdat
.Lfunc_end53:
	.size	_ZN7rocprim17ROCPRIM_400000_NS6detail17trampoline_kernelINS0_14default_configENS1_25partition_config_selectorILNS1_17partition_subalgoE9EllbEEZZNS1_14partition_implILS5_9ELb0ES3_jPKlN6thrust23THRUST_200600_302600_NS17counting_iteratorIlNSB_11use_defaultESD_SD_EEPNS0_10empty_typeENS0_5tupleIJPlSF_EEENSH_IJSI_SG_EEENS0_18inequality_wrapperIN6hipcub16HIPCUB_304000_NS8EqualityEEESI_JSF_EEE10hipError_tPvRmT3_T4_T5_T6_T7_T9_mT8_P12ihipStream_tbDpT10_ENKUlT_T0_E_clISt17integral_constantIbLb1EES19_EEDaS14_S15_EUlS14_E_NS1_11comp_targetILNS1_3genE5ELNS1_11target_archE942ELNS1_3gpuE9ELNS1_3repE0EEENS1_30default_config_static_selectorELNS0_4arch9wavefront6targetE0EEEvT1_, .Lfunc_end53-_ZN7rocprim17ROCPRIM_400000_NS6detail17trampoline_kernelINS0_14default_configENS1_25partition_config_selectorILNS1_17partition_subalgoE9EllbEEZZNS1_14partition_implILS5_9ELb0ES3_jPKlN6thrust23THRUST_200600_302600_NS17counting_iteratorIlNSB_11use_defaultESD_SD_EEPNS0_10empty_typeENS0_5tupleIJPlSF_EEENSH_IJSI_SG_EEENS0_18inequality_wrapperIN6hipcub16HIPCUB_304000_NS8EqualityEEESI_JSF_EEE10hipError_tPvRmT3_T4_T5_T6_T7_T9_mT8_P12ihipStream_tbDpT10_ENKUlT_T0_E_clISt17integral_constantIbLb1EES19_EEDaS14_S15_EUlS14_E_NS1_11comp_targetILNS1_3genE5ELNS1_11target_archE942ELNS1_3gpuE9ELNS1_3repE0EEENS1_30default_config_static_selectorELNS0_4arch9wavefront6targetE0EEEvT1_
                                        ; -- End function
	.set _ZN7rocprim17ROCPRIM_400000_NS6detail17trampoline_kernelINS0_14default_configENS1_25partition_config_selectorILNS1_17partition_subalgoE9EllbEEZZNS1_14partition_implILS5_9ELb0ES3_jPKlN6thrust23THRUST_200600_302600_NS17counting_iteratorIlNSB_11use_defaultESD_SD_EEPNS0_10empty_typeENS0_5tupleIJPlSF_EEENSH_IJSI_SG_EEENS0_18inequality_wrapperIN6hipcub16HIPCUB_304000_NS8EqualityEEESI_JSF_EEE10hipError_tPvRmT3_T4_T5_T6_T7_T9_mT8_P12ihipStream_tbDpT10_ENKUlT_T0_E_clISt17integral_constantIbLb1EES19_EEDaS14_S15_EUlS14_E_NS1_11comp_targetILNS1_3genE5ELNS1_11target_archE942ELNS1_3gpuE9ELNS1_3repE0EEENS1_30default_config_static_selectorELNS0_4arch9wavefront6targetE0EEEvT1_.num_vgpr, 0
	.set _ZN7rocprim17ROCPRIM_400000_NS6detail17trampoline_kernelINS0_14default_configENS1_25partition_config_selectorILNS1_17partition_subalgoE9EllbEEZZNS1_14partition_implILS5_9ELb0ES3_jPKlN6thrust23THRUST_200600_302600_NS17counting_iteratorIlNSB_11use_defaultESD_SD_EEPNS0_10empty_typeENS0_5tupleIJPlSF_EEENSH_IJSI_SG_EEENS0_18inequality_wrapperIN6hipcub16HIPCUB_304000_NS8EqualityEEESI_JSF_EEE10hipError_tPvRmT3_T4_T5_T6_T7_T9_mT8_P12ihipStream_tbDpT10_ENKUlT_T0_E_clISt17integral_constantIbLb1EES19_EEDaS14_S15_EUlS14_E_NS1_11comp_targetILNS1_3genE5ELNS1_11target_archE942ELNS1_3gpuE9ELNS1_3repE0EEENS1_30default_config_static_selectorELNS0_4arch9wavefront6targetE0EEEvT1_.num_agpr, 0
	.set _ZN7rocprim17ROCPRIM_400000_NS6detail17trampoline_kernelINS0_14default_configENS1_25partition_config_selectorILNS1_17partition_subalgoE9EllbEEZZNS1_14partition_implILS5_9ELb0ES3_jPKlN6thrust23THRUST_200600_302600_NS17counting_iteratorIlNSB_11use_defaultESD_SD_EEPNS0_10empty_typeENS0_5tupleIJPlSF_EEENSH_IJSI_SG_EEENS0_18inequality_wrapperIN6hipcub16HIPCUB_304000_NS8EqualityEEESI_JSF_EEE10hipError_tPvRmT3_T4_T5_T6_T7_T9_mT8_P12ihipStream_tbDpT10_ENKUlT_T0_E_clISt17integral_constantIbLb1EES19_EEDaS14_S15_EUlS14_E_NS1_11comp_targetILNS1_3genE5ELNS1_11target_archE942ELNS1_3gpuE9ELNS1_3repE0EEENS1_30default_config_static_selectorELNS0_4arch9wavefront6targetE0EEEvT1_.numbered_sgpr, 0
	.set _ZN7rocprim17ROCPRIM_400000_NS6detail17trampoline_kernelINS0_14default_configENS1_25partition_config_selectorILNS1_17partition_subalgoE9EllbEEZZNS1_14partition_implILS5_9ELb0ES3_jPKlN6thrust23THRUST_200600_302600_NS17counting_iteratorIlNSB_11use_defaultESD_SD_EEPNS0_10empty_typeENS0_5tupleIJPlSF_EEENSH_IJSI_SG_EEENS0_18inequality_wrapperIN6hipcub16HIPCUB_304000_NS8EqualityEEESI_JSF_EEE10hipError_tPvRmT3_T4_T5_T6_T7_T9_mT8_P12ihipStream_tbDpT10_ENKUlT_T0_E_clISt17integral_constantIbLb1EES19_EEDaS14_S15_EUlS14_E_NS1_11comp_targetILNS1_3genE5ELNS1_11target_archE942ELNS1_3gpuE9ELNS1_3repE0EEENS1_30default_config_static_selectorELNS0_4arch9wavefront6targetE0EEEvT1_.num_named_barrier, 0
	.set _ZN7rocprim17ROCPRIM_400000_NS6detail17trampoline_kernelINS0_14default_configENS1_25partition_config_selectorILNS1_17partition_subalgoE9EllbEEZZNS1_14partition_implILS5_9ELb0ES3_jPKlN6thrust23THRUST_200600_302600_NS17counting_iteratorIlNSB_11use_defaultESD_SD_EEPNS0_10empty_typeENS0_5tupleIJPlSF_EEENSH_IJSI_SG_EEENS0_18inequality_wrapperIN6hipcub16HIPCUB_304000_NS8EqualityEEESI_JSF_EEE10hipError_tPvRmT3_T4_T5_T6_T7_T9_mT8_P12ihipStream_tbDpT10_ENKUlT_T0_E_clISt17integral_constantIbLb1EES19_EEDaS14_S15_EUlS14_E_NS1_11comp_targetILNS1_3genE5ELNS1_11target_archE942ELNS1_3gpuE9ELNS1_3repE0EEENS1_30default_config_static_selectorELNS0_4arch9wavefront6targetE0EEEvT1_.private_seg_size, 0
	.set _ZN7rocprim17ROCPRIM_400000_NS6detail17trampoline_kernelINS0_14default_configENS1_25partition_config_selectorILNS1_17partition_subalgoE9EllbEEZZNS1_14partition_implILS5_9ELb0ES3_jPKlN6thrust23THRUST_200600_302600_NS17counting_iteratorIlNSB_11use_defaultESD_SD_EEPNS0_10empty_typeENS0_5tupleIJPlSF_EEENSH_IJSI_SG_EEENS0_18inequality_wrapperIN6hipcub16HIPCUB_304000_NS8EqualityEEESI_JSF_EEE10hipError_tPvRmT3_T4_T5_T6_T7_T9_mT8_P12ihipStream_tbDpT10_ENKUlT_T0_E_clISt17integral_constantIbLb1EES19_EEDaS14_S15_EUlS14_E_NS1_11comp_targetILNS1_3genE5ELNS1_11target_archE942ELNS1_3gpuE9ELNS1_3repE0EEENS1_30default_config_static_selectorELNS0_4arch9wavefront6targetE0EEEvT1_.uses_vcc, 0
	.set _ZN7rocprim17ROCPRIM_400000_NS6detail17trampoline_kernelINS0_14default_configENS1_25partition_config_selectorILNS1_17partition_subalgoE9EllbEEZZNS1_14partition_implILS5_9ELb0ES3_jPKlN6thrust23THRUST_200600_302600_NS17counting_iteratorIlNSB_11use_defaultESD_SD_EEPNS0_10empty_typeENS0_5tupleIJPlSF_EEENSH_IJSI_SG_EEENS0_18inequality_wrapperIN6hipcub16HIPCUB_304000_NS8EqualityEEESI_JSF_EEE10hipError_tPvRmT3_T4_T5_T6_T7_T9_mT8_P12ihipStream_tbDpT10_ENKUlT_T0_E_clISt17integral_constantIbLb1EES19_EEDaS14_S15_EUlS14_E_NS1_11comp_targetILNS1_3genE5ELNS1_11target_archE942ELNS1_3gpuE9ELNS1_3repE0EEENS1_30default_config_static_selectorELNS0_4arch9wavefront6targetE0EEEvT1_.uses_flat_scratch, 0
	.set _ZN7rocprim17ROCPRIM_400000_NS6detail17trampoline_kernelINS0_14default_configENS1_25partition_config_selectorILNS1_17partition_subalgoE9EllbEEZZNS1_14partition_implILS5_9ELb0ES3_jPKlN6thrust23THRUST_200600_302600_NS17counting_iteratorIlNSB_11use_defaultESD_SD_EEPNS0_10empty_typeENS0_5tupleIJPlSF_EEENSH_IJSI_SG_EEENS0_18inequality_wrapperIN6hipcub16HIPCUB_304000_NS8EqualityEEESI_JSF_EEE10hipError_tPvRmT3_T4_T5_T6_T7_T9_mT8_P12ihipStream_tbDpT10_ENKUlT_T0_E_clISt17integral_constantIbLb1EES19_EEDaS14_S15_EUlS14_E_NS1_11comp_targetILNS1_3genE5ELNS1_11target_archE942ELNS1_3gpuE9ELNS1_3repE0EEENS1_30default_config_static_selectorELNS0_4arch9wavefront6targetE0EEEvT1_.has_dyn_sized_stack, 0
	.set _ZN7rocprim17ROCPRIM_400000_NS6detail17trampoline_kernelINS0_14default_configENS1_25partition_config_selectorILNS1_17partition_subalgoE9EllbEEZZNS1_14partition_implILS5_9ELb0ES3_jPKlN6thrust23THRUST_200600_302600_NS17counting_iteratorIlNSB_11use_defaultESD_SD_EEPNS0_10empty_typeENS0_5tupleIJPlSF_EEENSH_IJSI_SG_EEENS0_18inequality_wrapperIN6hipcub16HIPCUB_304000_NS8EqualityEEESI_JSF_EEE10hipError_tPvRmT3_T4_T5_T6_T7_T9_mT8_P12ihipStream_tbDpT10_ENKUlT_T0_E_clISt17integral_constantIbLb1EES19_EEDaS14_S15_EUlS14_E_NS1_11comp_targetILNS1_3genE5ELNS1_11target_archE942ELNS1_3gpuE9ELNS1_3repE0EEENS1_30default_config_static_selectorELNS0_4arch9wavefront6targetE0EEEvT1_.has_recursion, 0
	.set _ZN7rocprim17ROCPRIM_400000_NS6detail17trampoline_kernelINS0_14default_configENS1_25partition_config_selectorILNS1_17partition_subalgoE9EllbEEZZNS1_14partition_implILS5_9ELb0ES3_jPKlN6thrust23THRUST_200600_302600_NS17counting_iteratorIlNSB_11use_defaultESD_SD_EEPNS0_10empty_typeENS0_5tupleIJPlSF_EEENSH_IJSI_SG_EEENS0_18inequality_wrapperIN6hipcub16HIPCUB_304000_NS8EqualityEEESI_JSF_EEE10hipError_tPvRmT3_T4_T5_T6_T7_T9_mT8_P12ihipStream_tbDpT10_ENKUlT_T0_E_clISt17integral_constantIbLb1EES19_EEDaS14_S15_EUlS14_E_NS1_11comp_targetILNS1_3genE5ELNS1_11target_archE942ELNS1_3gpuE9ELNS1_3repE0EEENS1_30default_config_static_selectorELNS0_4arch9wavefront6targetE0EEEvT1_.has_indirect_call, 0
	.section	.AMDGPU.csdata,"",@progbits
; Kernel info:
; codeLenInByte = 0
; TotalNumSgprs: 0
; NumVgprs: 0
; ScratchSize: 0
; MemoryBound: 0
; FloatMode: 240
; IeeeMode: 1
; LDSByteSize: 0 bytes/workgroup (compile time only)
; SGPRBlocks: 0
; VGPRBlocks: 0
; NumSGPRsForWavesPerEU: 1
; NumVGPRsForWavesPerEU: 1
; Occupancy: 16
; WaveLimiterHint : 0
; COMPUTE_PGM_RSRC2:SCRATCH_EN: 0
; COMPUTE_PGM_RSRC2:USER_SGPR: 2
; COMPUTE_PGM_RSRC2:TRAP_HANDLER: 0
; COMPUTE_PGM_RSRC2:TGID_X_EN: 1
; COMPUTE_PGM_RSRC2:TGID_Y_EN: 0
; COMPUTE_PGM_RSRC2:TGID_Z_EN: 0
; COMPUTE_PGM_RSRC2:TIDIG_COMP_CNT: 0
	.section	.text._ZN7rocprim17ROCPRIM_400000_NS6detail17trampoline_kernelINS0_14default_configENS1_25partition_config_selectorILNS1_17partition_subalgoE9EllbEEZZNS1_14partition_implILS5_9ELb0ES3_jPKlN6thrust23THRUST_200600_302600_NS17counting_iteratorIlNSB_11use_defaultESD_SD_EEPNS0_10empty_typeENS0_5tupleIJPlSF_EEENSH_IJSI_SG_EEENS0_18inequality_wrapperIN6hipcub16HIPCUB_304000_NS8EqualityEEESI_JSF_EEE10hipError_tPvRmT3_T4_T5_T6_T7_T9_mT8_P12ihipStream_tbDpT10_ENKUlT_T0_E_clISt17integral_constantIbLb1EES19_EEDaS14_S15_EUlS14_E_NS1_11comp_targetILNS1_3genE4ELNS1_11target_archE910ELNS1_3gpuE8ELNS1_3repE0EEENS1_30default_config_static_selectorELNS0_4arch9wavefront6targetE0EEEvT1_,"axG",@progbits,_ZN7rocprim17ROCPRIM_400000_NS6detail17trampoline_kernelINS0_14default_configENS1_25partition_config_selectorILNS1_17partition_subalgoE9EllbEEZZNS1_14partition_implILS5_9ELb0ES3_jPKlN6thrust23THRUST_200600_302600_NS17counting_iteratorIlNSB_11use_defaultESD_SD_EEPNS0_10empty_typeENS0_5tupleIJPlSF_EEENSH_IJSI_SG_EEENS0_18inequality_wrapperIN6hipcub16HIPCUB_304000_NS8EqualityEEESI_JSF_EEE10hipError_tPvRmT3_T4_T5_T6_T7_T9_mT8_P12ihipStream_tbDpT10_ENKUlT_T0_E_clISt17integral_constantIbLb1EES19_EEDaS14_S15_EUlS14_E_NS1_11comp_targetILNS1_3genE4ELNS1_11target_archE910ELNS1_3gpuE8ELNS1_3repE0EEENS1_30default_config_static_selectorELNS0_4arch9wavefront6targetE0EEEvT1_,comdat
	.protected	_ZN7rocprim17ROCPRIM_400000_NS6detail17trampoline_kernelINS0_14default_configENS1_25partition_config_selectorILNS1_17partition_subalgoE9EllbEEZZNS1_14partition_implILS5_9ELb0ES3_jPKlN6thrust23THRUST_200600_302600_NS17counting_iteratorIlNSB_11use_defaultESD_SD_EEPNS0_10empty_typeENS0_5tupleIJPlSF_EEENSH_IJSI_SG_EEENS0_18inequality_wrapperIN6hipcub16HIPCUB_304000_NS8EqualityEEESI_JSF_EEE10hipError_tPvRmT3_T4_T5_T6_T7_T9_mT8_P12ihipStream_tbDpT10_ENKUlT_T0_E_clISt17integral_constantIbLb1EES19_EEDaS14_S15_EUlS14_E_NS1_11comp_targetILNS1_3genE4ELNS1_11target_archE910ELNS1_3gpuE8ELNS1_3repE0EEENS1_30default_config_static_selectorELNS0_4arch9wavefront6targetE0EEEvT1_ ; -- Begin function _ZN7rocprim17ROCPRIM_400000_NS6detail17trampoline_kernelINS0_14default_configENS1_25partition_config_selectorILNS1_17partition_subalgoE9EllbEEZZNS1_14partition_implILS5_9ELb0ES3_jPKlN6thrust23THRUST_200600_302600_NS17counting_iteratorIlNSB_11use_defaultESD_SD_EEPNS0_10empty_typeENS0_5tupleIJPlSF_EEENSH_IJSI_SG_EEENS0_18inequality_wrapperIN6hipcub16HIPCUB_304000_NS8EqualityEEESI_JSF_EEE10hipError_tPvRmT3_T4_T5_T6_T7_T9_mT8_P12ihipStream_tbDpT10_ENKUlT_T0_E_clISt17integral_constantIbLb1EES19_EEDaS14_S15_EUlS14_E_NS1_11comp_targetILNS1_3genE4ELNS1_11target_archE910ELNS1_3gpuE8ELNS1_3repE0EEENS1_30default_config_static_selectorELNS0_4arch9wavefront6targetE0EEEvT1_
	.globl	_ZN7rocprim17ROCPRIM_400000_NS6detail17trampoline_kernelINS0_14default_configENS1_25partition_config_selectorILNS1_17partition_subalgoE9EllbEEZZNS1_14partition_implILS5_9ELb0ES3_jPKlN6thrust23THRUST_200600_302600_NS17counting_iteratorIlNSB_11use_defaultESD_SD_EEPNS0_10empty_typeENS0_5tupleIJPlSF_EEENSH_IJSI_SG_EEENS0_18inequality_wrapperIN6hipcub16HIPCUB_304000_NS8EqualityEEESI_JSF_EEE10hipError_tPvRmT3_T4_T5_T6_T7_T9_mT8_P12ihipStream_tbDpT10_ENKUlT_T0_E_clISt17integral_constantIbLb1EES19_EEDaS14_S15_EUlS14_E_NS1_11comp_targetILNS1_3genE4ELNS1_11target_archE910ELNS1_3gpuE8ELNS1_3repE0EEENS1_30default_config_static_selectorELNS0_4arch9wavefront6targetE0EEEvT1_
	.p2align	8
	.type	_ZN7rocprim17ROCPRIM_400000_NS6detail17trampoline_kernelINS0_14default_configENS1_25partition_config_selectorILNS1_17partition_subalgoE9EllbEEZZNS1_14partition_implILS5_9ELb0ES3_jPKlN6thrust23THRUST_200600_302600_NS17counting_iteratorIlNSB_11use_defaultESD_SD_EEPNS0_10empty_typeENS0_5tupleIJPlSF_EEENSH_IJSI_SG_EEENS0_18inequality_wrapperIN6hipcub16HIPCUB_304000_NS8EqualityEEESI_JSF_EEE10hipError_tPvRmT3_T4_T5_T6_T7_T9_mT8_P12ihipStream_tbDpT10_ENKUlT_T0_E_clISt17integral_constantIbLb1EES19_EEDaS14_S15_EUlS14_E_NS1_11comp_targetILNS1_3genE4ELNS1_11target_archE910ELNS1_3gpuE8ELNS1_3repE0EEENS1_30default_config_static_selectorELNS0_4arch9wavefront6targetE0EEEvT1_,@function
_ZN7rocprim17ROCPRIM_400000_NS6detail17trampoline_kernelINS0_14default_configENS1_25partition_config_selectorILNS1_17partition_subalgoE9EllbEEZZNS1_14partition_implILS5_9ELb0ES3_jPKlN6thrust23THRUST_200600_302600_NS17counting_iteratorIlNSB_11use_defaultESD_SD_EEPNS0_10empty_typeENS0_5tupleIJPlSF_EEENSH_IJSI_SG_EEENS0_18inequality_wrapperIN6hipcub16HIPCUB_304000_NS8EqualityEEESI_JSF_EEE10hipError_tPvRmT3_T4_T5_T6_T7_T9_mT8_P12ihipStream_tbDpT10_ENKUlT_T0_E_clISt17integral_constantIbLb1EES19_EEDaS14_S15_EUlS14_E_NS1_11comp_targetILNS1_3genE4ELNS1_11target_archE910ELNS1_3gpuE8ELNS1_3repE0EEENS1_30default_config_static_selectorELNS0_4arch9wavefront6targetE0EEEvT1_: ; @_ZN7rocprim17ROCPRIM_400000_NS6detail17trampoline_kernelINS0_14default_configENS1_25partition_config_selectorILNS1_17partition_subalgoE9EllbEEZZNS1_14partition_implILS5_9ELb0ES3_jPKlN6thrust23THRUST_200600_302600_NS17counting_iteratorIlNSB_11use_defaultESD_SD_EEPNS0_10empty_typeENS0_5tupleIJPlSF_EEENSH_IJSI_SG_EEENS0_18inequality_wrapperIN6hipcub16HIPCUB_304000_NS8EqualityEEESI_JSF_EEE10hipError_tPvRmT3_T4_T5_T6_T7_T9_mT8_P12ihipStream_tbDpT10_ENKUlT_T0_E_clISt17integral_constantIbLb1EES19_EEDaS14_S15_EUlS14_E_NS1_11comp_targetILNS1_3genE4ELNS1_11target_archE910ELNS1_3gpuE8ELNS1_3repE0EEENS1_30default_config_static_selectorELNS0_4arch9wavefront6targetE0EEEvT1_
; %bb.0:
	.section	.rodata,"a",@progbits
	.p2align	6, 0x0
	.amdhsa_kernel _ZN7rocprim17ROCPRIM_400000_NS6detail17trampoline_kernelINS0_14default_configENS1_25partition_config_selectorILNS1_17partition_subalgoE9EllbEEZZNS1_14partition_implILS5_9ELb0ES3_jPKlN6thrust23THRUST_200600_302600_NS17counting_iteratorIlNSB_11use_defaultESD_SD_EEPNS0_10empty_typeENS0_5tupleIJPlSF_EEENSH_IJSI_SG_EEENS0_18inequality_wrapperIN6hipcub16HIPCUB_304000_NS8EqualityEEESI_JSF_EEE10hipError_tPvRmT3_T4_T5_T6_T7_T9_mT8_P12ihipStream_tbDpT10_ENKUlT_T0_E_clISt17integral_constantIbLb1EES19_EEDaS14_S15_EUlS14_E_NS1_11comp_targetILNS1_3genE4ELNS1_11target_archE910ELNS1_3gpuE8ELNS1_3repE0EEENS1_30default_config_static_selectorELNS0_4arch9wavefront6targetE0EEEvT1_
		.amdhsa_group_segment_fixed_size 0
		.amdhsa_private_segment_fixed_size 0
		.amdhsa_kernarg_size 128
		.amdhsa_user_sgpr_count 2
		.amdhsa_user_sgpr_dispatch_ptr 0
		.amdhsa_user_sgpr_queue_ptr 0
		.amdhsa_user_sgpr_kernarg_segment_ptr 1
		.amdhsa_user_sgpr_dispatch_id 0
		.amdhsa_user_sgpr_private_segment_size 0
		.amdhsa_wavefront_size32 1
		.amdhsa_uses_dynamic_stack 0
		.amdhsa_enable_private_segment 0
		.amdhsa_system_sgpr_workgroup_id_x 1
		.amdhsa_system_sgpr_workgroup_id_y 0
		.amdhsa_system_sgpr_workgroup_id_z 0
		.amdhsa_system_sgpr_workgroup_info 0
		.amdhsa_system_vgpr_workitem_id 0
		.amdhsa_next_free_vgpr 1
		.amdhsa_next_free_sgpr 1
		.amdhsa_reserve_vcc 0
		.amdhsa_float_round_mode_32 0
		.amdhsa_float_round_mode_16_64 0
		.amdhsa_float_denorm_mode_32 3
		.amdhsa_float_denorm_mode_16_64 3
		.amdhsa_fp16_overflow 0
		.amdhsa_workgroup_processor_mode 1
		.amdhsa_memory_ordered 1
		.amdhsa_forward_progress 1
		.amdhsa_inst_pref_size 0
		.amdhsa_round_robin_scheduling 0
		.amdhsa_exception_fp_ieee_invalid_op 0
		.amdhsa_exception_fp_denorm_src 0
		.amdhsa_exception_fp_ieee_div_zero 0
		.amdhsa_exception_fp_ieee_overflow 0
		.amdhsa_exception_fp_ieee_underflow 0
		.amdhsa_exception_fp_ieee_inexact 0
		.amdhsa_exception_int_div_zero 0
	.end_amdhsa_kernel
	.section	.text._ZN7rocprim17ROCPRIM_400000_NS6detail17trampoline_kernelINS0_14default_configENS1_25partition_config_selectorILNS1_17partition_subalgoE9EllbEEZZNS1_14partition_implILS5_9ELb0ES3_jPKlN6thrust23THRUST_200600_302600_NS17counting_iteratorIlNSB_11use_defaultESD_SD_EEPNS0_10empty_typeENS0_5tupleIJPlSF_EEENSH_IJSI_SG_EEENS0_18inequality_wrapperIN6hipcub16HIPCUB_304000_NS8EqualityEEESI_JSF_EEE10hipError_tPvRmT3_T4_T5_T6_T7_T9_mT8_P12ihipStream_tbDpT10_ENKUlT_T0_E_clISt17integral_constantIbLb1EES19_EEDaS14_S15_EUlS14_E_NS1_11comp_targetILNS1_3genE4ELNS1_11target_archE910ELNS1_3gpuE8ELNS1_3repE0EEENS1_30default_config_static_selectorELNS0_4arch9wavefront6targetE0EEEvT1_,"axG",@progbits,_ZN7rocprim17ROCPRIM_400000_NS6detail17trampoline_kernelINS0_14default_configENS1_25partition_config_selectorILNS1_17partition_subalgoE9EllbEEZZNS1_14partition_implILS5_9ELb0ES3_jPKlN6thrust23THRUST_200600_302600_NS17counting_iteratorIlNSB_11use_defaultESD_SD_EEPNS0_10empty_typeENS0_5tupleIJPlSF_EEENSH_IJSI_SG_EEENS0_18inequality_wrapperIN6hipcub16HIPCUB_304000_NS8EqualityEEESI_JSF_EEE10hipError_tPvRmT3_T4_T5_T6_T7_T9_mT8_P12ihipStream_tbDpT10_ENKUlT_T0_E_clISt17integral_constantIbLb1EES19_EEDaS14_S15_EUlS14_E_NS1_11comp_targetILNS1_3genE4ELNS1_11target_archE910ELNS1_3gpuE8ELNS1_3repE0EEENS1_30default_config_static_selectorELNS0_4arch9wavefront6targetE0EEEvT1_,comdat
.Lfunc_end54:
	.size	_ZN7rocprim17ROCPRIM_400000_NS6detail17trampoline_kernelINS0_14default_configENS1_25partition_config_selectorILNS1_17partition_subalgoE9EllbEEZZNS1_14partition_implILS5_9ELb0ES3_jPKlN6thrust23THRUST_200600_302600_NS17counting_iteratorIlNSB_11use_defaultESD_SD_EEPNS0_10empty_typeENS0_5tupleIJPlSF_EEENSH_IJSI_SG_EEENS0_18inequality_wrapperIN6hipcub16HIPCUB_304000_NS8EqualityEEESI_JSF_EEE10hipError_tPvRmT3_T4_T5_T6_T7_T9_mT8_P12ihipStream_tbDpT10_ENKUlT_T0_E_clISt17integral_constantIbLb1EES19_EEDaS14_S15_EUlS14_E_NS1_11comp_targetILNS1_3genE4ELNS1_11target_archE910ELNS1_3gpuE8ELNS1_3repE0EEENS1_30default_config_static_selectorELNS0_4arch9wavefront6targetE0EEEvT1_, .Lfunc_end54-_ZN7rocprim17ROCPRIM_400000_NS6detail17trampoline_kernelINS0_14default_configENS1_25partition_config_selectorILNS1_17partition_subalgoE9EllbEEZZNS1_14partition_implILS5_9ELb0ES3_jPKlN6thrust23THRUST_200600_302600_NS17counting_iteratorIlNSB_11use_defaultESD_SD_EEPNS0_10empty_typeENS0_5tupleIJPlSF_EEENSH_IJSI_SG_EEENS0_18inequality_wrapperIN6hipcub16HIPCUB_304000_NS8EqualityEEESI_JSF_EEE10hipError_tPvRmT3_T4_T5_T6_T7_T9_mT8_P12ihipStream_tbDpT10_ENKUlT_T0_E_clISt17integral_constantIbLb1EES19_EEDaS14_S15_EUlS14_E_NS1_11comp_targetILNS1_3genE4ELNS1_11target_archE910ELNS1_3gpuE8ELNS1_3repE0EEENS1_30default_config_static_selectorELNS0_4arch9wavefront6targetE0EEEvT1_
                                        ; -- End function
	.set _ZN7rocprim17ROCPRIM_400000_NS6detail17trampoline_kernelINS0_14default_configENS1_25partition_config_selectorILNS1_17partition_subalgoE9EllbEEZZNS1_14partition_implILS5_9ELb0ES3_jPKlN6thrust23THRUST_200600_302600_NS17counting_iteratorIlNSB_11use_defaultESD_SD_EEPNS0_10empty_typeENS0_5tupleIJPlSF_EEENSH_IJSI_SG_EEENS0_18inequality_wrapperIN6hipcub16HIPCUB_304000_NS8EqualityEEESI_JSF_EEE10hipError_tPvRmT3_T4_T5_T6_T7_T9_mT8_P12ihipStream_tbDpT10_ENKUlT_T0_E_clISt17integral_constantIbLb1EES19_EEDaS14_S15_EUlS14_E_NS1_11comp_targetILNS1_3genE4ELNS1_11target_archE910ELNS1_3gpuE8ELNS1_3repE0EEENS1_30default_config_static_selectorELNS0_4arch9wavefront6targetE0EEEvT1_.num_vgpr, 0
	.set _ZN7rocprim17ROCPRIM_400000_NS6detail17trampoline_kernelINS0_14default_configENS1_25partition_config_selectorILNS1_17partition_subalgoE9EllbEEZZNS1_14partition_implILS5_9ELb0ES3_jPKlN6thrust23THRUST_200600_302600_NS17counting_iteratorIlNSB_11use_defaultESD_SD_EEPNS0_10empty_typeENS0_5tupleIJPlSF_EEENSH_IJSI_SG_EEENS0_18inequality_wrapperIN6hipcub16HIPCUB_304000_NS8EqualityEEESI_JSF_EEE10hipError_tPvRmT3_T4_T5_T6_T7_T9_mT8_P12ihipStream_tbDpT10_ENKUlT_T0_E_clISt17integral_constantIbLb1EES19_EEDaS14_S15_EUlS14_E_NS1_11comp_targetILNS1_3genE4ELNS1_11target_archE910ELNS1_3gpuE8ELNS1_3repE0EEENS1_30default_config_static_selectorELNS0_4arch9wavefront6targetE0EEEvT1_.num_agpr, 0
	.set _ZN7rocprim17ROCPRIM_400000_NS6detail17trampoline_kernelINS0_14default_configENS1_25partition_config_selectorILNS1_17partition_subalgoE9EllbEEZZNS1_14partition_implILS5_9ELb0ES3_jPKlN6thrust23THRUST_200600_302600_NS17counting_iteratorIlNSB_11use_defaultESD_SD_EEPNS0_10empty_typeENS0_5tupleIJPlSF_EEENSH_IJSI_SG_EEENS0_18inequality_wrapperIN6hipcub16HIPCUB_304000_NS8EqualityEEESI_JSF_EEE10hipError_tPvRmT3_T4_T5_T6_T7_T9_mT8_P12ihipStream_tbDpT10_ENKUlT_T0_E_clISt17integral_constantIbLb1EES19_EEDaS14_S15_EUlS14_E_NS1_11comp_targetILNS1_3genE4ELNS1_11target_archE910ELNS1_3gpuE8ELNS1_3repE0EEENS1_30default_config_static_selectorELNS0_4arch9wavefront6targetE0EEEvT1_.numbered_sgpr, 0
	.set _ZN7rocprim17ROCPRIM_400000_NS6detail17trampoline_kernelINS0_14default_configENS1_25partition_config_selectorILNS1_17partition_subalgoE9EllbEEZZNS1_14partition_implILS5_9ELb0ES3_jPKlN6thrust23THRUST_200600_302600_NS17counting_iteratorIlNSB_11use_defaultESD_SD_EEPNS0_10empty_typeENS0_5tupleIJPlSF_EEENSH_IJSI_SG_EEENS0_18inequality_wrapperIN6hipcub16HIPCUB_304000_NS8EqualityEEESI_JSF_EEE10hipError_tPvRmT3_T4_T5_T6_T7_T9_mT8_P12ihipStream_tbDpT10_ENKUlT_T0_E_clISt17integral_constantIbLb1EES19_EEDaS14_S15_EUlS14_E_NS1_11comp_targetILNS1_3genE4ELNS1_11target_archE910ELNS1_3gpuE8ELNS1_3repE0EEENS1_30default_config_static_selectorELNS0_4arch9wavefront6targetE0EEEvT1_.num_named_barrier, 0
	.set _ZN7rocprim17ROCPRIM_400000_NS6detail17trampoline_kernelINS0_14default_configENS1_25partition_config_selectorILNS1_17partition_subalgoE9EllbEEZZNS1_14partition_implILS5_9ELb0ES3_jPKlN6thrust23THRUST_200600_302600_NS17counting_iteratorIlNSB_11use_defaultESD_SD_EEPNS0_10empty_typeENS0_5tupleIJPlSF_EEENSH_IJSI_SG_EEENS0_18inequality_wrapperIN6hipcub16HIPCUB_304000_NS8EqualityEEESI_JSF_EEE10hipError_tPvRmT3_T4_T5_T6_T7_T9_mT8_P12ihipStream_tbDpT10_ENKUlT_T0_E_clISt17integral_constantIbLb1EES19_EEDaS14_S15_EUlS14_E_NS1_11comp_targetILNS1_3genE4ELNS1_11target_archE910ELNS1_3gpuE8ELNS1_3repE0EEENS1_30default_config_static_selectorELNS0_4arch9wavefront6targetE0EEEvT1_.private_seg_size, 0
	.set _ZN7rocprim17ROCPRIM_400000_NS6detail17trampoline_kernelINS0_14default_configENS1_25partition_config_selectorILNS1_17partition_subalgoE9EllbEEZZNS1_14partition_implILS5_9ELb0ES3_jPKlN6thrust23THRUST_200600_302600_NS17counting_iteratorIlNSB_11use_defaultESD_SD_EEPNS0_10empty_typeENS0_5tupleIJPlSF_EEENSH_IJSI_SG_EEENS0_18inequality_wrapperIN6hipcub16HIPCUB_304000_NS8EqualityEEESI_JSF_EEE10hipError_tPvRmT3_T4_T5_T6_T7_T9_mT8_P12ihipStream_tbDpT10_ENKUlT_T0_E_clISt17integral_constantIbLb1EES19_EEDaS14_S15_EUlS14_E_NS1_11comp_targetILNS1_3genE4ELNS1_11target_archE910ELNS1_3gpuE8ELNS1_3repE0EEENS1_30default_config_static_selectorELNS0_4arch9wavefront6targetE0EEEvT1_.uses_vcc, 0
	.set _ZN7rocprim17ROCPRIM_400000_NS6detail17trampoline_kernelINS0_14default_configENS1_25partition_config_selectorILNS1_17partition_subalgoE9EllbEEZZNS1_14partition_implILS5_9ELb0ES3_jPKlN6thrust23THRUST_200600_302600_NS17counting_iteratorIlNSB_11use_defaultESD_SD_EEPNS0_10empty_typeENS0_5tupleIJPlSF_EEENSH_IJSI_SG_EEENS0_18inequality_wrapperIN6hipcub16HIPCUB_304000_NS8EqualityEEESI_JSF_EEE10hipError_tPvRmT3_T4_T5_T6_T7_T9_mT8_P12ihipStream_tbDpT10_ENKUlT_T0_E_clISt17integral_constantIbLb1EES19_EEDaS14_S15_EUlS14_E_NS1_11comp_targetILNS1_3genE4ELNS1_11target_archE910ELNS1_3gpuE8ELNS1_3repE0EEENS1_30default_config_static_selectorELNS0_4arch9wavefront6targetE0EEEvT1_.uses_flat_scratch, 0
	.set _ZN7rocprim17ROCPRIM_400000_NS6detail17trampoline_kernelINS0_14default_configENS1_25partition_config_selectorILNS1_17partition_subalgoE9EllbEEZZNS1_14partition_implILS5_9ELb0ES3_jPKlN6thrust23THRUST_200600_302600_NS17counting_iteratorIlNSB_11use_defaultESD_SD_EEPNS0_10empty_typeENS0_5tupleIJPlSF_EEENSH_IJSI_SG_EEENS0_18inequality_wrapperIN6hipcub16HIPCUB_304000_NS8EqualityEEESI_JSF_EEE10hipError_tPvRmT3_T4_T5_T6_T7_T9_mT8_P12ihipStream_tbDpT10_ENKUlT_T0_E_clISt17integral_constantIbLb1EES19_EEDaS14_S15_EUlS14_E_NS1_11comp_targetILNS1_3genE4ELNS1_11target_archE910ELNS1_3gpuE8ELNS1_3repE0EEENS1_30default_config_static_selectorELNS0_4arch9wavefront6targetE0EEEvT1_.has_dyn_sized_stack, 0
	.set _ZN7rocprim17ROCPRIM_400000_NS6detail17trampoline_kernelINS0_14default_configENS1_25partition_config_selectorILNS1_17partition_subalgoE9EllbEEZZNS1_14partition_implILS5_9ELb0ES3_jPKlN6thrust23THRUST_200600_302600_NS17counting_iteratorIlNSB_11use_defaultESD_SD_EEPNS0_10empty_typeENS0_5tupleIJPlSF_EEENSH_IJSI_SG_EEENS0_18inequality_wrapperIN6hipcub16HIPCUB_304000_NS8EqualityEEESI_JSF_EEE10hipError_tPvRmT3_T4_T5_T6_T7_T9_mT8_P12ihipStream_tbDpT10_ENKUlT_T0_E_clISt17integral_constantIbLb1EES19_EEDaS14_S15_EUlS14_E_NS1_11comp_targetILNS1_3genE4ELNS1_11target_archE910ELNS1_3gpuE8ELNS1_3repE0EEENS1_30default_config_static_selectorELNS0_4arch9wavefront6targetE0EEEvT1_.has_recursion, 0
	.set _ZN7rocprim17ROCPRIM_400000_NS6detail17trampoline_kernelINS0_14default_configENS1_25partition_config_selectorILNS1_17partition_subalgoE9EllbEEZZNS1_14partition_implILS5_9ELb0ES3_jPKlN6thrust23THRUST_200600_302600_NS17counting_iteratorIlNSB_11use_defaultESD_SD_EEPNS0_10empty_typeENS0_5tupleIJPlSF_EEENSH_IJSI_SG_EEENS0_18inequality_wrapperIN6hipcub16HIPCUB_304000_NS8EqualityEEESI_JSF_EEE10hipError_tPvRmT3_T4_T5_T6_T7_T9_mT8_P12ihipStream_tbDpT10_ENKUlT_T0_E_clISt17integral_constantIbLb1EES19_EEDaS14_S15_EUlS14_E_NS1_11comp_targetILNS1_3genE4ELNS1_11target_archE910ELNS1_3gpuE8ELNS1_3repE0EEENS1_30default_config_static_selectorELNS0_4arch9wavefront6targetE0EEEvT1_.has_indirect_call, 0
	.section	.AMDGPU.csdata,"",@progbits
; Kernel info:
; codeLenInByte = 0
; TotalNumSgprs: 0
; NumVgprs: 0
; ScratchSize: 0
; MemoryBound: 0
; FloatMode: 240
; IeeeMode: 1
; LDSByteSize: 0 bytes/workgroup (compile time only)
; SGPRBlocks: 0
; VGPRBlocks: 0
; NumSGPRsForWavesPerEU: 1
; NumVGPRsForWavesPerEU: 1
; Occupancy: 16
; WaveLimiterHint : 0
; COMPUTE_PGM_RSRC2:SCRATCH_EN: 0
; COMPUTE_PGM_RSRC2:USER_SGPR: 2
; COMPUTE_PGM_RSRC2:TRAP_HANDLER: 0
; COMPUTE_PGM_RSRC2:TGID_X_EN: 1
; COMPUTE_PGM_RSRC2:TGID_Y_EN: 0
; COMPUTE_PGM_RSRC2:TGID_Z_EN: 0
; COMPUTE_PGM_RSRC2:TIDIG_COMP_CNT: 0
	.section	.text._ZN7rocprim17ROCPRIM_400000_NS6detail17trampoline_kernelINS0_14default_configENS1_25partition_config_selectorILNS1_17partition_subalgoE9EllbEEZZNS1_14partition_implILS5_9ELb0ES3_jPKlN6thrust23THRUST_200600_302600_NS17counting_iteratorIlNSB_11use_defaultESD_SD_EEPNS0_10empty_typeENS0_5tupleIJPlSF_EEENSH_IJSI_SG_EEENS0_18inequality_wrapperIN6hipcub16HIPCUB_304000_NS8EqualityEEESI_JSF_EEE10hipError_tPvRmT3_T4_T5_T6_T7_T9_mT8_P12ihipStream_tbDpT10_ENKUlT_T0_E_clISt17integral_constantIbLb1EES19_EEDaS14_S15_EUlS14_E_NS1_11comp_targetILNS1_3genE3ELNS1_11target_archE908ELNS1_3gpuE7ELNS1_3repE0EEENS1_30default_config_static_selectorELNS0_4arch9wavefront6targetE0EEEvT1_,"axG",@progbits,_ZN7rocprim17ROCPRIM_400000_NS6detail17trampoline_kernelINS0_14default_configENS1_25partition_config_selectorILNS1_17partition_subalgoE9EllbEEZZNS1_14partition_implILS5_9ELb0ES3_jPKlN6thrust23THRUST_200600_302600_NS17counting_iteratorIlNSB_11use_defaultESD_SD_EEPNS0_10empty_typeENS0_5tupleIJPlSF_EEENSH_IJSI_SG_EEENS0_18inequality_wrapperIN6hipcub16HIPCUB_304000_NS8EqualityEEESI_JSF_EEE10hipError_tPvRmT3_T4_T5_T6_T7_T9_mT8_P12ihipStream_tbDpT10_ENKUlT_T0_E_clISt17integral_constantIbLb1EES19_EEDaS14_S15_EUlS14_E_NS1_11comp_targetILNS1_3genE3ELNS1_11target_archE908ELNS1_3gpuE7ELNS1_3repE0EEENS1_30default_config_static_selectorELNS0_4arch9wavefront6targetE0EEEvT1_,comdat
	.protected	_ZN7rocprim17ROCPRIM_400000_NS6detail17trampoline_kernelINS0_14default_configENS1_25partition_config_selectorILNS1_17partition_subalgoE9EllbEEZZNS1_14partition_implILS5_9ELb0ES3_jPKlN6thrust23THRUST_200600_302600_NS17counting_iteratorIlNSB_11use_defaultESD_SD_EEPNS0_10empty_typeENS0_5tupleIJPlSF_EEENSH_IJSI_SG_EEENS0_18inequality_wrapperIN6hipcub16HIPCUB_304000_NS8EqualityEEESI_JSF_EEE10hipError_tPvRmT3_T4_T5_T6_T7_T9_mT8_P12ihipStream_tbDpT10_ENKUlT_T0_E_clISt17integral_constantIbLb1EES19_EEDaS14_S15_EUlS14_E_NS1_11comp_targetILNS1_3genE3ELNS1_11target_archE908ELNS1_3gpuE7ELNS1_3repE0EEENS1_30default_config_static_selectorELNS0_4arch9wavefront6targetE0EEEvT1_ ; -- Begin function _ZN7rocprim17ROCPRIM_400000_NS6detail17trampoline_kernelINS0_14default_configENS1_25partition_config_selectorILNS1_17partition_subalgoE9EllbEEZZNS1_14partition_implILS5_9ELb0ES3_jPKlN6thrust23THRUST_200600_302600_NS17counting_iteratorIlNSB_11use_defaultESD_SD_EEPNS0_10empty_typeENS0_5tupleIJPlSF_EEENSH_IJSI_SG_EEENS0_18inequality_wrapperIN6hipcub16HIPCUB_304000_NS8EqualityEEESI_JSF_EEE10hipError_tPvRmT3_T4_T5_T6_T7_T9_mT8_P12ihipStream_tbDpT10_ENKUlT_T0_E_clISt17integral_constantIbLb1EES19_EEDaS14_S15_EUlS14_E_NS1_11comp_targetILNS1_3genE3ELNS1_11target_archE908ELNS1_3gpuE7ELNS1_3repE0EEENS1_30default_config_static_selectorELNS0_4arch9wavefront6targetE0EEEvT1_
	.globl	_ZN7rocprim17ROCPRIM_400000_NS6detail17trampoline_kernelINS0_14default_configENS1_25partition_config_selectorILNS1_17partition_subalgoE9EllbEEZZNS1_14partition_implILS5_9ELb0ES3_jPKlN6thrust23THRUST_200600_302600_NS17counting_iteratorIlNSB_11use_defaultESD_SD_EEPNS0_10empty_typeENS0_5tupleIJPlSF_EEENSH_IJSI_SG_EEENS0_18inequality_wrapperIN6hipcub16HIPCUB_304000_NS8EqualityEEESI_JSF_EEE10hipError_tPvRmT3_T4_T5_T6_T7_T9_mT8_P12ihipStream_tbDpT10_ENKUlT_T0_E_clISt17integral_constantIbLb1EES19_EEDaS14_S15_EUlS14_E_NS1_11comp_targetILNS1_3genE3ELNS1_11target_archE908ELNS1_3gpuE7ELNS1_3repE0EEENS1_30default_config_static_selectorELNS0_4arch9wavefront6targetE0EEEvT1_
	.p2align	8
	.type	_ZN7rocprim17ROCPRIM_400000_NS6detail17trampoline_kernelINS0_14default_configENS1_25partition_config_selectorILNS1_17partition_subalgoE9EllbEEZZNS1_14partition_implILS5_9ELb0ES3_jPKlN6thrust23THRUST_200600_302600_NS17counting_iteratorIlNSB_11use_defaultESD_SD_EEPNS0_10empty_typeENS0_5tupleIJPlSF_EEENSH_IJSI_SG_EEENS0_18inequality_wrapperIN6hipcub16HIPCUB_304000_NS8EqualityEEESI_JSF_EEE10hipError_tPvRmT3_T4_T5_T6_T7_T9_mT8_P12ihipStream_tbDpT10_ENKUlT_T0_E_clISt17integral_constantIbLb1EES19_EEDaS14_S15_EUlS14_E_NS1_11comp_targetILNS1_3genE3ELNS1_11target_archE908ELNS1_3gpuE7ELNS1_3repE0EEENS1_30default_config_static_selectorELNS0_4arch9wavefront6targetE0EEEvT1_,@function
_ZN7rocprim17ROCPRIM_400000_NS6detail17trampoline_kernelINS0_14default_configENS1_25partition_config_selectorILNS1_17partition_subalgoE9EllbEEZZNS1_14partition_implILS5_9ELb0ES3_jPKlN6thrust23THRUST_200600_302600_NS17counting_iteratorIlNSB_11use_defaultESD_SD_EEPNS0_10empty_typeENS0_5tupleIJPlSF_EEENSH_IJSI_SG_EEENS0_18inequality_wrapperIN6hipcub16HIPCUB_304000_NS8EqualityEEESI_JSF_EEE10hipError_tPvRmT3_T4_T5_T6_T7_T9_mT8_P12ihipStream_tbDpT10_ENKUlT_T0_E_clISt17integral_constantIbLb1EES19_EEDaS14_S15_EUlS14_E_NS1_11comp_targetILNS1_3genE3ELNS1_11target_archE908ELNS1_3gpuE7ELNS1_3repE0EEENS1_30default_config_static_selectorELNS0_4arch9wavefront6targetE0EEEvT1_: ; @_ZN7rocprim17ROCPRIM_400000_NS6detail17trampoline_kernelINS0_14default_configENS1_25partition_config_selectorILNS1_17partition_subalgoE9EllbEEZZNS1_14partition_implILS5_9ELb0ES3_jPKlN6thrust23THRUST_200600_302600_NS17counting_iteratorIlNSB_11use_defaultESD_SD_EEPNS0_10empty_typeENS0_5tupleIJPlSF_EEENSH_IJSI_SG_EEENS0_18inequality_wrapperIN6hipcub16HIPCUB_304000_NS8EqualityEEESI_JSF_EEE10hipError_tPvRmT3_T4_T5_T6_T7_T9_mT8_P12ihipStream_tbDpT10_ENKUlT_T0_E_clISt17integral_constantIbLb1EES19_EEDaS14_S15_EUlS14_E_NS1_11comp_targetILNS1_3genE3ELNS1_11target_archE908ELNS1_3gpuE7ELNS1_3repE0EEENS1_30default_config_static_selectorELNS0_4arch9wavefront6targetE0EEEvT1_
; %bb.0:
	.section	.rodata,"a",@progbits
	.p2align	6, 0x0
	.amdhsa_kernel _ZN7rocprim17ROCPRIM_400000_NS6detail17trampoline_kernelINS0_14default_configENS1_25partition_config_selectorILNS1_17partition_subalgoE9EllbEEZZNS1_14partition_implILS5_9ELb0ES3_jPKlN6thrust23THRUST_200600_302600_NS17counting_iteratorIlNSB_11use_defaultESD_SD_EEPNS0_10empty_typeENS0_5tupleIJPlSF_EEENSH_IJSI_SG_EEENS0_18inequality_wrapperIN6hipcub16HIPCUB_304000_NS8EqualityEEESI_JSF_EEE10hipError_tPvRmT3_T4_T5_T6_T7_T9_mT8_P12ihipStream_tbDpT10_ENKUlT_T0_E_clISt17integral_constantIbLb1EES19_EEDaS14_S15_EUlS14_E_NS1_11comp_targetILNS1_3genE3ELNS1_11target_archE908ELNS1_3gpuE7ELNS1_3repE0EEENS1_30default_config_static_selectorELNS0_4arch9wavefront6targetE0EEEvT1_
		.amdhsa_group_segment_fixed_size 0
		.amdhsa_private_segment_fixed_size 0
		.amdhsa_kernarg_size 128
		.amdhsa_user_sgpr_count 2
		.amdhsa_user_sgpr_dispatch_ptr 0
		.amdhsa_user_sgpr_queue_ptr 0
		.amdhsa_user_sgpr_kernarg_segment_ptr 1
		.amdhsa_user_sgpr_dispatch_id 0
		.amdhsa_user_sgpr_private_segment_size 0
		.amdhsa_wavefront_size32 1
		.amdhsa_uses_dynamic_stack 0
		.amdhsa_enable_private_segment 0
		.amdhsa_system_sgpr_workgroup_id_x 1
		.amdhsa_system_sgpr_workgroup_id_y 0
		.amdhsa_system_sgpr_workgroup_id_z 0
		.amdhsa_system_sgpr_workgroup_info 0
		.amdhsa_system_vgpr_workitem_id 0
		.amdhsa_next_free_vgpr 1
		.amdhsa_next_free_sgpr 1
		.amdhsa_reserve_vcc 0
		.amdhsa_float_round_mode_32 0
		.amdhsa_float_round_mode_16_64 0
		.amdhsa_float_denorm_mode_32 3
		.amdhsa_float_denorm_mode_16_64 3
		.amdhsa_fp16_overflow 0
		.amdhsa_workgroup_processor_mode 1
		.amdhsa_memory_ordered 1
		.amdhsa_forward_progress 1
		.amdhsa_inst_pref_size 0
		.amdhsa_round_robin_scheduling 0
		.amdhsa_exception_fp_ieee_invalid_op 0
		.amdhsa_exception_fp_denorm_src 0
		.amdhsa_exception_fp_ieee_div_zero 0
		.amdhsa_exception_fp_ieee_overflow 0
		.amdhsa_exception_fp_ieee_underflow 0
		.amdhsa_exception_fp_ieee_inexact 0
		.amdhsa_exception_int_div_zero 0
	.end_amdhsa_kernel
	.section	.text._ZN7rocprim17ROCPRIM_400000_NS6detail17trampoline_kernelINS0_14default_configENS1_25partition_config_selectorILNS1_17partition_subalgoE9EllbEEZZNS1_14partition_implILS5_9ELb0ES3_jPKlN6thrust23THRUST_200600_302600_NS17counting_iteratorIlNSB_11use_defaultESD_SD_EEPNS0_10empty_typeENS0_5tupleIJPlSF_EEENSH_IJSI_SG_EEENS0_18inequality_wrapperIN6hipcub16HIPCUB_304000_NS8EqualityEEESI_JSF_EEE10hipError_tPvRmT3_T4_T5_T6_T7_T9_mT8_P12ihipStream_tbDpT10_ENKUlT_T0_E_clISt17integral_constantIbLb1EES19_EEDaS14_S15_EUlS14_E_NS1_11comp_targetILNS1_3genE3ELNS1_11target_archE908ELNS1_3gpuE7ELNS1_3repE0EEENS1_30default_config_static_selectorELNS0_4arch9wavefront6targetE0EEEvT1_,"axG",@progbits,_ZN7rocprim17ROCPRIM_400000_NS6detail17trampoline_kernelINS0_14default_configENS1_25partition_config_selectorILNS1_17partition_subalgoE9EllbEEZZNS1_14partition_implILS5_9ELb0ES3_jPKlN6thrust23THRUST_200600_302600_NS17counting_iteratorIlNSB_11use_defaultESD_SD_EEPNS0_10empty_typeENS0_5tupleIJPlSF_EEENSH_IJSI_SG_EEENS0_18inequality_wrapperIN6hipcub16HIPCUB_304000_NS8EqualityEEESI_JSF_EEE10hipError_tPvRmT3_T4_T5_T6_T7_T9_mT8_P12ihipStream_tbDpT10_ENKUlT_T0_E_clISt17integral_constantIbLb1EES19_EEDaS14_S15_EUlS14_E_NS1_11comp_targetILNS1_3genE3ELNS1_11target_archE908ELNS1_3gpuE7ELNS1_3repE0EEENS1_30default_config_static_selectorELNS0_4arch9wavefront6targetE0EEEvT1_,comdat
.Lfunc_end55:
	.size	_ZN7rocprim17ROCPRIM_400000_NS6detail17trampoline_kernelINS0_14default_configENS1_25partition_config_selectorILNS1_17partition_subalgoE9EllbEEZZNS1_14partition_implILS5_9ELb0ES3_jPKlN6thrust23THRUST_200600_302600_NS17counting_iteratorIlNSB_11use_defaultESD_SD_EEPNS0_10empty_typeENS0_5tupleIJPlSF_EEENSH_IJSI_SG_EEENS0_18inequality_wrapperIN6hipcub16HIPCUB_304000_NS8EqualityEEESI_JSF_EEE10hipError_tPvRmT3_T4_T5_T6_T7_T9_mT8_P12ihipStream_tbDpT10_ENKUlT_T0_E_clISt17integral_constantIbLb1EES19_EEDaS14_S15_EUlS14_E_NS1_11comp_targetILNS1_3genE3ELNS1_11target_archE908ELNS1_3gpuE7ELNS1_3repE0EEENS1_30default_config_static_selectorELNS0_4arch9wavefront6targetE0EEEvT1_, .Lfunc_end55-_ZN7rocprim17ROCPRIM_400000_NS6detail17trampoline_kernelINS0_14default_configENS1_25partition_config_selectorILNS1_17partition_subalgoE9EllbEEZZNS1_14partition_implILS5_9ELb0ES3_jPKlN6thrust23THRUST_200600_302600_NS17counting_iteratorIlNSB_11use_defaultESD_SD_EEPNS0_10empty_typeENS0_5tupleIJPlSF_EEENSH_IJSI_SG_EEENS0_18inequality_wrapperIN6hipcub16HIPCUB_304000_NS8EqualityEEESI_JSF_EEE10hipError_tPvRmT3_T4_T5_T6_T7_T9_mT8_P12ihipStream_tbDpT10_ENKUlT_T0_E_clISt17integral_constantIbLb1EES19_EEDaS14_S15_EUlS14_E_NS1_11comp_targetILNS1_3genE3ELNS1_11target_archE908ELNS1_3gpuE7ELNS1_3repE0EEENS1_30default_config_static_selectorELNS0_4arch9wavefront6targetE0EEEvT1_
                                        ; -- End function
	.set _ZN7rocprim17ROCPRIM_400000_NS6detail17trampoline_kernelINS0_14default_configENS1_25partition_config_selectorILNS1_17partition_subalgoE9EllbEEZZNS1_14partition_implILS5_9ELb0ES3_jPKlN6thrust23THRUST_200600_302600_NS17counting_iteratorIlNSB_11use_defaultESD_SD_EEPNS0_10empty_typeENS0_5tupleIJPlSF_EEENSH_IJSI_SG_EEENS0_18inequality_wrapperIN6hipcub16HIPCUB_304000_NS8EqualityEEESI_JSF_EEE10hipError_tPvRmT3_T4_T5_T6_T7_T9_mT8_P12ihipStream_tbDpT10_ENKUlT_T0_E_clISt17integral_constantIbLb1EES19_EEDaS14_S15_EUlS14_E_NS1_11comp_targetILNS1_3genE3ELNS1_11target_archE908ELNS1_3gpuE7ELNS1_3repE0EEENS1_30default_config_static_selectorELNS0_4arch9wavefront6targetE0EEEvT1_.num_vgpr, 0
	.set _ZN7rocprim17ROCPRIM_400000_NS6detail17trampoline_kernelINS0_14default_configENS1_25partition_config_selectorILNS1_17partition_subalgoE9EllbEEZZNS1_14partition_implILS5_9ELb0ES3_jPKlN6thrust23THRUST_200600_302600_NS17counting_iteratorIlNSB_11use_defaultESD_SD_EEPNS0_10empty_typeENS0_5tupleIJPlSF_EEENSH_IJSI_SG_EEENS0_18inequality_wrapperIN6hipcub16HIPCUB_304000_NS8EqualityEEESI_JSF_EEE10hipError_tPvRmT3_T4_T5_T6_T7_T9_mT8_P12ihipStream_tbDpT10_ENKUlT_T0_E_clISt17integral_constantIbLb1EES19_EEDaS14_S15_EUlS14_E_NS1_11comp_targetILNS1_3genE3ELNS1_11target_archE908ELNS1_3gpuE7ELNS1_3repE0EEENS1_30default_config_static_selectorELNS0_4arch9wavefront6targetE0EEEvT1_.num_agpr, 0
	.set _ZN7rocprim17ROCPRIM_400000_NS6detail17trampoline_kernelINS0_14default_configENS1_25partition_config_selectorILNS1_17partition_subalgoE9EllbEEZZNS1_14partition_implILS5_9ELb0ES3_jPKlN6thrust23THRUST_200600_302600_NS17counting_iteratorIlNSB_11use_defaultESD_SD_EEPNS0_10empty_typeENS0_5tupleIJPlSF_EEENSH_IJSI_SG_EEENS0_18inequality_wrapperIN6hipcub16HIPCUB_304000_NS8EqualityEEESI_JSF_EEE10hipError_tPvRmT3_T4_T5_T6_T7_T9_mT8_P12ihipStream_tbDpT10_ENKUlT_T0_E_clISt17integral_constantIbLb1EES19_EEDaS14_S15_EUlS14_E_NS1_11comp_targetILNS1_3genE3ELNS1_11target_archE908ELNS1_3gpuE7ELNS1_3repE0EEENS1_30default_config_static_selectorELNS0_4arch9wavefront6targetE0EEEvT1_.numbered_sgpr, 0
	.set _ZN7rocprim17ROCPRIM_400000_NS6detail17trampoline_kernelINS0_14default_configENS1_25partition_config_selectorILNS1_17partition_subalgoE9EllbEEZZNS1_14partition_implILS5_9ELb0ES3_jPKlN6thrust23THRUST_200600_302600_NS17counting_iteratorIlNSB_11use_defaultESD_SD_EEPNS0_10empty_typeENS0_5tupleIJPlSF_EEENSH_IJSI_SG_EEENS0_18inequality_wrapperIN6hipcub16HIPCUB_304000_NS8EqualityEEESI_JSF_EEE10hipError_tPvRmT3_T4_T5_T6_T7_T9_mT8_P12ihipStream_tbDpT10_ENKUlT_T0_E_clISt17integral_constantIbLb1EES19_EEDaS14_S15_EUlS14_E_NS1_11comp_targetILNS1_3genE3ELNS1_11target_archE908ELNS1_3gpuE7ELNS1_3repE0EEENS1_30default_config_static_selectorELNS0_4arch9wavefront6targetE0EEEvT1_.num_named_barrier, 0
	.set _ZN7rocprim17ROCPRIM_400000_NS6detail17trampoline_kernelINS0_14default_configENS1_25partition_config_selectorILNS1_17partition_subalgoE9EllbEEZZNS1_14partition_implILS5_9ELb0ES3_jPKlN6thrust23THRUST_200600_302600_NS17counting_iteratorIlNSB_11use_defaultESD_SD_EEPNS0_10empty_typeENS0_5tupleIJPlSF_EEENSH_IJSI_SG_EEENS0_18inequality_wrapperIN6hipcub16HIPCUB_304000_NS8EqualityEEESI_JSF_EEE10hipError_tPvRmT3_T4_T5_T6_T7_T9_mT8_P12ihipStream_tbDpT10_ENKUlT_T0_E_clISt17integral_constantIbLb1EES19_EEDaS14_S15_EUlS14_E_NS1_11comp_targetILNS1_3genE3ELNS1_11target_archE908ELNS1_3gpuE7ELNS1_3repE0EEENS1_30default_config_static_selectorELNS0_4arch9wavefront6targetE0EEEvT1_.private_seg_size, 0
	.set _ZN7rocprim17ROCPRIM_400000_NS6detail17trampoline_kernelINS0_14default_configENS1_25partition_config_selectorILNS1_17partition_subalgoE9EllbEEZZNS1_14partition_implILS5_9ELb0ES3_jPKlN6thrust23THRUST_200600_302600_NS17counting_iteratorIlNSB_11use_defaultESD_SD_EEPNS0_10empty_typeENS0_5tupleIJPlSF_EEENSH_IJSI_SG_EEENS0_18inequality_wrapperIN6hipcub16HIPCUB_304000_NS8EqualityEEESI_JSF_EEE10hipError_tPvRmT3_T4_T5_T6_T7_T9_mT8_P12ihipStream_tbDpT10_ENKUlT_T0_E_clISt17integral_constantIbLb1EES19_EEDaS14_S15_EUlS14_E_NS1_11comp_targetILNS1_3genE3ELNS1_11target_archE908ELNS1_3gpuE7ELNS1_3repE0EEENS1_30default_config_static_selectorELNS0_4arch9wavefront6targetE0EEEvT1_.uses_vcc, 0
	.set _ZN7rocprim17ROCPRIM_400000_NS6detail17trampoline_kernelINS0_14default_configENS1_25partition_config_selectorILNS1_17partition_subalgoE9EllbEEZZNS1_14partition_implILS5_9ELb0ES3_jPKlN6thrust23THRUST_200600_302600_NS17counting_iteratorIlNSB_11use_defaultESD_SD_EEPNS0_10empty_typeENS0_5tupleIJPlSF_EEENSH_IJSI_SG_EEENS0_18inequality_wrapperIN6hipcub16HIPCUB_304000_NS8EqualityEEESI_JSF_EEE10hipError_tPvRmT3_T4_T5_T6_T7_T9_mT8_P12ihipStream_tbDpT10_ENKUlT_T0_E_clISt17integral_constantIbLb1EES19_EEDaS14_S15_EUlS14_E_NS1_11comp_targetILNS1_3genE3ELNS1_11target_archE908ELNS1_3gpuE7ELNS1_3repE0EEENS1_30default_config_static_selectorELNS0_4arch9wavefront6targetE0EEEvT1_.uses_flat_scratch, 0
	.set _ZN7rocprim17ROCPRIM_400000_NS6detail17trampoline_kernelINS0_14default_configENS1_25partition_config_selectorILNS1_17partition_subalgoE9EllbEEZZNS1_14partition_implILS5_9ELb0ES3_jPKlN6thrust23THRUST_200600_302600_NS17counting_iteratorIlNSB_11use_defaultESD_SD_EEPNS0_10empty_typeENS0_5tupleIJPlSF_EEENSH_IJSI_SG_EEENS0_18inequality_wrapperIN6hipcub16HIPCUB_304000_NS8EqualityEEESI_JSF_EEE10hipError_tPvRmT3_T4_T5_T6_T7_T9_mT8_P12ihipStream_tbDpT10_ENKUlT_T0_E_clISt17integral_constantIbLb1EES19_EEDaS14_S15_EUlS14_E_NS1_11comp_targetILNS1_3genE3ELNS1_11target_archE908ELNS1_3gpuE7ELNS1_3repE0EEENS1_30default_config_static_selectorELNS0_4arch9wavefront6targetE0EEEvT1_.has_dyn_sized_stack, 0
	.set _ZN7rocprim17ROCPRIM_400000_NS6detail17trampoline_kernelINS0_14default_configENS1_25partition_config_selectorILNS1_17partition_subalgoE9EllbEEZZNS1_14partition_implILS5_9ELb0ES3_jPKlN6thrust23THRUST_200600_302600_NS17counting_iteratorIlNSB_11use_defaultESD_SD_EEPNS0_10empty_typeENS0_5tupleIJPlSF_EEENSH_IJSI_SG_EEENS0_18inequality_wrapperIN6hipcub16HIPCUB_304000_NS8EqualityEEESI_JSF_EEE10hipError_tPvRmT3_T4_T5_T6_T7_T9_mT8_P12ihipStream_tbDpT10_ENKUlT_T0_E_clISt17integral_constantIbLb1EES19_EEDaS14_S15_EUlS14_E_NS1_11comp_targetILNS1_3genE3ELNS1_11target_archE908ELNS1_3gpuE7ELNS1_3repE0EEENS1_30default_config_static_selectorELNS0_4arch9wavefront6targetE0EEEvT1_.has_recursion, 0
	.set _ZN7rocprim17ROCPRIM_400000_NS6detail17trampoline_kernelINS0_14default_configENS1_25partition_config_selectorILNS1_17partition_subalgoE9EllbEEZZNS1_14partition_implILS5_9ELb0ES3_jPKlN6thrust23THRUST_200600_302600_NS17counting_iteratorIlNSB_11use_defaultESD_SD_EEPNS0_10empty_typeENS0_5tupleIJPlSF_EEENSH_IJSI_SG_EEENS0_18inequality_wrapperIN6hipcub16HIPCUB_304000_NS8EqualityEEESI_JSF_EEE10hipError_tPvRmT3_T4_T5_T6_T7_T9_mT8_P12ihipStream_tbDpT10_ENKUlT_T0_E_clISt17integral_constantIbLb1EES19_EEDaS14_S15_EUlS14_E_NS1_11comp_targetILNS1_3genE3ELNS1_11target_archE908ELNS1_3gpuE7ELNS1_3repE0EEENS1_30default_config_static_selectorELNS0_4arch9wavefront6targetE0EEEvT1_.has_indirect_call, 0
	.section	.AMDGPU.csdata,"",@progbits
; Kernel info:
; codeLenInByte = 0
; TotalNumSgprs: 0
; NumVgprs: 0
; ScratchSize: 0
; MemoryBound: 0
; FloatMode: 240
; IeeeMode: 1
; LDSByteSize: 0 bytes/workgroup (compile time only)
; SGPRBlocks: 0
; VGPRBlocks: 0
; NumSGPRsForWavesPerEU: 1
; NumVGPRsForWavesPerEU: 1
; Occupancy: 16
; WaveLimiterHint : 0
; COMPUTE_PGM_RSRC2:SCRATCH_EN: 0
; COMPUTE_PGM_RSRC2:USER_SGPR: 2
; COMPUTE_PGM_RSRC2:TRAP_HANDLER: 0
; COMPUTE_PGM_RSRC2:TGID_X_EN: 1
; COMPUTE_PGM_RSRC2:TGID_Y_EN: 0
; COMPUTE_PGM_RSRC2:TGID_Z_EN: 0
; COMPUTE_PGM_RSRC2:TIDIG_COMP_CNT: 0
	.section	.text._ZN7rocprim17ROCPRIM_400000_NS6detail17trampoline_kernelINS0_14default_configENS1_25partition_config_selectorILNS1_17partition_subalgoE9EllbEEZZNS1_14partition_implILS5_9ELb0ES3_jPKlN6thrust23THRUST_200600_302600_NS17counting_iteratorIlNSB_11use_defaultESD_SD_EEPNS0_10empty_typeENS0_5tupleIJPlSF_EEENSH_IJSI_SG_EEENS0_18inequality_wrapperIN6hipcub16HIPCUB_304000_NS8EqualityEEESI_JSF_EEE10hipError_tPvRmT3_T4_T5_T6_T7_T9_mT8_P12ihipStream_tbDpT10_ENKUlT_T0_E_clISt17integral_constantIbLb1EES19_EEDaS14_S15_EUlS14_E_NS1_11comp_targetILNS1_3genE2ELNS1_11target_archE906ELNS1_3gpuE6ELNS1_3repE0EEENS1_30default_config_static_selectorELNS0_4arch9wavefront6targetE0EEEvT1_,"axG",@progbits,_ZN7rocprim17ROCPRIM_400000_NS6detail17trampoline_kernelINS0_14default_configENS1_25partition_config_selectorILNS1_17partition_subalgoE9EllbEEZZNS1_14partition_implILS5_9ELb0ES3_jPKlN6thrust23THRUST_200600_302600_NS17counting_iteratorIlNSB_11use_defaultESD_SD_EEPNS0_10empty_typeENS0_5tupleIJPlSF_EEENSH_IJSI_SG_EEENS0_18inequality_wrapperIN6hipcub16HIPCUB_304000_NS8EqualityEEESI_JSF_EEE10hipError_tPvRmT3_T4_T5_T6_T7_T9_mT8_P12ihipStream_tbDpT10_ENKUlT_T0_E_clISt17integral_constantIbLb1EES19_EEDaS14_S15_EUlS14_E_NS1_11comp_targetILNS1_3genE2ELNS1_11target_archE906ELNS1_3gpuE6ELNS1_3repE0EEENS1_30default_config_static_selectorELNS0_4arch9wavefront6targetE0EEEvT1_,comdat
	.protected	_ZN7rocprim17ROCPRIM_400000_NS6detail17trampoline_kernelINS0_14default_configENS1_25partition_config_selectorILNS1_17partition_subalgoE9EllbEEZZNS1_14partition_implILS5_9ELb0ES3_jPKlN6thrust23THRUST_200600_302600_NS17counting_iteratorIlNSB_11use_defaultESD_SD_EEPNS0_10empty_typeENS0_5tupleIJPlSF_EEENSH_IJSI_SG_EEENS0_18inequality_wrapperIN6hipcub16HIPCUB_304000_NS8EqualityEEESI_JSF_EEE10hipError_tPvRmT3_T4_T5_T6_T7_T9_mT8_P12ihipStream_tbDpT10_ENKUlT_T0_E_clISt17integral_constantIbLb1EES19_EEDaS14_S15_EUlS14_E_NS1_11comp_targetILNS1_3genE2ELNS1_11target_archE906ELNS1_3gpuE6ELNS1_3repE0EEENS1_30default_config_static_selectorELNS0_4arch9wavefront6targetE0EEEvT1_ ; -- Begin function _ZN7rocprim17ROCPRIM_400000_NS6detail17trampoline_kernelINS0_14default_configENS1_25partition_config_selectorILNS1_17partition_subalgoE9EllbEEZZNS1_14partition_implILS5_9ELb0ES3_jPKlN6thrust23THRUST_200600_302600_NS17counting_iteratorIlNSB_11use_defaultESD_SD_EEPNS0_10empty_typeENS0_5tupleIJPlSF_EEENSH_IJSI_SG_EEENS0_18inequality_wrapperIN6hipcub16HIPCUB_304000_NS8EqualityEEESI_JSF_EEE10hipError_tPvRmT3_T4_T5_T6_T7_T9_mT8_P12ihipStream_tbDpT10_ENKUlT_T0_E_clISt17integral_constantIbLb1EES19_EEDaS14_S15_EUlS14_E_NS1_11comp_targetILNS1_3genE2ELNS1_11target_archE906ELNS1_3gpuE6ELNS1_3repE0EEENS1_30default_config_static_selectorELNS0_4arch9wavefront6targetE0EEEvT1_
	.globl	_ZN7rocprim17ROCPRIM_400000_NS6detail17trampoline_kernelINS0_14default_configENS1_25partition_config_selectorILNS1_17partition_subalgoE9EllbEEZZNS1_14partition_implILS5_9ELb0ES3_jPKlN6thrust23THRUST_200600_302600_NS17counting_iteratorIlNSB_11use_defaultESD_SD_EEPNS0_10empty_typeENS0_5tupleIJPlSF_EEENSH_IJSI_SG_EEENS0_18inequality_wrapperIN6hipcub16HIPCUB_304000_NS8EqualityEEESI_JSF_EEE10hipError_tPvRmT3_T4_T5_T6_T7_T9_mT8_P12ihipStream_tbDpT10_ENKUlT_T0_E_clISt17integral_constantIbLb1EES19_EEDaS14_S15_EUlS14_E_NS1_11comp_targetILNS1_3genE2ELNS1_11target_archE906ELNS1_3gpuE6ELNS1_3repE0EEENS1_30default_config_static_selectorELNS0_4arch9wavefront6targetE0EEEvT1_
	.p2align	8
	.type	_ZN7rocprim17ROCPRIM_400000_NS6detail17trampoline_kernelINS0_14default_configENS1_25partition_config_selectorILNS1_17partition_subalgoE9EllbEEZZNS1_14partition_implILS5_9ELb0ES3_jPKlN6thrust23THRUST_200600_302600_NS17counting_iteratorIlNSB_11use_defaultESD_SD_EEPNS0_10empty_typeENS0_5tupleIJPlSF_EEENSH_IJSI_SG_EEENS0_18inequality_wrapperIN6hipcub16HIPCUB_304000_NS8EqualityEEESI_JSF_EEE10hipError_tPvRmT3_T4_T5_T6_T7_T9_mT8_P12ihipStream_tbDpT10_ENKUlT_T0_E_clISt17integral_constantIbLb1EES19_EEDaS14_S15_EUlS14_E_NS1_11comp_targetILNS1_3genE2ELNS1_11target_archE906ELNS1_3gpuE6ELNS1_3repE0EEENS1_30default_config_static_selectorELNS0_4arch9wavefront6targetE0EEEvT1_,@function
_ZN7rocprim17ROCPRIM_400000_NS6detail17trampoline_kernelINS0_14default_configENS1_25partition_config_selectorILNS1_17partition_subalgoE9EllbEEZZNS1_14partition_implILS5_9ELb0ES3_jPKlN6thrust23THRUST_200600_302600_NS17counting_iteratorIlNSB_11use_defaultESD_SD_EEPNS0_10empty_typeENS0_5tupleIJPlSF_EEENSH_IJSI_SG_EEENS0_18inequality_wrapperIN6hipcub16HIPCUB_304000_NS8EqualityEEESI_JSF_EEE10hipError_tPvRmT3_T4_T5_T6_T7_T9_mT8_P12ihipStream_tbDpT10_ENKUlT_T0_E_clISt17integral_constantIbLb1EES19_EEDaS14_S15_EUlS14_E_NS1_11comp_targetILNS1_3genE2ELNS1_11target_archE906ELNS1_3gpuE6ELNS1_3repE0EEENS1_30default_config_static_selectorELNS0_4arch9wavefront6targetE0EEEvT1_: ; @_ZN7rocprim17ROCPRIM_400000_NS6detail17trampoline_kernelINS0_14default_configENS1_25partition_config_selectorILNS1_17partition_subalgoE9EllbEEZZNS1_14partition_implILS5_9ELb0ES3_jPKlN6thrust23THRUST_200600_302600_NS17counting_iteratorIlNSB_11use_defaultESD_SD_EEPNS0_10empty_typeENS0_5tupleIJPlSF_EEENSH_IJSI_SG_EEENS0_18inequality_wrapperIN6hipcub16HIPCUB_304000_NS8EqualityEEESI_JSF_EEE10hipError_tPvRmT3_T4_T5_T6_T7_T9_mT8_P12ihipStream_tbDpT10_ENKUlT_T0_E_clISt17integral_constantIbLb1EES19_EEDaS14_S15_EUlS14_E_NS1_11comp_targetILNS1_3genE2ELNS1_11target_archE906ELNS1_3gpuE6ELNS1_3repE0EEENS1_30default_config_static_selectorELNS0_4arch9wavefront6targetE0EEEvT1_
; %bb.0:
	.section	.rodata,"a",@progbits
	.p2align	6, 0x0
	.amdhsa_kernel _ZN7rocprim17ROCPRIM_400000_NS6detail17trampoline_kernelINS0_14default_configENS1_25partition_config_selectorILNS1_17partition_subalgoE9EllbEEZZNS1_14partition_implILS5_9ELb0ES3_jPKlN6thrust23THRUST_200600_302600_NS17counting_iteratorIlNSB_11use_defaultESD_SD_EEPNS0_10empty_typeENS0_5tupleIJPlSF_EEENSH_IJSI_SG_EEENS0_18inequality_wrapperIN6hipcub16HIPCUB_304000_NS8EqualityEEESI_JSF_EEE10hipError_tPvRmT3_T4_T5_T6_T7_T9_mT8_P12ihipStream_tbDpT10_ENKUlT_T0_E_clISt17integral_constantIbLb1EES19_EEDaS14_S15_EUlS14_E_NS1_11comp_targetILNS1_3genE2ELNS1_11target_archE906ELNS1_3gpuE6ELNS1_3repE0EEENS1_30default_config_static_selectorELNS0_4arch9wavefront6targetE0EEEvT1_
		.amdhsa_group_segment_fixed_size 0
		.amdhsa_private_segment_fixed_size 0
		.amdhsa_kernarg_size 128
		.amdhsa_user_sgpr_count 2
		.amdhsa_user_sgpr_dispatch_ptr 0
		.amdhsa_user_sgpr_queue_ptr 0
		.amdhsa_user_sgpr_kernarg_segment_ptr 1
		.amdhsa_user_sgpr_dispatch_id 0
		.amdhsa_user_sgpr_private_segment_size 0
		.amdhsa_wavefront_size32 1
		.amdhsa_uses_dynamic_stack 0
		.amdhsa_enable_private_segment 0
		.amdhsa_system_sgpr_workgroup_id_x 1
		.amdhsa_system_sgpr_workgroup_id_y 0
		.amdhsa_system_sgpr_workgroup_id_z 0
		.amdhsa_system_sgpr_workgroup_info 0
		.amdhsa_system_vgpr_workitem_id 0
		.amdhsa_next_free_vgpr 1
		.amdhsa_next_free_sgpr 1
		.amdhsa_reserve_vcc 0
		.amdhsa_float_round_mode_32 0
		.amdhsa_float_round_mode_16_64 0
		.amdhsa_float_denorm_mode_32 3
		.amdhsa_float_denorm_mode_16_64 3
		.amdhsa_fp16_overflow 0
		.amdhsa_workgroup_processor_mode 1
		.amdhsa_memory_ordered 1
		.amdhsa_forward_progress 1
		.amdhsa_inst_pref_size 0
		.amdhsa_round_robin_scheduling 0
		.amdhsa_exception_fp_ieee_invalid_op 0
		.amdhsa_exception_fp_denorm_src 0
		.amdhsa_exception_fp_ieee_div_zero 0
		.amdhsa_exception_fp_ieee_overflow 0
		.amdhsa_exception_fp_ieee_underflow 0
		.amdhsa_exception_fp_ieee_inexact 0
		.amdhsa_exception_int_div_zero 0
	.end_amdhsa_kernel
	.section	.text._ZN7rocprim17ROCPRIM_400000_NS6detail17trampoline_kernelINS0_14default_configENS1_25partition_config_selectorILNS1_17partition_subalgoE9EllbEEZZNS1_14partition_implILS5_9ELb0ES3_jPKlN6thrust23THRUST_200600_302600_NS17counting_iteratorIlNSB_11use_defaultESD_SD_EEPNS0_10empty_typeENS0_5tupleIJPlSF_EEENSH_IJSI_SG_EEENS0_18inequality_wrapperIN6hipcub16HIPCUB_304000_NS8EqualityEEESI_JSF_EEE10hipError_tPvRmT3_T4_T5_T6_T7_T9_mT8_P12ihipStream_tbDpT10_ENKUlT_T0_E_clISt17integral_constantIbLb1EES19_EEDaS14_S15_EUlS14_E_NS1_11comp_targetILNS1_3genE2ELNS1_11target_archE906ELNS1_3gpuE6ELNS1_3repE0EEENS1_30default_config_static_selectorELNS0_4arch9wavefront6targetE0EEEvT1_,"axG",@progbits,_ZN7rocprim17ROCPRIM_400000_NS6detail17trampoline_kernelINS0_14default_configENS1_25partition_config_selectorILNS1_17partition_subalgoE9EllbEEZZNS1_14partition_implILS5_9ELb0ES3_jPKlN6thrust23THRUST_200600_302600_NS17counting_iteratorIlNSB_11use_defaultESD_SD_EEPNS0_10empty_typeENS0_5tupleIJPlSF_EEENSH_IJSI_SG_EEENS0_18inequality_wrapperIN6hipcub16HIPCUB_304000_NS8EqualityEEESI_JSF_EEE10hipError_tPvRmT3_T4_T5_T6_T7_T9_mT8_P12ihipStream_tbDpT10_ENKUlT_T0_E_clISt17integral_constantIbLb1EES19_EEDaS14_S15_EUlS14_E_NS1_11comp_targetILNS1_3genE2ELNS1_11target_archE906ELNS1_3gpuE6ELNS1_3repE0EEENS1_30default_config_static_selectorELNS0_4arch9wavefront6targetE0EEEvT1_,comdat
.Lfunc_end56:
	.size	_ZN7rocprim17ROCPRIM_400000_NS6detail17trampoline_kernelINS0_14default_configENS1_25partition_config_selectorILNS1_17partition_subalgoE9EllbEEZZNS1_14partition_implILS5_9ELb0ES3_jPKlN6thrust23THRUST_200600_302600_NS17counting_iteratorIlNSB_11use_defaultESD_SD_EEPNS0_10empty_typeENS0_5tupleIJPlSF_EEENSH_IJSI_SG_EEENS0_18inequality_wrapperIN6hipcub16HIPCUB_304000_NS8EqualityEEESI_JSF_EEE10hipError_tPvRmT3_T4_T5_T6_T7_T9_mT8_P12ihipStream_tbDpT10_ENKUlT_T0_E_clISt17integral_constantIbLb1EES19_EEDaS14_S15_EUlS14_E_NS1_11comp_targetILNS1_3genE2ELNS1_11target_archE906ELNS1_3gpuE6ELNS1_3repE0EEENS1_30default_config_static_selectorELNS0_4arch9wavefront6targetE0EEEvT1_, .Lfunc_end56-_ZN7rocprim17ROCPRIM_400000_NS6detail17trampoline_kernelINS0_14default_configENS1_25partition_config_selectorILNS1_17partition_subalgoE9EllbEEZZNS1_14partition_implILS5_9ELb0ES3_jPKlN6thrust23THRUST_200600_302600_NS17counting_iteratorIlNSB_11use_defaultESD_SD_EEPNS0_10empty_typeENS0_5tupleIJPlSF_EEENSH_IJSI_SG_EEENS0_18inequality_wrapperIN6hipcub16HIPCUB_304000_NS8EqualityEEESI_JSF_EEE10hipError_tPvRmT3_T4_T5_T6_T7_T9_mT8_P12ihipStream_tbDpT10_ENKUlT_T0_E_clISt17integral_constantIbLb1EES19_EEDaS14_S15_EUlS14_E_NS1_11comp_targetILNS1_3genE2ELNS1_11target_archE906ELNS1_3gpuE6ELNS1_3repE0EEENS1_30default_config_static_selectorELNS0_4arch9wavefront6targetE0EEEvT1_
                                        ; -- End function
	.set _ZN7rocprim17ROCPRIM_400000_NS6detail17trampoline_kernelINS0_14default_configENS1_25partition_config_selectorILNS1_17partition_subalgoE9EllbEEZZNS1_14partition_implILS5_9ELb0ES3_jPKlN6thrust23THRUST_200600_302600_NS17counting_iteratorIlNSB_11use_defaultESD_SD_EEPNS0_10empty_typeENS0_5tupleIJPlSF_EEENSH_IJSI_SG_EEENS0_18inequality_wrapperIN6hipcub16HIPCUB_304000_NS8EqualityEEESI_JSF_EEE10hipError_tPvRmT3_T4_T5_T6_T7_T9_mT8_P12ihipStream_tbDpT10_ENKUlT_T0_E_clISt17integral_constantIbLb1EES19_EEDaS14_S15_EUlS14_E_NS1_11comp_targetILNS1_3genE2ELNS1_11target_archE906ELNS1_3gpuE6ELNS1_3repE0EEENS1_30default_config_static_selectorELNS0_4arch9wavefront6targetE0EEEvT1_.num_vgpr, 0
	.set _ZN7rocprim17ROCPRIM_400000_NS6detail17trampoline_kernelINS0_14default_configENS1_25partition_config_selectorILNS1_17partition_subalgoE9EllbEEZZNS1_14partition_implILS5_9ELb0ES3_jPKlN6thrust23THRUST_200600_302600_NS17counting_iteratorIlNSB_11use_defaultESD_SD_EEPNS0_10empty_typeENS0_5tupleIJPlSF_EEENSH_IJSI_SG_EEENS0_18inequality_wrapperIN6hipcub16HIPCUB_304000_NS8EqualityEEESI_JSF_EEE10hipError_tPvRmT3_T4_T5_T6_T7_T9_mT8_P12ihipStream_tbDpT10_ENKUlT_T0_E_clISt17integral_constantIbLb1EES19_EEDaS14_S15_EUlS14_E_NS1_11comp_targetILNS1_3genE2ELNS1_11target_archE906ELNS1_3gpuE6ELNS1_3repE0EEENS1_30default_config_static_selectorELNS0_4arch9wavefront6targetE0EEEvT1_.num_agpr, 0
	.set _ZN7rocprim17ROCPRIM_400000_NS6detail17trampoline_kernelINS0_14default_configENS1_25partition_config_selectorILNS1_17partition_subalgoE9EllbEEZZNS1_14partition_implILS5_9ELb0ES3_jPKlN6thrust23THRUST_200600_302600_NS17counting_iteratorIlNSB_11use_defaultESD_SD_EEPNS0_10empty_typeENS0_5tupleIJPlSF_EEENSH_IJSI_SG_EEENS0_18inequality_wrapperIN6hipcub16HIPCUB_304000_NS8EqualityEEESI_JSF_EEE10hipError_tPvRmT3_T4_T5_T6_T7_T9_mT8_P12ihipStream_tbDpT10_ENKUlT_T0_E_clISt17integral_constantIbLb1EES19_EEDaS14_S15_EUlS14_E_NS1_11comp_targetILNS1_3genE2ELNS1_11target_archE906ELNS1_3gpuE6ELNS1_3repE0EEENS1_30default_config_static_selectorELNS0_4arch9wavefront6targetE0EEEvT1_.numbered_sgpr, 0
	.set _ZN7rocprim17ROCPRIM_400000_NS6detail17trampoline_kernelINS0_14default_configENS1_25partition_config_selectorILNS1_17partition_subalgoE9EllbEEZZNS1_14partition_implILS5_9ELb0ES3_jPKlN6thrust23THRUST_200600_302600_NS17counting_iteratorIlNSB_11use_defaultESD_SD_EEPNS0_10empty_typeENS0_5tupleIJPlSF_EEENSH_IJSI_SG_EEENS0_18inequality_wrapperIN6hipcub16HIPCUB_304000_NS8EqualityEEESI_JSF_EEE10hipError_tPvRmT3_T4_T5_T6_T7_T9_mT8_P12ihipStream_tbDpT10_ENKUlT_T0_E_clISt17integral_constantIbLb1EES19_EEDaS14_S15_EUlS14_E_NS1_11comp_targetILNS1_3genE2ELNS1_11target_archE906ELNS1_3gpuE6ELNS1_3repE0EEENS1_30default_config_static_selectorELNS0_4arch9wavefront6targetE0EEEvT1_.num_named_barrier, 0
	.set _ZN7rocprim17ROCPRIM_400000_NS6detail17trampoline_kernelINS0_14default_configENS1_25partition_config_selectorILNS1_17partition_subalgoE9EllbEEZZNS1_14partition_implILS5_9ELb0ES3_jPKlN6thrust23THRUST_200600_302600_NS17counting_iteratorIlNSB_11use_defaultESD_SD_EEPNS0_10empty_typeENS0_5tupleIJPlSF_EEENSH_IJSI_SG_EEENS0_18inequality_wrapperIN6hipcub16HIPCUB_304000_NS8EqualityEEESI_JSF_EEE10hipError_tPvRmT3_T4_T5_T6_T7_T9_mT8_P12ihipStream_tbDpT10_ENKUlT_T0_E_clISt17integral_constantIbLb1EES19_EEDaS14_S15_EUlS14_E_NS1_11comp_targetILNS1_3genE2ELNS1_11target_archE906ELNS1_3gpuE6ELNS1_3repE0EEENS1_30default_config_static_selectorELNS0_4arch9wavefront6targetE0EEEvT1_.private_seg_size, 0
	.set _ZN7rocprim17ROCPRIM_400000_NS6detail17trampoline_kernelINS0_14default_configENS1_25partition_config_selectorILNS1_17partition_subalgoE9EllbEEZZNS1_14partition_implILS5_9ELb0ES3_jPKlN6thrust23THRUST_200600_302600_NS17counting_iteratorIlNSB_11use_defaultESD_SD_EEPNS0_10empty_typeENS0_5tupleIJPlSF_EEENSH_IJSI_SG_EEENS0_18inequality_wrapperIN6hipcub16HIPCUB_304000_NS8EqualityEEESI_JSF_EEE10hipError_tPvRmT3_T4_T5_T6_T7_T9_mT8_P12ihipStream_tbDpT10_ENKUlT_T0_E_clISt17integral_constantIbLb1EES19_EEDaS14_S15_EUlS14_E_NS1_11comp_targetILNS1_3genE2ELNS1_11target_archE906ELNS1_3gpuE6ELNS1_3repE0EEENS1_30default_config_static_selectorELNS0_4arch9wavefront6targetE0EEEvT1_.uses_vcc, 0
	.set _ZN7rocprim17ROCPRIM_400000_NS6detail17trampoline_kernelINS0_14default_configENS1_25partition_config_selectorILNS1_17partition_subalgoE9EllbEEZZNS1_14partition_implILS5_9ELb0ES3_jPKlN6thrust23THRUST_200600_302600_NS17counting_iteratorIlNSB_11use_defaultESD_SD_EEPNS0_10empty_typeENS0_5tupleIJPlSF_EEENSH_IJSI_SG_EEENS0_18inequality_wrapperIN6hipcub16HIPCUB_304000_NS8EqualityEEESI_JSF_EEE10hipError_tPvRmT3_T4_T5_T6_T7_T9_mT8_P12ihipStream_tbDpT10_ENKUlT_T0_E_clISt17integral_constantIbLb1EES19_EEDaS14_S15_EUlS14_E_NS1_11comp_targetILNS1_3genE2ELNS1_11target_archE906ELNS1_3gpuE6ELNS1_3repE0EEENS1_30default_config_static_selectorELNS0_4arch9wavefront6targetE0EEEvT1_.uses_flat_scratch, 0
	.set _ZN7rocprim17ROCPRIM_400000_NS6detail17trampoline_kernelINS0_14default_configENS1_25partition_config_selectorILNS1_17partition_subalgoE9EllbEEZZNS1_14partition_implILS5_9ELb0ES3_jPKlN6thrust23THRUST_200600_302600_NS17counting_iteratorIlNSB_11use_defaultESD_SD_EEPNS0_10empty_typeENS0_5tupleIJPlSF_EEENSH_IJSI_SG_EEENS0_18inequality_wrapperIN6hipcub16HIPCUB_304000_NS8EqualityEEESI_JSF_EEE10hipError_tPvRmT3_T4_T5_T6_T7_T9_mT8_P12ihipStream_tbDpT10_ENKUlT_T0_E_clISt17integral_constantIbLb1EES19_EEDaS14_S15_EUlS14_E_NS1_11comp_targetILNS1_3genE2ELNS1_11target_archE906ELNS1_3gpuE6ELNS1_3repE0EEENS1_30default_config_static_selectorELNS0_4arch9wavefront6targetE0EEEvT1_.has_dyn_sized_stack, 0
	.set _ZN7rocprim17ROCPRIM_400000_NS6detail17trampoline_kernelINS0_14default_configENS1_25partition_config_selectorILNS1_17partition_subalgoE9EllbEEZZNS1_14partition_implILS5_9ELb0ES3_jPKlN6thrust23THRUST_200600_302600_NS17counting_iteratorIlNSB_11use_defaultESD_SD_EEPNS0_10empty_typeENS0_5tupleIJPlSF_EEENSH_IJSI_SG_EEENS0_18inequality_wrapperIN6hipcub16HIPCUB_304000_NS8EqualityEEESI_JSF_EEE10hipError_tPvRmT3_T4_T5_T6_T7_T9_mT8_P12ihipStream_tbDpT10_ENKUlT_T0_E_clISt17integral_constantIbLb1EES19_EEDaS14_S15_EUlS14_E_NS1_11comp_targetILNS1_3genE2ELNS1_11target_archE906ELNS1_3gpuE6ELNS1_3repE0EEENS1_30default_config_static_selectorELNS0_4arch9wavefront6targetE0EEEvT1_.has_recursion, 0
	.set _ZN7rocprim17ROCPRIM_400000_NS6detail17trampoline_kernelINS0_14default_configENS1_25partition_config_selectorILNS1_17partition_subalgoE9EllbEEZZNS1_14partition_implILS5_9ELb0ES3_jPKlN6thrust23THRUST_200600_302600_NS17counting_iteratorIlNSB_11use_defaultESD_SD_EEPNS0_10empty_typeENS0_5tupleIJPlSF_EEENSH_IJSI_SG_EEENS0_18inequality_wrapperIN6hipcub16HIPCUB_304000_NS8EqualityEEESI_JSF_EEE10hipError_tPvRmT3_T4_T5_T6_T7_T9_mT8_P12ihipStream_tbDpT10_ENKUlT_T0_E_clISt17integral_constantIbLb1EES19_EEDaS14_S15_EUlS14_E_NS1_11comp_targetILNS1_3genE2ELNS1_11target_archE906ELNS1_3gpuE6ELNS1_3repE0EEENS1_30default_config_static_selectorELNS0_4arch9wavefront6targetE0EEEvT1_.has_indirect_call, 0
	.section	.AMDGPU.csdata,"",@progbits
; Kernel info:
; codeLenInByte = 0
; TotalNumSgprs: 0
; NumVgprs: 0
; ScratchSize: 0
; MemoryBound: 0
; FloatMode: 240
; IeeeMode: 1
; LDSByteSize: 0 bytes/workgroup (compile time only)
; SGPRBlocks: 0
; VGPRBlocks: 0
; NumSGPRsForWavesPerEU: 1
; NumVGPRsForWavesPerEU: 1
; Occupancy: 16
; WaveLimiterHint : 0
; COMPUTE_PGM_RSRC2:SCRATCH_EN: 0
; COMPUTE_PGM_RSRC2:USER_SGPR: 2
; COMPUTE_PGM_RSRC2:TRAP_HANDLER: 0
; COMPUTE_PGM_RSRC2:TGID_X_EN: 1
; COMPUTE_PGM_RSRC2:TGID_Y_EN: 0
; COMPUTE_PGM_RSRC2:TGID_Z_EN: 0
; COMPUTE_PGM_RSRC2:TIDIG_COMP_CNT: 0
	.section	.text._ZN7rocprim17ROCPRIM_400000_NS6detail17trampoline_kernelINS0_14default_configENS1_25partition_config_selectorILNS1_17partition_subalgoE9EllbEEZZNS1_14partition_implILS5_9ELb0ES3_jPKlN6thrust23THRUST_200600_302600_NS17counting_iteratorIlNSB_11use_defaultESD_SD_EEPNS0_10empty_typeENS0_5tupleIJPlSF_EEENSH_IJSI_SG_EEENS0_18inequality_wrapperIN6hipcub16HIPCUB_304000_NS8EqualityEEESI_JSF_EEE10hipError_tPvRmT3_T4_T5_T6_T7_T9_mT8_P12ihipStream_tbDpT10_ENKUlT_T0_E_clISt17integral_constantIbLb1EES19_EEDaS14_S15_EUlS14_E_NS1_11comp_targetILNS1_3genE10ELNS1_11target_archE1200ELNS1_3gpuE4ELNS1_3repE0EEENS1_30default_config_static_selectorELNS0_4arch9wavefront6targetE0EEEvT1_,"axG",@progbits,_ZN7rocprim17ROCPRIM_400000_NS6detail17trampoline_kernelINS0_14default_configENS1_25partition_config_selectorILNS1_17partition_subalgoE9EllbEEZZNS1_14partition_implILS5_9ELb0ES3_jPKlN6thrust23THRUST_200600_302600_NS17counting_iteratorIlNSB_11use_defaultESD_SD_EEPNS0_10empty_typeENS0_5tupleIJPlSF_EEENSH_IJSI_SG_EEENS0_18inequality_wrapperIN6hipcub16HIPCUB_304000_NS8EqualityEEESI_JSF_EEE10hipError_tPvRmT3_T4_T5_T6_T7_T9_mT8_P12ihipStream_tbDpT10_ENKUlT_T0_E_clISt17integral_constantIbLb1EES19_EEDaS14_S15_EUlS14_E_NS1_11comp_targetILNS1_3genE10ELNS1_11target_archE1200ELNS1_3gpuE4ELNS1_3repE0EEENS1_30default_config_static_selectorELNS0_4arch9wavefront6targetE0EEEvT1_,comdat
	.protected	_ZN7rocprim17ROCPRIM_400000_NS6detail17trampoline_kernelINS0_14default_configENS1_25partition_config_selectorILNS1_17partition_subalgoE9EllbEEZZNS1_14partition_implILS5_9ELb0ES3_jPKlN6thrust23THRUST_200600_302600_NS17counting_iteratorIlNSB_11use_defaultESD_SD_EEPNS0_10empty_typeENS0_5tupleIJPlSF_EEENSH_IJSI_SG_EEENS0_18inequality_wrapperIN6hipcub16HIPCUB_304000_NS8EqualityEEESI_JSF_EEE10hipError_tPvRmT3_T4_T5_T6_T7_T9_mT8_P12ihipStream_tbDpT10_ENKUlT_T0_E_clISt17integral_constantIbLb1EES19_EEDaS14_S15_EUlS14_E_NS1_11comp_targetILNS1_3genE10ELNS1_11target_archE1200ELNS1_3gpuE4ELNS1_3repE0EEENS1_30default_config_static_selectorELNS0_4arch9wavefront6targetE0EEEvT1_ ; -- Begin function _ZN7rocprim17ROCPRIM_400000_NS6detail17trampoline_kernelINS0_14default_configENS1_25partition_config_selectorILNS1_17partition_subalgoE9EllbEEZZNS1_14partition_implILS5_9ELb0ES3_jPKlN6thrust23THRUST_200600_302600_NS17counting_iteratorIlNSB_11use_defaultESD_SD_EEPNS0_10empty_typeENS0_5tupleIJPlSF_EEENSH_IJSI_SG_EEENS0_18inequality_wrapperIN6hipcub16HIPCUB_304000_NS8EqualityEEESI_JSF_EEE10hipError_tPvRmT3_T4_T5_T6_T7_T9_mT8_P12ihipStream_tbDpT10_ENKUlT_T0_E_clISt17integral_constantIbLb1EES19_EEDaS14_S15_EUlS14_E_NS1_11comp_targetILNS1_3genE10ELNS1_11target_archE1200ELNS1_3gpuE4ELNS1_3repE0EEENS1_30default_config_static_selectorELNS0_4arch9wavefront6targetE0EEEvT1_
	.globl	_ZN7rocprim17ROCPRIM_400000_NS6detail17trampoline_kernelINS0_14default_configENS1_25partition_config_selectorILNS1_17partition_subalgoE9EllbEEZZNS1_14partition_implILS5_9ELb0ES3_jPKlN6thrust23THRUST_200600_302600_NS17counting_iteratorIlNSB_11use_defaultESD_SD_EEPNS0_10empty_typeENS0_5tupleIJPlSF_EEENSH_IJSI_SG_EEENS0_18inequality_wrapperIN6hipcub16HIPCUB_304000_NS8EqualityEEESI_JSF_EEE10hipError_tPvRmT3_T4_T5_T6_T7_T9_mT8_P12ihipStream_tbDpT10_ENKUlT_T0_E_clISt17integral_constantIbLb1EES19_EEDaS14_S15_EUlS14_E_NS1_11comp_targetILNS1_3genE10ELNS1_11target_archE1200ELNS1_3gpuE4ELNS1_3repE0EEENS1_30default_config_static_selectorELNS0_4arch9wavefront6targetE0EEEvT1_
	.p2align	8
	.type	_ZN7rocprim17ROCPRIM_400000_NS6detail17trampoline_kernelINS0_14default_configENS1_25partition_config_selectorILNS1_17partition_subalgoE9EllbEEZZNS1_14partition_implILS5_9ELb0ES3_jPKlN6thrust23THRUST_200600_302600_NS17counting_iteratorIlNSB_11use_defaultESD_SD_EEPNS0_10empty_typeENS0_5tupleIJPlSF_EEENSH_IJSI_SG_EEENS0_18inequality_wrapperIN6hipcub16HIPCUB_304000_NS8EqualityEEESI_JSF_EEE10hipError_tPvRmT3_T4_T5_T6_T7_T9_mT8_P12ihipStream_tbDpT10_ENKUlT_T0_E_clISt17integral_constantIbLb1EES19_EEDaS14_S15_EUlS14_E_NS1_11comp_targetILNS1_3genE10ELNS1_11target_archE1200ELNS1_3gpuE4ELNS1_3repE0EEENS1_30default_config_static_selectorELNS0_4arch9wavefront6targetE0EEEvT1_,@function
_ZN7rocprim17ROCPRIM_400000_NS6detail17trampoline_kernelINS0_14default_configENS1_25partition_config_selectorILNS1_17partition_subalgoE9EllbEEZZNS1_14partition_implILS5_9ELb0ES3_jPKlN6thrust23THRUST_200600_302600_NS17counting_iteratorIlNSB_11use_defaultESD_SD_EEPNS0_10empty_typeENS0_5tupleIJPlSF_EEENSH_IJSI_SG_EEENS0_18inequality_wrapperIN6hipcub16HIPCUB_304000_NS8EqualityEEESI_JSF_EEE10hipError_tPvRmT3_T4_T5_T6_T7_T9_mT8_P12ihipStream_tbDpT10_ENKUlT_T0_E_clISt17integral_constantIbLb1EES19_EEDaS14_S15_EUlS14_E_NS1_11comp_targetILNS1_3genE10ELNS1_11target_archE1200ELNS1_3gpuE4ELNS1_3repE0EEENS1_30default_config_static_selectorELNS0_4arch9wavefront6targetE0EEEvT1_: ; @_ZN7rocprim17ROCPRIM_400000_NS6detail17trampoline_kernelINS0_14default_configENS1_25partition_config_selectorILNS1_17partition_subalgoE9EllbEEZZNS1_14partition_implILS5_9ELb0ES3_jPKlN6thrust23THRUST_200600_302600_NS17counting_iteratorIlNSB_11use_defaultESD_SD_EEPNS0_10empty_typeENS0_5tupleIJPlSF_EEENSH_IJSI_SG_EEENS0_18inequality_wrapperIN6hipcub16HIPCUB_304000_NS8EqualityEEESI_JSF_EEE10hipError_tPvRmT3_T4_T5_T6_T7_T9_mT8_P12ihipStream_tbDpT10_ENKUlT_T0_E_clISt17integral_constantIbLb1EES19_EEDaS14_S15_EUlS14_E_NS1_11comp_targetILNS1_3genE10ELNS1_11target_archE1200ELNS1_3gpuE4ELNS1_3repE0EEENS1_30default_config_static_selectorELNS0_4arch9wavefront6targetE0EEEvT1_
; %bb.0:
	s_endpgm
	.section	.rodata,"a",@progbits
	.p2align	6, 0x0
	.amdhsa_kernel _ZN7rocprim17ROCPRIM_400000_NS6detail17trampoline_kernelINS0_14default_configENS1_25partition_config_selectorILNS1_17partition_subalgoE9EllbEEZZNS1_14partition_implILS5_9ELb0ES3_jPKlN6thrust23THRUST_200600_302600_NS17counting_iteratorIlNSB_11use_defaultESD_SD_EEPNS0_10empty_typeENS0_5tupleIJPlSF_EEENSH_IJSI_SG_EEENS0_18inequality_wrapperIN6hipcub16HIPCUB_304000_NS8EqualityEEESI_JSF_EEE10hipError_tPvRmT3_T4_T5_T6_T7_T9_mT8_P12ihipStream_tbDpT10_ENKUlT_T0_E_clISt17integral_constantIbLb1EES19_EEDaS14_S15_EUlS14_E_NS1_11comp_targetILNS1_3genE10ELNS1_11target_archE1200ELNS1_3gpuE4ELNS1_3repE0EEENS1_30default_config_static_selectorELNS0_4arch9wavefront6targetE0EEEvT1_
		.amdhsa_group_segment_fixed_size 0
		.amdhsa_private_segment_fixed_size 0
		.amdhsa_kernarg_size 128
		.amdhsa_user_sgpr_count 2
		.amdhsa_user_sgpr_dispatch_ptr 0
		.amdhsa_user_sgpr_queue_ptr 0
		.amdhsa_user_sgpr_kernarg_segment_ptr 1
		.amdhsa_user_sgpr_dispatch_id 0
		.amdhsa_user_sgpr_private_segment_size 0
		.amdhsa_wavefront_size32 1
		.amdhsa_uses_dynamic_stack 0
		.amdhsa_enable_private_segment 0
		.amdhsa_system_sgpr_workgroup_id_x 1
		.amdhsa_system_sgpr_workgroup_id_y 0
		.amdhsa_system_sgpr_workgroup_id_z 0
		.amdhsa_system_sgpr_workgroup_info 0
		.amdhsa_system_vgpr_workitem_id 0
		.amdhsa_next_free_vgpr 1
		.amdhsa_next_free_sgpr 1
		.amdhsa_reserve_vcc 0
		.amdhsa_float_round_mode_32 0
		.amdhsa_float_round_mode_16_64 0
		.amdhsa_float_denorm_mode_32 3
		.amdhsa_float_denorm_mode_16_64 3
		.amdhsa_fp16_overflow 0
		.amdhsa_workgroup_processor_mode 1
		.amdhsa_memory_ordered 1
		.amdhsa_forward_progress 1
		.amdhsa_inst_pref_size 1
		.amdhsa_round_robin_scheduling 0
		.amdhsa_exception_fp_ieee_invalid_op 0
		.amdhsa_exception_fp_denorm_src 0
		.amdhsa_exception_fp_ieee_div_zero 0
		.amdhsa_exception_fp_ieee_overflow 0
		.amdhsa_exception_fp_ieee_underflow 0
		.amdhsa_exception_fp_ieee_inexact 0
		.amdhsa_exception_int_div_zero 0
	.end_amdhsa_kernel
	.section	.text._ZN7rocprim17ROCPRIM_400000_NS6detail17trampoline_kernelINS0_14default_configENS1_25partition_config_selectorILNS1_17partition_subalgoE9EllbEEZZNS1_14partition_implILS5_9ELb0ES3_jPKlN6thrust23THRUST_200600_302600_NS17counting_iteratorIlNSB_11use_defaultESD_SD_EEPNS0_10empty_typeENS0_5tupleIJPlSF_EEENSH_IJSI_SG_EEENS0_18inequality_wrapperIN6hipcub16HIPCUB_304000_NS8EqualityEEESI_JSF_EEE10hipError_tPvRmT3_T4_T5_T6_T7_T9_mT8_P12ihipStream_tbDpT10_ENKUlT_T0_E_clISt17integral_constantIbLb1EES19_EEDaS14_S15_EUlS14_E_NS1_11comp_targetILNS1_3genE10ELNS1_11target_archE1200ELNS1_3gpuE4ELNS1_3repE0EEENS1_30default_config_static_selectorELNS0_4arch9wavefront6targetE0EEEvT1_,"axG",@progbits,_ZN7rocprim17ROCPRIM_400000_NS6detail17trampoline_kernelINS0_14default_configENS1_25partition_config_selectorILNS1_17partition_subalgoE9EllbEEZZNS1_14partition_implILS5_9ELb0ES3_jPKlN6thrust23THRUST_200600_302600_NS17counting_iteratorIlNSB_11use_defaultESD_SD_EEPNS0_10empty_typeENS0_5tupleIJPlSF_EEENSH_IJSI_SG_EEENS0_18inequality_wrapperIN6hipcub16HIPCUB_304000_NS8EqualityEEESI_JSF_EEE10hipError_tPvRmT3_T4_T5_T6_T7_T9_mT8_P12ihipStream_tbDpT10_ENKUlT_T0_E_clISt17integral_constantIbLb1EES19_EEDaS14_S15_EUlS14_E_NS1_11comp_targetILNS1_3genE10ELNS1_11target_archE1200ELNS1_3gpuE4ELNS1_3repE0EEENS1_30default_config_static_selectorELNS0_4arch9wavefront6targetE0EEEvT1_,comdat
.Lfunc_end57:
	.size	_ZN7rocprim17ROCPRIM_400000_NS6detail17trampoline_kernelINS0_14default_configENS1_25partition_config_selectorILNS1_17partition_subalgoE9EllbEEZZNS1_14partition_implILS5_9ELb0ES3_jPKlN6thrust23THRUST_200600_302600_NS17counting_iteratorIlNSB_11use_defaultESD_SD_EEPNS0_10empty_typeENS0_5tupleIJPlSF_EEENSH_IJSI_SG_EEENS0_18inequality_wrapperIN6hipcub16HIPCUB_304000_NS8EqualityEEESI_JSF_EEE10hipError_tPvRmT3_T4_T5_T6_T7_T9_mT8_P12ihipStream_tbDpT10_ENKUlT_T0_E_clISt17integral_constantIbLb1EES19_EEDaS14_S15_EUlS14_E_NS1_11comp_targetILNS1_3genE10ELNS1_11target_archE1200ELNS1_3gpuE4ELNS1_3repE0EEENS1_30default_config_static_selectorELNS0_4arch9wavefront6targetE0EEEvT1_, .Lfunc_end57-_ZN7rocprim17ROCPRIM_400000_NS6detail17trampoline_kernelINS0_14default_configENS1_25partition_config_selectorILNS1_17partition_subalgoE9EllbEEZZNS1_14partition_implILS5_9ELb0ES3_jPKlN6thrust23THRUST_200600_302600_NS17counting_iteratorIlNSB_11use_defaultESD_SD_EEPNS0_10empty_typeENS0_5tupleIJPlSF_EEENSH_IJSI_SG_EEENS0_18inequality_wrapperIN6hipcub16HIPCUB_304000_NS8EqualityEEESI_JSF_EEE10hipError_tPvRmT3_T4_T5_T6_T7_T9_mT8_P12ihipStream_tbDpT10_ENKUlT_T0_E_clISt17integral_constantIbLb1EES19_EEDaS14_S15_EUlS14_E_NS1_11comp_targetILNS1_3genE10ELNS1_11target_archE1200ELNS1_3gpuE4ELNS1_3repE0EEENS1_30default_config_static_selectorELNS0_4arch9wavefront6targetE0EEEvT1_
                                        ; -- End function
	.set _ZN7rocprim17ROCPRIM_400000_NS6detail17trampoline_kernelINS0_14default_configENS1_25partition_config_selectorILNS1_17partition_subalgoE9EllbEEZZNS1_14partition_implILS5_9ELb0ES3_jPKlN6thrust23THRUST_200600_302600_NS17counting_iteratorIlNSB_11use_defaultESD_SD_EEPNS0_10empty_typeENS0_5tupleIJPlSF_EEENSH_IJSI_SG_EEENS0_18inequality_wrapperIN6hipcub16HIPCUB_304000_NS8EqualityEEESI_JSF_EEE10hipError_tPvRmT3_T4_T5_T6_T7_T9_mT8_P12ihipStream_tbDpT10_ENKUlT_T0_E_clISt17integral_constantIbLb1EES19_EEDaS14_S15_EUlS14_E_NS1_11comp_targetILNS1_3genE10ELNS1_11target_archE1200ELNS1_3gpuE4ELNS1_3repE0EEENS1_30default_config_static_selectorELNS0_4arch9wavefront6targetE0EEEvT1_.num_vgpr, 0
	.set _ZN7rocprim17ROCPRIM_400000_NS6detail17trampoline_kernelINS0_14default_configENS1_25partition_config_selectorILNS1_17partition_subalgoE9EllbEEZZNS1_14partition_implILS5_9ELb0ES3_jPKlN6thrust23THRUST_200600_302600_NS17counting_iteratorIlNSB_11use_defaultESD_SD_EEPNS0_10empty_typeENS0_5tupleIJPlSF_EEENSH_IJSI_SG_EEENS0_18inequality_wrapperIN6hipcub16HIPCUB_304000_NS8EqualityEEESI_JSF_EEE10hipError_tPvRmT3_T4_T5_T6_T7_T9_mT8_P12ihipStream_tbDpT10_ENKUlT_T0_E_clISt17integral_constantIbLb1EES19_EEDaS14_S15_EUlS14_E_NS1_11comp_targetILNS1_3genE10ELNS1_11target_archE1200ELNS1_3gpuE4ELNS1_3repE0EEENS1_30default_config_static_selectorELNS0_4arch9wavefront6targetE0EEEvT1_.num_agpr, 0
	.set _ZN7rocprim17ROCPRIM_400000_NS6detail17trampoline_kernelINS0_14default_configENS1_25partition_config_selectorILNS1_17partition_subalgoE9EllbEEZZNS1_14partition_implILS5_9ELb0ES3_jPKlN6thrust23THRUST_200600_302600_NS17counting_iteratorIlNSB_11use_defaultESD_SD_EEPNS0_10empty_typeENS0_5tupleIJPlSF_EEENSH_IJSI_SG_EEENS0_18inequality_wrapperIN6hipcub16HIPCUB_304000_NS8EqualityEEESI_JSF_EEE10hipError_tPvRmT3_T4_T5_T6_T7_T9_mT8_P12ihipStream_tbDpT10_ENKUlT_T0_E_clISt17integral_constantIbLb1EES19_EEDaS14_S15_EUlS14_E_NS1_11comp_targetILNS1_3genE10ELNS1_11target_archE1200ELNS1_3gpuE4ELNS1_3repE0EEENS1_30default_config_static_selectorELNS0_4arch9wavefront6targetE0EEEvT1_.numbered_sgpr, 0
	.set _ZN7rocprim17ROCPRIM_400000_NS6detail17trampoline_kernelINS0_14default_configENS1_25partition_config_selectorILNS1_17partition_subalgoE9EllbEEZZNS1_14partition_implILS5_9ELb0ES3_jPKlN6thrust23THRUST_200600_302600_NS17counting_iteratorIlNSB_11use_defaultESD_SD_EEPNS0_10empty_typeENS0_5tupleIJPlSF_EEENSH_IJSI_SG_EEENS0_18inequality_wrapperIN6hipcub16HIPCUB_304000_NS8EqualityEEESI_JSF_EEE10hipError_tPvRmT3_T4_T5_T6_T7_T9_mT8_P12ihipStream_tbDpT10_ENKUlT_T0_E_clISt17integral_constantIbLb1EES19_EEDaS14_S15_EUlS14_E_NS1_11comp_targetILNS1_3genE10ELNS1_11target_archE1200ELNS1_3gpuE4ELNS1_3repE0EEENS1_30default_config_static_selectorELNS0_4arch9wavefront6targetE0EEEvT1_.num_named_barrier, 0
	.set _ZN7rocprim17ROCPRIM_400000_NS6detail17trampoline_kernelINS0_14default_configENS1_25partition_config_selectorILNS1_17partition_subalgoE9EllbEEZZNS1_14partition_implILS5_9ELb0ES3_jPKlN6thrust23THRUST_200600_302600_NS17counting_iteratorIlNSB_11use_defaultESD_SD_EEPNS0_10empty_typeENS0_5tupleIJPlSF_EEENSH_IJSI_SG_EEENS0_18inequality_wrapperIN6hipcub16HIPCUB_304000_NS8EqualityEEESI_JSF_EEE10hipError_tPvRmT3_T4_T5_T6_T7_T9_mT8_P12ihipStream_tbDpT10_ENKUlT_T0_E_clISt17integral_constantIbLb1EES19_EEDaS14_S15_EUlS14_E_NS1_11comp_targetILNS1_3genE10ELNS1_11target_archE1200ELNS1_3gpuE4ELNS1_3repE0EEENS1_30default_config_static_selectorELNS0_4arch9wavefront6targetE0EEEvT1_.private_seg_size, 0
	.set _ZN7rocprim17ROCPRIM_400000_NS6detail17trampoline_kernelINS0_14default_configENS1_25partition_config_selectorILNS1_17partition_subalgoE9EllbEEZZNS1_14partition_implILS5_9ELb0ES3_jPKlN6thrust23THRUST_200600_302600_NS17counting_iteratorIlNSB_11use_defaultESD_SD_EEPNS0_10empty_typeENS0_5tupleIJPlSF_EEENSH_IJSI_SG_EEENS0_18inequality_wrapperIN6hipcub16HIPCUB_304000_NS8EqualityEEESI_JSF_EEE10hipError_tPvRmT3_T4_T5_T6_T7_T9_mT8_P12ihipStream_tbDpT10_ENKUlT_T0_E_clISt17integral_constantIbLb1EES19_EEDaS14_S15_EUlS14_E_NS1_11comp_targetILNS1_3genE10ELNS1_11target_archE1200ELNS1_3gpuE4ELNS1_3repE0EEENS1_30default_config_static_selectorELNS0_4arch9wavefront6targetE0EEEvT1_.uses_vcc, 0
	.set _ZN7rocprim17ROCPRIM_400000_NS6detail17trampoline_kernelINS0_14default_configENS1_25partition_config_selectorILNS1_17partition_subalgoE9EllbEEZZNS1_14partition_implILS5_9ELb0ES3_jPKlN6thrust23THRUST_200600_302600_NS17counting_iteratorIlNSB_11use_defaultESD_SD_EEPNS0_10empty_typeENS0_5tupleIJPlSF_EEENSH_IJSI_SG_EEENS0_18inequality_wrapperIN6hipcub16HIPCUB_304000_NS8EqualityEEESI_JSF_EEE10hipError_tPvRmT3_T4_T5_T6_T7_T9_mT8_P12ihipStream_tbDpT10_ENKUlT_T0_E_clISt17integral_constantIbLb1EES19_EEDaS14_S15_EUlS14_E_NS1_11comp_targetILNS1_3genE10ELNS1_11target_archE1200ELNS1_3gpuE4ELNS1_3repE0EEENS1_30default_config_static_selectorELNS0_4arch9wavefront6targetE0EEEvT1_.uses_flat_scratch, 0
	.set _ZN7rocprim17ROCPRIM_400000_NS6detail17trampoline_kernelINS0_14default_configENS1_25partition_config_selectorILNS1_17partition_subalgoE9EllbEEZZNS1_14partition_implILS5_9ELb0ES3_jPKlN6thrust23THRUST_200600_302600_NS17counting_iteratorIlNSB_11use_defaultESD_SD_EEPNS0_10empty_typeENS0_5tupleIJPlSF_EEENSH_IJSI_SG_EEENS0_18inequality_wrapperIN6hipcub16HIPCUB_304000_NS8EqualityEEESI_JSF_EEE10hipError_tPvRmT3_T4_T5_T6_T7_T9_mT8_P12ihipStream_tbDpT10_ENKUlT_T0_E_clISt17integral_constantIbLb1EES19_EEDaS14_S15_EUlS14_E_NS1_11comp_targetILNS1_3genE10ELNS1_11target_archE1200ELNS1_3gpuE4ELNS1_3repE0EEENS1_30default_config_static_selectorELNS0_4arch9wavefront6targetE0EEEvT1_.has_dyn_sized_stack, 0
	.set _ZN7rocprim17ROCPRIM_400000_NS6detail17trampoline_kernelINS0_14default_configENS1_25partition_config_selectorILNS1_17partition_subalgoE9EllbEEZZNS1_14partition_implILS5_9ELb0ES3_jPKlN6thrust23THRUST_200600_302600_NS17counting_iteratorIlNSB_11use_defaultESD_SD_EEPNS0_10empty_typeENS0_5tupleIJPlSF_EEENSH_IJSI_SG_EEENS0_18inequality_wrapperIN6hipcub16HIPCUB_304000_NS8EqualityEEESI_JSF_EEE10hipError_tPvRmT3_T4_T5_T6_T7_T9_mT8_P12ihipStream_tbDpT10_ENKUlT_T0_E_clISt17integral_constantIbLb1EES19_EEDaS14_S15_EUlS14_E_NS1_11comp_targetILNS1_3genE10ELNS1_11target_archE1200ELNS1_3gpuE4ELNS1_3repE0EEENS1_30default_config_static_selectorELNS0_4arch9wavefront6targetE0EEEvT1_.has_recursion, 0
	.set _ZN7rocprim17ROCPRIM_400000_NS6detail17trampoline_kernelINS0_14default_configENS1_25partition_config_selectorILNS1_17partition_subalgoE9EllbEEZZNS1_14partition_implILS5_9ELb0ES3_jPKlN6thrust23THRUST_200600_302600_NS17counting_iteratorIlNSB_11use_defaultESD_SD_EEPNS0_10empty_typeENS0_5tupleIJPlSF_EEENSH_IJSI_SG_EEENS0_18inequality_wrapperIN6hipcub16HIPCUB_304000_NS8EqualityEEESI_JSF_EEE10hipError_tPvRmT3_T4_T5_T6_T7_T9_mT8_P12ihipStream_tbDpT10_ENKUlT_T0_E_clISt17integral_constantIbLb1EES19_EEDaS14_S15_EUlS14_E_NS1_11comp_targetILNS1_3genE10ELNS1_11target_archE1200ELNS1_3gpuE4ELNS1_3repE0EEENS1_30default_config_static_selectorELNS0_4arch9wavefront6targetE0EEEvT1_.has_indirect_call, 0
	.section	.AMDGPU.csdata,"",@progbits
; Kernel info:
; codeLenInByte = 4
; TotalNumSgprs: 0
; NumVgprs: 0
; ScratchSize: 0
; MemoryBound: 0
; FloatMode: 240
; IeeeMode: 1
; LDSByteSize: 0 bytes/workgroup (compile time only)
; SGPRBlocks: 0
; VGPRBlocks: 0
; NumSGPRsForWavesPerEU: 1
; NumVGPRsForWavesPerEU: 1
; Occupancy: 16
; WaveLimiterHint : 0
; COMPUTE_PGM_RSRC2:SCRATCH_EN: 0
; COMPUTE_PGM_RSRC2:USER_SGPR: 2
; COMPUTE_PGM_RSRC2:TRAP_HANDLER: 0
; COMPUTE_PGM_RSRC2:TGID_X_EN: 1
; COMPUTE_PGM_RSRC2:TGID_Y_EN: 0
; COMPUTE_PGM_RSRC2:TGID_Z_EN: 0
; COMPUTE_PGM_RSRC2:TIDIG_COMP_CNT: 0
	.section	.text._ZN7rocprim17ROCPRIM_400000_NS6detail17trampoline_kernelINS0_14default_configENS1_25partition_config_selectorILNS1_17partition_subalgoE9EllbEEZZNS1_14partition_implILS5_9ELb0ES3_jPKlN6thrust23THRUST_200600_302600_NS17counting_iteratorIlNSB_11use_defaultESD_SD_EEPNS0_10empty_typeENS0_5tupleIJPlSF_EEENSH_IJSI_SG_EEENS0_18inequality_wrapperIN6hipcub16HIPCUB_304000_NS8EqualityEEESI_JSF_EEE10hipError_tPvRmT3_T4_T5_T6_T7_T9_mT8_P12ihipStream_tbDpT10_ENKUlT_T0_E_clISt17integral_constantIbLb1EES19_EEDaS14_S15_EUlS14_E_NS1_11comp_targetILNS1_3genE9ELNS1_11target_archE1100ELNS1_3gpuE3ELNS1_3repE0EEENS1_30default_config_static_selectorELNS0_4arch9wavefront6targetE0EEEvT1_,"axG",@progbits,_ZN7rocprim17ROCPRIM_400000_NS6detail17trampoline_kernelINS0_14default_configENS1_25partition_config_selectorILNS1_17partition_subalgoE9EllbEEZZNS1_14partition_implILS5_9ELb0ES3_jPKlN6thrust23THRUST_200600_302600_NS17counting_iteratorIlNSB_11use_defaultESD_SD_EEPNS0_10empty_typeENS0_5tupleIJPlSF_EEENSH_IJSI_SG_EEENS0_18inequality_wrapperIN6hipcub16HIPCUB_304000_NS8EqualityEEESI_JSF_EEE10hipError_tPvRmT3_T4_T5_T6_T7_T9_mT8_P12ihipStream_tbDpT10_ENKUlT_T0_E_clISt17integral_constantIbLb1EES19_EEDaS14_S15_EUlS14_E_NS1_11comp_targetILNS1_3genE9ELNS1_11target_archE1100ELNS1_3gpuE3ELNS1_3repE0EEENS1_30default_config_static_selectorELNS0_4arch9wavefront6targetE0EEEvT1_,comdat
	.protected	_ZN7rocprim17ROCPRIM_400000_NS6detail17trampoline_kernelINS0_14default_configENS1_25partition_config_selectorILNS1_17partition_subalgoE9EllbEEZZNS1_14partition_implILS5_9ELb0ES3_jPKlN6thrust23THRUST_200600_302600_NS17counting_iteratorIlNSB_11use_defaultESD_SD_EEPNS0_10empty_typeENS0_5tupleIJPlSF_EEENSH_IJSI_SG_EEENS0_18inequality_wrapperIN6hipcub16HIPCUB_304000_NS8EqualityEEESI_JSF_EEE10hipError_tPvRmT3_T4_T5_T6_T7_T9_mT8_P12ihipStream_tbDpT10_ENKUlT_T0_E_clISt17integral_constantIbLb1EES19_EEDaS14_S15_EUlS14_E_NS1_11comp_targetILNS1_3genE9ELNS1_11target_archE1100ELNS1_3gpuE3ELNS1_3repE0EEENS1_30default_config_static_selectorELNS0_4arch9wavefront6targetE0EEEvT1_ ; -- Begin function _ZN7rocprim17ROCPRIM_400000_NS6detail17trampoline_kernelINS0_14default_configENS1_25partition_config_selectorILNS1_17partition_subalgoE9EllbEEZZNS1_14partition_implILS5_9ELb0ES3_jPKlN6thrust23THRUST_200600_302600_NS17counting_iteratorIlNSB_11use_defaultESD_SD_EEPNS0_10empty_typeENS0_5tupleIJPlSF_EEENSH_IJSI_SG_EEENS0_18inequality_wrapperIN6hipcub16HIPCUB_304000_NS8EqualityEEESI_JSF_EEE10hipError_tPvRmT3_T4_T5_T6_T7_T9_mT8_P12ihipStream_tbDpT10_ENKUlT_T0_E_clISt17integral_constantIbLb1EES19_EEDaS14_S15_EUlS14_E_NS1_11comp_targetILNS1_3genE9ELNS1_11target_archE1100ELNS1_3gpuE3ELNS1_3repE0EEENS1_30default_config_static_selectorELNS0_4arch9wavefront6targetE0EEEvT1_
	.globl	_ZN7rocprim17ROCPRIM_400000_NS6detail17trampoline_kernelINS0_14default_configENS1_25partition_config_selectorILNS1_17partition_subalgoE9EllbEEZZNS1_14partition_implILS5_9ELb0ES3_jPKlN6thrust23THRUST_200600_302600_NS17counting_iteratorIlNSB_11use_defaultESD_SD_EEPNS0_10empty_typeENS0_5tupleIJPlSF_EEENSH_IJSI_SG_EEENS0_18inequality_wrapperIN6hipcub16HIPCUB_304000_NS8EqualityEEESI_JSF_EEE10hipError_tPvRmT3_T4_T5_T6_T7_T9_mT8_P12ihipStream_tbDpT10_ENKUlT_T0_E_clISt17integral_constantIbLb1EES19_EEDaS14_S15_EUlS14_E_NS1_11comp_targetILNS1_3genE9ELNS1_11target_archE1100ELNS1_3gpuE3ELNS1_3repE0EEENS1_30default_config_static_selectorELNS0_4arch9wavefront6targetE0EEEvT1_
	.p2align	8
	.type	_ZN7rocprim17ROCPRIM_400000_NS6detail17trampoline_kernelINS0_14default_configENS1_25partition_config_selectorILNS1_17partition_subalgoE9EllbEEZZNS1_14partition_implILS5_9ELb0ES3_jPKlN6thrust23THRUST_200600_302600_NS17counting_iteratorIlNSB_11use_defaultESD_SD_EEPNS0_10empty_typeENS0_5tupleIJPlSF_EEENSH_IJSI_SG_EEENS0_18inequality_wrapperIN6hipcub16HIPCUB_304000_NS8EqualityEEESI_JSF_EEE10hipError_tPvRmT3_T4_T5_T6_T7_T9_mT8_P12ihipStream_tbDpT10_ENKUlT_T0_E_clISt17integral_constantIbLb1EES19_EEDaS14_S15_EUlS14_E_NS1_11comp_targetILNS1_3genE9ELNS1_11target_archE1100ELNS1_3gpuE3ELNS1_3repE0EEENS1_30default_config_static_selectorELNS0_4arch9wavefront6targetE0EEEvT1_,@function
_ZN7rocprim17ROCPRIM_400000_NS6detail17trampoline_kernelINS0_14default_configENS1_25partition_config_selectorILNS1_17partition_subalgoE9EllbEEZZNS1_14partition_implILS5_9ELb0ES3_jPKlN6thrust23THRUST_200600_302600_NS17counting_iteratorIlNSB_11use_defaultESD_SD_EEPNS0_10empty_typeENS0_5tupleIJPlSF_EEENSH_IJSI_SG_EEENS0_18inequality_wrapperIN6hipcub16HIPCUB_304000_NS8EqualityEEESI_JSF_EEE10hipError_tPvRmT3_T4_T5_T6_T7_T9_mT8_P12ihipStream_tbDpT10_ENKUlT_T0_E_clISt17integral_constantIbLb1EES19_EEDaS14_S15_EUlS14_E_NS1_11comp_targetILNS1_3genE9ELNS1_11target_archE1100ELNS1_3gpuE3ELNS1_3repE0EEENS1_30default_config_static_selectorELNS0_4arch9wavefront6targetE0EEEvT1_: ; @_ZN7rocprim17ROCPRIM_400000_NS6detail17trampoline_kernelINS0_14default_configENS1_25partition_config_selectorILNS1_17partition_subalgoE9EllbEEZZNS1_14partition_implILS5_9ELb0ES3_jPKlN6thrust23THRUST_200600_302600_NS17counting_iteratorIlNSB_11use_defaultESD_SD_EEPNS0_10empty_typeENS0_5tupleIJPlSF_EEENSH_IJSI_SG_EEENS0_18inequality_wrapperIN6hipcub16HIPCUB_304000_NS8EqualityEEESI_JSF_EEE10hipError_tPvRmT3_T4_T5_T6_T7_T9_mT8_P12ihipStream_tbDpT10_ENKUlT_T0_E_clISt17integral_constantIbLb1EES19_EEDaS14_S15_EUlS14_E_NS1_11comp_targetILNS1_3genE9ELNS1_11target_archE1100ELNS1_3gpuE3ELNS1_3repE0EEENS1_30default_config_static_selectorELNS0_4arch9wavefront6targetE0EEEvT1_
; %bb.0:
	.section	.rodata,"a",@progbits
	.p2align	6, 0x0
	.amdhsa_kernel _ZN7rocprim17ROCPRIM_400000_NS6detail17trampoline_kernelINS0_14default_configENS1_25partition_config_selectorILNS1_17partition_subalgoE9EllbEEZZNS1_14partition_implILS5_9ELb0ES3_jPKlN6thrust23THRUST_200600_302600_NS17counting_iteratorIlNSB_11use_defaultESD_SD_EEPNS0_10empty_typeENS0_5tupleIJPlSF_EEENSH_IJSI_SG_EEENS0_18inequality_wrapperIN6hipcub16HIPCUB_304000_NS8EqualityEEESI_JSF_EEE10hipError_tPvRmT3_T4_T5_T6_T7_T9_mT8_P12ihipStream_tbDpT10_ENKUlT_T0_E_clISt17integral_constantIbLb1EES19_EEDaS14_S15_EUlS14_E_NS1_11comp_targetILNS1_3genE9ELNS1_11target_archE1100ELNS1_3gpuE3ELNS1_3repE0EEENS1_30default_config_static_selectorELNS0_4arch9wavefront6targetE0EEEvT1_
		.amdhsa_group_segment_fixed_size 0
		.amdhsa_private_segment_fixed_size 0
		.amdhsa_kernarg_size 128
		.amdhsa_user_sgpr_count 2
		.amdhsa_user_sgpr_dispatch_ptr 0
		.amdhsa_user_sgpr_queue_ptr 0
		.amdhsa_user_sgpr_kernarg_segment_ptr 1
		.amdhsa_user_sgpr_dispatch_id 0
		.amdhsa_user_sgpr_private_segment_size 0
		.amdhsa_wavefront_size32 1
		.amdhsa_uses_dynamic_stack 0
		.amdhsa_enable_private_segment 0
		.amdhsa_system_sgpr_workgroup_id_x 1
		.amdhsa_system_sgpr_workgroup_id_y 0
		.amdhsa_system_sgpr_workgroup_id_z 0
		.amdhsa_system_sgpr_workgroup_info 0
		.amdhsa_system_vgpr_workitem_id 0
		.amdhsa_next_free_vgpr 1
		.amdhsa_next_free_sgpr 1
		.amdhsa_reserve_vcc 0
		.amdhsa_float_round_mode_32 0
		.amdhsa_float_round_mode_16_64 0
		.amdhsa_float_denorm_mode_32 3
		.amdhsa_float_denorm_mode_16_64 3
		.amdhsa_fp16_overflow 0
		.amdhsa_workgroup_processor_mode 1
		.amdhsa_memory_ordered 1
		.amdhsa_forward_progress 1
		.amdhsa_inst_pref_size 0
		.amdhsa_round_robin_scheduling 0
		.amdhsa_exception_fp_ieee_invalid_op 0
		.amdhsa_exception_fp_denorm_src 0
		.amdhsa_exception_fp_ieee_div_zero 0
		.amdhsa_exception_fp_ieee_overflow 0
		.amdhsa_exception_fp_ieee_underflow 0
		.amdhsa_exception_fp_ieee_inexact 0
		.amdhsa_exception_int_div_zero 0
	.end_amdhsa_kernel
	.section	.text._ZN7rocprim17ROCPRIM_400000_NS6detail17trampoline_kernelINS0_14default_configENS1_25partition_config_selectorILNS1_17partition_subalgoE9EllbEEZZNS1_14partition_implILS5_9ELb0ES3_jPKlN6thrust23THRUST_200600_302600_NS17counting_iteratorIlNSB_11use_defaultESD_SD_EEPNS0_10empty_typeENS0_5tupleIJPlSF_EEENSH_IJSI_SG_EEENS0_18inequality_wrapperIN6hipcub16HIPCUB_304000_NS8EqualityEEESI_JSF_EEE10hipError_tPvRmT3_T4_T5_T6_T7_T9_mT8_P12ihipStream_tbDpT10_ENKUlT_T0_E_clISt17integral_constantIbLb1EES19_EEDaS14_S15_EUlS14_E_NS1_11comp_targetILNS1_3genE9ELNS1_11target_archE1100ELNS1_3gpuE3ELNS1_3repE0EEENS1_30default_config_static_selectorELNS0_4arch9wavefront6targetE0EEEvT1_,"axG",@progbits,_ZN7rocprim17ROCPRIM_400000_NS6detail17trampoline_kernelINS0_14default_configENS1_25partition_config_selectorILNS1_17partition_subalgoE9EllbEEZZNS1_14partition_implILS5_9ELb0ES3_jPKlN6thrust23THRUST_200600_302600_NS17counting_iteratorIlNSB_11use_defaultESD_SD_EEPNS0_10empty_typeENS0_5tupleIJPlSF_EEENSH_IJSI_SG_EEENS0_18inequality_wrapperIN6hipcub16HIPCUB_304000_NS8EqualityEEESI_JSF_EEE10hipError_tPvRmT3_T4_T5_T6_T7_T9_mT8_P12ihipStream_tbDpT10_ENKUlT_T0_E_clISt17integral_constantIbLb1EES19_EEDaS14_S15_EUlS14_E_NS1_11comp_targetILNS1_3genE9ELNS1_11target_archE1100ELNS1_3gpuE3ELNS1_3repE0EEENS1_30default_config_static_selectorELNS0_4arch9wavefront6targetE0EEEvT1_,comdat
.Lfunc_end58:
	.size	_ZN7rocprim17ROCPRIM_400000_NS6detail17trampoline_kernelINS0_14default_configENS1_25partition_config_selectorILNS1_17partition_subalgoE9EllbEEZZNS1_14partition_implILS5_9ELb0ES3_jPKlN6thrust23THRUST_200600_302600_NS17counting_iteratorIlNSB_11use_defaultESD_SD_EEPNS0_10empty_typeENS0_5tupleIJPlSF_EEENSH_IJSI_SG_EEENS0_18inequality_wrapperIN6hipcub16HIPCUB_304000_NS8EqualityEEESI_JSF_EEE10hipError_tPvRmT3_T4_T5_T6_T7_T9_mT8_P12ihipStream_tbDpT10_ENKUlT_T0_E_clISt17integral_constantIbLb1EES19_EEDaS14_S15_EUlS14_E_NS1_11comp_targetILNS1_3genE9ELNS1_11target_archE1100ELNS1_3gpuE3ELNS1_3repE0EEENS1_30default_config_static_selectorELNS0_4arch9wavefront6targetE0EEEvT1_, .Lfunc_end58-_ZN7rocprim17ROCPRIM_400000_NS6detail17trampoline_kernelINS0_14default_configENS1_25partition_config_selectorILNS1_17partition_subalgoE9EllbEEZZNS1_14partition_implILS5_9ELb0ES3_jPKlN6thrust23THRUST_200600_302600_NS17counting_iteratorIlNSB_11use_defaultESD_SD_EEPNS0_10empty_typeENS0_5tupleIJPlSF_EEENSH_IJSI_SG_EEENS0_18inequality_wrapperIN6hipcub16HIPCUB_304000_NS8EqualityEEESI_JSF_EEE10hipError_tPvRmT3_T4_T5_T6_T7_T9_mT8_P12ihipStream_tbDpT10_ENKUlT_T0_E_clISt17integral_constantIbLb1EES19_EEDaS14_S15_EUlS14_E_NS1_11comp_targetILNS1_3genE9ELNS1_11target_archE1100ELNS1_3gpuE3ELNS1_3repE0EEENS1_30default_config_static_selectorELNS0_4arch9wavefront6targetE0EEEvT1_
                                        ; -- End function
	.set _ZN7rocprim17ROCPRIM_400000_NS6detail17trampoline_kernelINS0_14default_configENS1_25partition_config_selectorILNS1_17partition_subalgoE9EllbEEZZNS1_14partition_implILS5_9ELb0ES3_jPKlN6thrust23THRUST_200600_302600_NS17counting_iteratorIlNSB_11use_defaultESD_SD_EEPNS0_10empty_typeENS0_5tupleIJPlSF_EEENSH_IJSI_SG_EEENS0_18inequality_wrapperIN6hipcub16HIPCUB_304000_NS8EqualityEEESI_JSF_EEE10hipError_tPvRmT3_T4_T5_T6_T7_T9_mT8_P12ihipStream_tbDpT10_ENKUlT_T0_E_clISt17integral_constantIbLb1EES19_EEDaS14_S15_EUlS14_E_NS1_11comp_targetILNS1_3genE9ELNS1_11target_archE1100ELNS1_3gpuE3ELNS1_3repE0EEENS1_30default_config_static_selectorELNS0_4arch9wavefront6targetE0EEEvT1_.num_vgpr, 0
	.set _ZN7rocprim17ROCPRIM_400000_NS6detail17trampoline_kernelINS0_14default_configENS1_25partition_config_selectorILNS1_17partition_subalgoE9EllbEEZZNS1_14partition_implILS5_9ELb0ES3_jPKlN6thrust23THRUST_200600_302600_NS17counting_iteratorIlNSB_11use_defaultESD_SD_EEPNS0_10empty_typeENS0_5tupleIJPlSF_EEENSH_IJSI_SG_EEENS0_18inequality_wrapperIN6hipcub16HIPCUB_304000_NS8EqualityEEESI_JSF_EEE10hipError_tPvRmT3_T4_T5_T6_T7_T9_mT8_P12ihipStream_tbDpT10_ENKUlT_T0_E_clISt17integral_constantIbLb1EES19_EEDaS14_S15_EUlS14_E_NS1_11comp_targetILNS1_3genE9ELNS1_11target_archE1100ELNS1_3gpuE3ELNS1_3repE0EEENS1_30default_config_static_selectorELNS0_4arch9wavefront6targetE0EEEvT1_.num_agpr, 0
	.set _ZN7rocprim17ROCPRIM_400000_NS6detail17trampoline_kernelINS0_14default_configENS1_25partition_config_selectorILNS1_17partition_subalgoE9EllbEEZZNS1_14partition_implILS5_9ELb0ES3_jPKlN6thrust23THRUST_200600_302600_NS17counting_iteratorIlNSB_11use_defaultESD_SD_EEPNS0_10empty_typeENS0_5tupleIJPlSF_EEENSH_IJSI_SG_EEENS0_18inequality_wrapperIN6hipcub16HIPCUB_304000_NS8EqualityEEESI_JSF_EEE10hipError_tPvRmT3_T4_T5_T6_T7_T9_mT8_P12ihipStream_tbDpT10_ENKUlT_T0_E_clISt17integral_constantIbLb1EES19_EEDaS14_S15_EUlS14_E_NS1_11comp_targetILNS1_3genE9ELNS1_11target_archE1100ELNS1_3gpuE3ELNS1_3repE0EEENS1_30default_config_static_selectorELNS0_4arch9wavefront6targetE0EEEvT1_.numbered_sgpr, 0
	.set _ZN7rocprim17ROCPRIM_400000_NS6detail17trampoline_kernelINS0_14default_configENS1_25partition_config_selectorILNS1_17partition_subalgoE9EllbEEZZNS1_14partition_implILS5_9ELb0ES3_jPKlN6thrust23THRUST_200600_302600_NS17counting_iteratorIlNSB_11use_defaultESD_SD_EEPNS0_10empty_typeENS0_5tupleIJPlSF_EEENSH_IJSI_SG_EEENS0_18inequality_wrapperIN6hipcub16HIPCUB_304000_NS8EqualityEEESI_JSF_EEE10hipError_tPvRmT3_T4_T5_T6_T7_T9_mT8_P12ihipStream_tbDpT10_ENKUlT_T0_E_clISt17integral_constantIbLb1EES19_EEDaS14_S15_EUlS14_E_NS1_11comp_targetILNS1_3genE9ELNS1_11target_archE1100ELNS1_3gpuE3ELNS1_3repE0EEENS1_30default_config_static_selectorELNS0_4arch9wavefront6targetE0EEEvT1_.num_named_barrier, 0
	.set _ZN7rocprim17ROCPRIM_400000_NS6detail17trampoline_kernelINS0_14default_configENS1_25partition_config_selectorILNS1_17partition_subalgoE9EllbEEZZNS1_14partition_implILS5_9ELb0ES3_jPKlN6thrust23THRUST_200600_302600_NS17counting_iteratorIlNSB_11use_defaultESD_SD_EEPNS0_10empty_typeENS0_5tupleIJPlSF_EEENSH_IJSI_SG_EEENS0_18inequality_wrapperIN6hipcub16HIPCUB_304000_NS8EqualityEEESI_JSF_EEE10hipError_tPvRmT3_T4_T5_T6_T7_T9_mT8_P12ihipStream_tbDpT10_ENKUlT_T0_E_clISt17integral_constantIbLb1EES19_EEDaS14_S15_EUlS14_E_NS1_11comp_targetILNS1_3genE9ELNS1_11target_archE1100ELNS1_3gpuE3ELNS1_3repE0EEENS1_30default_config_static_selectorELNS0_4arch9wavefront6targetE0EEEvT1_.private_seg_size, 0
	.set _ZN7rocprim17ROCPRIM_400000_NS6detail17trampoline_kernelINS0_14default_configENS1_25partition_config_selectorILNS1_17partition_subalgoE9EllbEEZZNS1_14partition_implILS5_9ELb0ES3_jPKlN6thrust23THRUST_200600_302600_NS17counting_iteratorIlNSB_11use_defaultESD_SD_EEPNS0_10empty_typeENS0_5tupleIJPlSF_EEENSH_IJSI_SG_EEENS0_18inequality_wrapperIN6hipcub16HIPCUB_304000_NS8EqualityEEESI_JSF_EEE10hipError_tPvRmT3_T4_T5_T6_T7_T9_mT8_P12ihipStream_tbDpT10_ENKUlT_T0_E_clISt17integral_constantIbLb1EES19_EEDaS14_S15_EUlS14_E_NS1_11comp_targetILNS1_3genE9ELNS1_11target_archE1100ELNS1_3gpuE3ELNS1_3repE0EEENS1_30default_config_static_selectorELNS0_4arch9wavefront6targetE0EEEvT1_.uses_vcc, 0
	.set _ZN7rocprim17ROCPRIM_400000_NS6detail17trampoline_kernelINS0_14default_configENS1_25partition_config_selectorILNS1_17partition_subalgoE9EllbEEZZNS1_14partition_implILS5_9ELb0ES3_jPKlN6thrust23THRUST_200600_302600_NS17counting_iteratorIlNSB_11use_defaultESD_SD_EEPNS0_10empty_typeENS0_5tupleIJPlSF_EEENSH_IJSI_SG_EEENS0_18inequality_wrapperIN6hipcub16HIPCUB_304000_NS8EqualityEEESI_JSF_EEE10hipError_tPvRmT3_T4_T5_T6_T7_T9_mT8_P12ihipStream_tbDpT10_ENKUlT_T0_E_clISt17integral_constantIbLb1EES19_EEDaS14_S15_EUlS14_E_NS1_11comp_targetILNS1_3genE9ELNS1_11target_archE1100ELNS1_3gpuE3ELNS1_3repE0EEENS1_30default_config_static_selectorELNS0_4arch9wavefront6targetE0EEEvT1_.uses_flat_scratch, 0
	.set _ZN7rocprim17ROCPRIM_400000_NS6detail17trampoline_kernelINS0_14default_configENS1_25partition_config_selectorILNS1_17partition_subalgoE9EllbEEZZNS1_14partition_implILS5_9ELb0ES3_jPKlN6thrust23THRUST_200600_302600_NS17counting_iteratorIlNSB_11use_defaultESD_SD_EEPNS0_10empty_typeENS0_5tupleIJPlSF_EEENSH_IJSI_SG_EEENS0_18inequality_wrapperIN6hipcub16HIPCUB_304000_NS8EqualityEEESI_JSF_EEE10hipError_tPvRmT3_T4_T5_T6_T7_T9_mT8_P12ihipStream_tbDpT10_ENKUlT_T0_E_clISt17integral_constantIbLb1EES19_EEDaS14_S15_EUlS14_E_NS1_11comp_targetILNS1_3genE9ELNS1_11target_archE1100ELNS1_3gpuE3ELNS1_3repE0EEENS1_30default_config_static_selectorELNS0_4arch9wavefront6targetE0EEEvT1_.has_dyn_sized_stack, 0
	.set _ZN7rocprim17ROCPRIM_400000_NS6detail17trampoline_kernelINS0_14default_configENS1_25partition_config_selectorILNS1_17partition_subalgoE9EllbEEZZNS1_14partition_implILS5_9ELb0ES3_jPKlN6thrust23THRUST_200600_302600_NS17counting_iteratorIlNSB_11use_defaultESD_SD_EEPNS0_10empty_typeENS0_5tupleIJPlSF_EEENSH_IJSI_SG_EEENS0_18inequality_wrapperIN6hipcub16HIPCUB_304000_NS8EqualityEEESI_JSF_EEE10hipError_tPvRmT3_T4_T5_T6_T7_T9_mT8_P12ihipStream_tbDpT10_ENKUlT_T0_E_clISt17integral_constantIbLb1EES19_EEDaS14_S15_EUlS14_E_NS1_11comp_targetILNS1_3genE9ELNS1_11target_archE1100ELNS1_3gpuE3ELNS1_3repE0EEENS1_30default_config_static_selectorELNS0_4arch9wavefront6targetE0EEEvT1_.has_recursion, 0
	.set _ZN7rocprim17ROCPRIM_400000_NS6detail17trampoline_kernelINS0_14default_configENS1_25partition_config_selectorILNS1_17partition_subalgoE9EllbEEZZNS1_14partition_implILS5_9ELb0ES3_jPKlN6thrust23THRUST_200600_302600_NS17counting_iteratorIlNSB_11use_defaultESD_SD_EEPNS0_10empty_typeENS0_5tupleIJPlSF_EEENSH_IJSI_SG_EEENS0_18inequality_wrapperIN6hipcub16HIPCUB_304000_NS8EqualityEEESI_JSF_EEE10hipError_tPvRmT3_T4_T5_T6_T7_T9_mT8_P12ihipStream_tbDpT10_ENKUlT_T0_E_clISt17integral_constantIbLb1EES19_EEDaS14_S15_EUlS14_E_NS1_11comp_targetILNS1_3genE9ELNS1_11target_archE1100ELNS1_3gpuE3ELNS1_3repE0EEENS1_30default_config_static_selectorELNS0_4arch9wavefront6targetE0EEEvT1_.has_indirect_call, 0
	.section	.AMDGPU.csdata,"",@progbits
; Kernel info:
; codeLenInByte = 0
; TotalNumSgprs: 0
; NumVgprs: 0
; ScratchSize: 0
; MemoryBound: 0
; FloatMode: 240
; IeeeMode: 1
; LDSByteSize: 0 bytes/workgroup (compile time only)
; SGPRBlocks: 0
; VGPRBlocks: 0
; NumSGPRsForWavesPerEU: 1
; NumVGPRsForWavesPerEU: 1
; Occupancy: 16
; WaveLimiterHint : 0
; COMPUTE_PGM_RSRC2:SCRATCH_EN: 0
; COMPUTE_PGM_RSRC2:USER_SGPR: 2
; COMPUTE_PGM_RSRC2:TRAP_HANDLER: 0
; COMPUTE_PGM_RSRC2:TGID_X_EN: 1
; COMPUTE_PGM_RSRC2:TGID_Y_EN: 0
; COMPUTE_PGM_RSRC2:TGID_Z_EN: 0
; COMPUTE_PGM_RSRC2:TIDIG_COMP_CNT: 0
	.section	.text._ZN7rocprim17ROCPRIM_400000_NS6detail17trampoline_kernelINS0_14default_configENS1_25partition_config_selectorILNS1_17partition_subalgoE9EllbEEZZNS1_14partition_implILS5_9ELb0ES3_jPKlN6thrust23THRUST_200600_302600_NS17counting_iteratorIlNSB_11use_defaultESD_SD_EEPNS0_10empty_typeENS0_5tupleIJPlSF_EEENSH_IJSI_SG_EEENS0_18inequality_wrapperIN6hipcub16HIPCUB_304000_NS8EqualityEEESI_JSF_EEE10hipError_tPvRmT3_T4_T5_T6_T7_T9_mT8_P12ihipStream_tbDpT10_ENKUlT_T0_E_clISt17integral_constantIbLb1EES19_EEDaS14_S15_EUlS14_E_NS1_11comp_targetILNS1_3genE8ELNS1_11target_archE1030ELNS1_3gpuE2ELNS1_3repE0EEENS1_30default_config_static_selectorELNS0_4arch9wavefront6targetE0EEEvT1_,"axG",@progbits,_ZN7rocprim17ROCPRIM_400000_NS6detail17trampoline_kernelINS0_14default_configENS1_25partition_config_selectorILNS1_17partition_subalgoE9EllbEEZZNS1_14partition_implILS5_9ELb0ES3_jPKlN6thrust23THRUST_200600_302600_NS17counting_iteratorIlNSB_11use_defaultESD_SD_EEPNS0_10empty_typeENS0_5tupleIJPlSF_EEENSH_IJSI_SG_EEENS0_18inequality_wrapperIN6hipcub16HIPCUB_304000_NS8EqualityEEESI_JSF_EEE10hipError_tPvRmT3_T4_T5_T6_T7_T9_mT8_P12ihipStream_tbDpT10_ENKUlT_T0_E_clISt17integral_constantIbLb1EES19_EEDaS14_S15_EUlS14_E_NS1_11comp_targetILNS1_3genE8ELNS1_11target_archE1030ELNS1_3gpuE2ELNS1_3repE0EEENS1_30default_config_static_selectorELNS0_4arch9wavefront6targetE0EEEvT1_,comdat
	.protected	_ZN7rocprim17ROCPRIM_400000_NS6detail17trampoline_kernelINS0_14default_configENS1_25partition_config_selectorILNS1_17partition_subalgoE9EllbEEZZNS1_14partition_implILS5_9ELb0ES3_jPKlN6thrust23THRUST_200600_302600_NS17counting_iteratorIlNSB_11use_defaultESD_SD_EEPNS0_10empty_typeENS0_5tupleIJPlSF_EEENSH_IJSI_SG_EEENS0_18inequality_wrapperIN6hipcub16HIPCUB_304000_NS8EqualityEEESI_JSF_EEE10hipError_tPvRmT3_T4_T5_T6_T7_T9_mT8_P12ihipStream_tbDpT10_ENKUlT_T0_E_clISt17integral_constantIbLb1EES19_EEDaS14_S15_EUlS14_E_NS1_11comp_targetILNS1_3genE8ELNS1_11target_archE1030ELNS1_3gpuE2ELNS1_3repE0EEENS1_30default_config_static_selectorELNS0_4arch9wavefront6targetE0EEEvT1_ ; -- Begin function _ZN7rocprim17ROCPRIM_400000_NS6detail17trampoline_kernelINS0_14default_configENS1_25partition_config_selectorILNS1_17partition_subalgoE9EllbEEZZNS1_14partition_implILS5_9ELb0ES3_jPKlN6thrust23THRUST_200600_302600_NS17counting_iteratorIlNSB_11use_defaultESD_SD_EEPNS0_10empty_typeENS0_5tupleIJPlSF_EEENSH_IJSI_SG_EEENS0_18inequality_wrapperIN6hipcub16HIPCUB_304000_NS8EqualityEEESI_JSF_EEE10hipError_tPvRmT3_T4_T5_T6_T7_T9_mT8_P12ihipStream_tbDpT10_ENKUlT_T0_E_clISt17integral_constantIbLb1EES19_EEDaS14_S15_EUlS14_E_NS1_11comp_targetILNS1_3genE8ELNS1_11target_archE1030ELNS1_3gpuE2ELNS1_3repE0EEENS1_30default_config_static_selectorELNS0_4arch9wavefront6targetE0EEEvT1_
	.globl	_ZN7rocprim17ROCPRIM_400000_NS6detail17trampoline_kernelINS0_14default_configENS1_25partition_config_selectorILNS1_17partition_subalgoE9EllbEEZZNS1_14partition_implILS5_9ELb0ES3_jPKlN6thrust23THRUST_200600_302600_NS17counting_iteratorIlNSB_11use_defaultESD_SD_EEPNS0_10empty_typeENS0_5tupleIJPlSF_EEENSH_IJSI_SG_EEENS0_18inequality_wrapperIN6hipcub16HIPCUB_304000_NS8EqualityEEESI_JSF_EEE10hipError_tPvRmT3_T4_T5_T6_T7_T9_mT8_P12ihipStream_tbDpT10_ENKUlT_T0_E_clISt17integral_constantIbLb1EES19_EEDaS14_S15_EUlS14_E_NS1_11comp_targetILNS1_3genE8ELNS1_11target_archE1030ELNS1_3gpuE2ELNS1_3repE0EEENS1_30default_config_static_selectorELNS0_4arch9wavefront6targetE0EEEvT1_
	.p2align	8
	.type	_ZN7rocprim17ROCPRIM_400000_NS6detail17trampoline_kernelINS0_14default_configENS1_25partition_config_selectorILNS1_17partition_subalgoE9EllbEEZZNS1_14partition_implILS5_9ELb0ES3_jPKlN6thrust23THRUST_200600_302600_NS17counting_iteratorIlNSB_11use_defaultESD_SD_EEPNS0_10empty_typeENS0_5tupleIJPlSF_EEENSH_IJSI_SG_EEENS0_18inequality_wrapperIN6hipcub16HIPCUB_304000_NS8EqualityEEESI_JSF_EEE10hipError_tPvRmT3_T4_T5_T6_T7_T9_mT8_P12ihipStream_tbDpT10_ENKUlT_T0_E_clISt17integral_constantIbLb1EES19_EEDaS14_S15_EUlS14_E_NS1_11comp_targetILNS1_3genE8ELNS1_11target_archE1030ELNS1_3gpuE2ELNS1_3repE0EEENS1_30default_config_static_selectorELNS0_4arch9wavefront6targetE0EEEvT1_,@function
_ZN7rocprim17ROCPRIM_400000_NS6detail17trampoline_kernelINS0_14default_configENS1_25partition_config_selectorILNS1_17partition_subalgoE9EllbEEZZNS1_14partition_implILS5_9ELb0ES3_jPKlN6thrust23THRUST_200600_302600_NS17counting_iteratorIlNSB_11use_defaultESD_SD_EEPNS0_10empty_typeENS0_5tupleIJPlSF_EEENSH_IJSI_SG_EEENS0_18inequality_wrapperIN6hipcub16HIPCUB_304000_NS8EqualityEEESI_JSF_EEE10hipError_tPvRmT3_T4_T5_T6_T7_T9_mT8_P12ihipStream_tbDpT10_ENKUlT_T0_E_clISt17integral_constantIbLb1EES19_EEDaS14_S15_EUlS14_E_NS1_11comp_targetILNS1_3genE8ELNS1_11target_archE1030ELNS1_3gpuE2ELNS1_3repE0EEENS1_30default_config_static_selectorELNS0_4arch9wavefront6targetE0EEEvT1_: ; @_ZN7rocprim17ROCPRIM_400000_NS6detail17trampoline_kernelINS0_14default_configENS1_25partition_config_selectorILNS1_17partition_subalgoE9EllbEEZZNS1_14partition_implILS5_9ELb0ES3_jPKlN6thrust23THRUST_200600_302600_NS17counting_iteratorIlNSB_11use_defaultESD_SD_EEPNS0_10empty_typeENS0_5tupleIJPlSF_EEENSH_IJSI_SG_EEENS0_18inequality_wrapperIN6hipcub16HIPCUB_304000_NS8EqualityEEESI_JSF_EEE10hipError_tPvRmT3_T4_T5_T6_T7_T9_mT8_P12ihipStream_tbDpT10_ENKUlT_T0_E_clISt17integral_constantIbLb1EES19_EEDaS14_S15_EUlS14_E_NS1_11comp_targetILNS1_3genE8ELNS1_11target_archE1030ELNS1_3gpuE2ELNS1_3repE0EEENS1_30default_config_static_selectorELNS0_4arch9wavefront6targetE0EEEvT1_
; %bb.0:
	.section	.rodata,"a",@progbits
	.p2align	6, 0x0
	.amdhsa_kernel _ZN7rocprim17ROCPRIM_400000_NS6detail17trampoline_kernelINS0_14default_configENS1_25partition_config_selectorILNS1_17partition_subalgoE9EllbEEZZNS1_14partition_implILS5_9ELb0ES3_jPKlN6thrust23THRUST_200600_302600_NS17counting_iteratorIlNSB_11use_defaultESD_SD_EEPNS0_10empty_typeENS0_5tupleIJPlSF_EEENSH_IJSI_SG_EEENS0_18inequality_wrapperIN6hipcub16HIPCUB_304000_NS8EqualityEEESI_JSF_EEE10hipError_tPvRmT3_T4_T5_T6_T7_T9_mT8_P12ihipStream_tbDpT10_ENKUlT_T0_E_clISt17integral_constantIbLb1EES19_EEDaS14_S15_EUlS14_E_NS1_11comp_targetILNS1_3genE8ELNS1_11target_archE1030ELNS1_3gpuE2ELNS1_3repE0EEENS1_30default_config_static_selectorELNS0_4arch9wavefront6targetE0EEEvT1_
		.amdhsa_group_segment_fixed_size 0
		.amdhsa_private_segment_fixed_size 0
		.amdhsa_kernarg_size 128
		.amdhsa_user_sgpr_count 2
		.amdhsa_user_sgpr_dispatch_ptr 0
		.amdhsa_user_sgpr_queue_ptr 0
		.amdhsa_user_sgpr_kernarg_segment_ptr 1
		.amdhsa_user_sgpr_dispatch_id 0
		.amdhsa_user_sgpr_private_segment_size 0
		.amdhsa_wavefront_size32 1
		.amdhsa_uses_dynamic_stack 0
		.amdhsa_enable_private_segment 0
		.amdhsa_system_sgpr_workgroup_id_x 1
		.amdhsa_system_sgpr_workgroup_id_y 0
		.amdhsa_system_sgpr_workgroup_id_z 0
		.amdhsa_system_sgpr_workgroup_info 0
		.amdhsa_system_vgpr_workitem_id 0
		.amdhsa_next_free_vgpr 1
		.amdhsa_next_free_sgpr 1
		.amdhsa_reserve_vcc 0
		.amdhsa_float_round_mode_32 0
		.amdhsa_float_round_mode_16_64 0
		.amdhsa_float_denorm_mode_32 3
		.amdhsa_float_denorm_mode_16_64 3
		.amdhsa_fp16_overflow 0
		.amdhsa_workgroup_processor_mode 1
		.amdhsa_memory_ordered 1
		.amdhsa_forward_progress 1
		.amdhsa_inst_pref_size 0
		.amdhsa_round_robin_scheduling 0
		.amdhsa_exception_fp_ieee_invalid_op 0
		.amdhsa_exception_fp_denorm_src 0
		.amdhsa_exception_fp_ieee_div_zero 0
		.amdhsa_exception_fp_ieee_overflow 0
		.amdhsa_exception_fp_ieee_underflow 0
		.amdhsa_exception_fp_ieee_inexact 0
		.amdhsa_exception_int_div_zero 0
	.end_amdhsa_kernel
	.section	.text._ZN7rocprim17ROCPRIM_400000_NS6detail17trampoline_kernelINS0_14default_configENS1_25partition_config_selectorILNS1_17partition_subalgoE9EllbEEZZNS1_14partition_implILS5_9ELb0ES3_jPKlN6thrust23THRUST_200600_302600_NS17counting_iteratorIlNSB_11use_defaultESD_SD_EEPNS0_10empty_typeENS0_5tupleIJPlSF_EEENSH_IJSI_SG_EEENS0_18inequality_wrapperIN6hipcub16HIPCUB_304000_NS8EqualityEEESI_JSF_EEE10hipError_tPvRmT3_T4_T5_T6_T7_T9_mT8_P12ihipStream_tbDpT10_ENKUlT_T0_E_clISt17integral_constantIbLb1EES19_EEDaS14_S15_EUlS14_E_NS1_11comp_targetILNS1_3genE8ELNS1_11target_archE1030ELNS1_3gpuE2ELNS1_3repE0EEENS1_30default_config_static_selectorELNS0_4arch9wavefront6targetE0EEEvT1_,"axG",@progbits,_ZN7rocprim17ROCPRIM_400000_NS6detail17trampoline_kernelINS0_14default_configENS1_25partition_config_selectorILNS1_17partition_subalgoE9EllbEEZZNS1_14partition_implILS5_9ELb0ES3_jPKlN6thrust23THRUST_200600_302600_NS17counting_iteratorIlNSB_11use_defaultESD_SD_EEPNS0_10empty_typeENS0_5tupleIJPlSF_EEENSH_IJSI_SG_EEENS0_18inequality_wrapperIN6hipcub16HIPCUB_304000_NS8EqualityEEESI_JSF_EEE10hipError_tPvRmT3_T4_T5_T6_T7_T9_mT8_P12ihipStream_tbDpT10_ENKUlT_T0_E_clISt17integral_constantIbLb1EES19_EEDaS14_S15_EUlS14_E_NS1_11comp_targetILNS1_3genE8ELNS1_11target_archE1030ELNS1_3gpuE2ELNS1_3repE0EEENS1_30default_config_static_selectorELNS0_4arch9wavefront6targetE0EEEvT1_,comdat
.Lfunc_end59:
	.size	_ZN7rocprim17ROCPRIM_400000_NS6detail17trampoline_kernelINS0_14default_configENS1_25partition_config_selectorILNS1_17partition_subalgoE9EllbEEZZNS1_14partition_implILS5_9ELb0ES3_jPKlN6thrust23THRUST_200600_302600_NS17counting_iteratorIlNSB_11use_defaultESD_SD_EEPNS0_10empty_typeENS0_5tupleIJPlSF_EEENSH_IJSI_SG_EEENS0_18inequality_wrapperIN6hipcub16HIPCUB_304000_NS8EqualityEEESI_JSF_EEE10hipError_tPvRmT3_T4_T5_T6_T7_T9_mT8_P12ihipStream_tbDpT10_ENKUlT_T0_E_clISt17integral_constantIbLb1EES19_EEDaS14_S15_EUlS14_E_NS1_11comp_targetILNS1_3genE8ELNS1_11target_archE1030ELNS1_3gpuE2ELNS1_3repE0EEENS1_30default_config_static_selectorELNS0_4arch9wavefront6targetE0EEEvT1_, .Lfunc_end59-_ZN7rocprim17ROCPRIM_400000_NS6detail17trampoline_kernelINS0_14default_configENS1_25partition_config_selectorILNS1_17partition_subalgoE9EllbEEZZNS1_14partition_implILS5_9ELb0ES3_jPKlN6thrust23THRUST_200600_302600_NS17counting_iteratorIlNSB_11use_defaultESD_SD_EEPNS0_10empty_typeENS0_5tupleIJPlSF_EEENSH_IJSI_SG_EEENS0_18inequality_wrapperIN6hipcub16HIPCUB_304000_NS8EqualityEEESI_JSF_EEE10hipError_tPvRmT3_T4_T5_T6_T7_T9_mT8_P12ihipStream_tbDpT10_ENKUlT_T0_E_clISt17integral_constantIbLb1EES19_EEDaS14_S15_EUlS14_E_NS1_11comp_targetILNS1_3genE8ELNS1_11target_archE1030ELNS1_3gpuE2ELNS1_3repE0EEENS1_30default_config_static_selectorELNS0_4arch9wavefront6targetE0EEEvT1_
                                        ; -- End function
	.set _ZN7rocprim17ROCPRIM_400000_NS6detail17trampoline_kernelINS0_14default_configENS1_25partition_config_selectorILNS1_17partition_subalgoE9EllbEEZZNS1_14partition_implILS5_9ELb0ES3_jPKlN6thrust23THRUST_200600_302600_NS17counting_iteratorIlNSB_11use_defaultESD_SD_EEPNS0_10empty_typeENS0_5tupleIJPlSF_EEENSH_IJSI_SG_EEENS0_18inequality_wrapperIN6hipcub16HIPCUB_304000_NS8EqualityEEESI_JSF_EEE10hipError_tPvRmT3_T4_T5_T6_T7_T9_mT8_P12ihipStream_tbDpT10_ENKUlT_T0_E_clISt17integral_constantIbLb1EES19_EEDaS14_S15_EUlS14_E_NS1_11comp_targetILNS1_3genE8ELNS1_11target_archE1030ELNS1_3gpuE2ELNS1_3repE0EEENS1_30default_config_static_selectorELNS0_4arch9wavefront6targetE0EEEvT1_.num_vgpr, 0
	.set _ZN7rocprim17ROCPRIM_400000_NS6detail17trampoline_kernelINS0_14default_configENS1_25partition_config_selectorILNS1_17partition_subalgoE9EllbEEZZNS1_14partition_implILS5_9ELb0ES3_jPKlN6thrust23THRUST_200600_302600_NS17counting_iteratorIlNSB_11use_defaultESD_SD_EEPNS0_10empty_typeENS0_5tupleIJPlSF_EEENSH_IJSI_SG_EEENS0_18inequality_wrapperIN6hipcub16HIPCUB_304000_NS8EqualityEEESI_JSF_EEE10hipError_tPvRmT3_T4_T5_T6_T7_T9_mT8_P12ihipStream_tbDpT10_ENKUlT_T0_E_clISt17integral_constantIbLb1EES19_EEDaS14_S15_EUlS14_E_NS1_11comp_targetILNS1_3genE8ELNS1_11target_archE1030ELNS1_3gpuE2ELNS1_3repE0EEENS1_30default_config_static_selectorELNS0_4arch9wavefront6targetE0EEEvT1_.num_agpr, 0
	.set _ZN7rocprim17ROCPRIM_400000_NS6detail17trampoline_kernelINS0_14default_configENS1_25partition_config_selectorILNS1_17partition_subalgoE9EllbEEZZNS1_14partition_implILS5_9ELb0ES3_jPKlN6thrust23THRUST_200600_302600_NS17counting_iteratorIlNSB_11use_defaultESD_SD_EEPNS0_10empty_typeENS0_5tupleIJPlSF_EEENSH_IJSI_SG_EEENS0_18inequality_wrapperIN6hipcub16HIPCUB_304000_NS8EqualityEEESI_JSF_EEE10hipError_tPvRmT3_T4_T5_T6_T7_T9_mT8_P12ihipStream_tbDpT10_ENKUlT_T0_E_clISt17integral_constantIbLb1EES19_EEDaS14_S15_EUlS14_E_NS1_11comp_targetILNS1_3genE8ELNS1_11target_archE1030ELNS1_3gpuE2ELNS1_3repE0EEENS1_30default_config_static_selectorELNS0_4arch9wavefront6targetE0EEEvT1_.numbered_sgpr, 0
	.set _ZN7rocprim17ROCPRIM_400000_NS6detail17trampoline_kernelINS0_14default_configENS1_25partition_config_selectorILNS1_17partition_subalgoE9EllbEEZZNS1_14partition_implILS5_9ELb0ES3_jPKlN6thrust23THRUST_200600_302600_NS17counting_iteratorIlNSB_11use_defaultESD_SD_EEPNS0_10empty_typeENS0_5tupleIJPlSF_EEENSH_IJSI_SG_EEENS0_18inequality_wrapperIN6hipcub16HIPCUB_304000_NS8EqualityEEESI_JSF_EEE10hipError_tPvRmT3_T4_T5_T6_T7_T9_mT8_P12ihipStream_tbDpT10_ENKUlT_T0_E_clISt17integral_constantIbLb1EES19_EEDaS14_S15_EUlS14_E_NS1_11comp_targetILNS1_3genE8ELNS1_11target_archE1030ELNS1_3gpuE2ELNS1_3repE0EEENS1_30default_config_static_selectorELNS0_4arch9wavefront6targetE0EEEvT1_.num_named_barrier, 0
	.set _ZN7rocprim17ROCPRIM_400000_NS6detail17trampoline_kernelINS0_14default_configENS1_25partition_config_selectorILNS1_17partition_subalgoE9EllbEEZZNS1_14partition_implILS5_9ELb0ES3_jPKlN6thrust23THRUST_200600_302600_NS17counting_iteratorIlNSB_11use_defaultESD_SD_EEPNS0_10empty_typeENS0_5tupleIJPlSF_EEENSH_IJSI_SG_EEENS0_18inequality_wrapperIN6hipcub16HIPCUB_304000_NS8EqualityEEESI_JSF_EEE10hipError_tPvRmT3_T4_T5_T6_T7_T9_mT8_P12ihipStream_tbDpT10_ENKUlT_T0_E_clISt17integral_constantIbLb1EES19_EEDaS14_S15_EUlS14_E_NS1_11comp_targetILNS1_3genE8ELNS1_11target_archE1030ELNS1_3gpuE2ELNS1_3repE0EEENS1_30default_config_static_selectorELNS0_4arch9wavefront6targetE0EEEvT1_.private_seg_size, 0
	.set _ZN7rocprim17ROCPRIM_400000_NS6detail17trampoline_kernelINS0_14default_configENS1_25partition_config_selectorILNS1_17partition_subalgoE9EllbEEZZNS1_14partition_implILS5_9ELb0ES3_jPKlN6thrust23THRUST_200600_302600_NS17counting_iteratorIlNSB_11use_defaultESD_SD_EEPNS0_10empty_typeENS0_5tupleIJPlSF_EEENSH_IJSI_SG_EEENS0_18inequality_wrapperIN6hipcub16HIPCUB_304000_NS8EqualityEEESI_JSF_EEE10hipError_tPvRmT3_T4_T5_T6_T7_T9_mT8_P12ihipStream_tbDpT10_ENKUlT_T0_E_clISt17integral_constantIbLb1EES19_EEDaS14_S15_EUlS14_E_NS1_11comp_targetILNS1_3genE8ELNS1_11target_archE1030ELNS1_3gpuE2ELNS1_3repE0EEENS1_30default_config_static_selectorELNS0_4arch9wavefront6targetE0EEEvT1_.uses_vcc, 0
	.set _ZN7rocprim17ROCPRIM_400000_NS6detail17trampoline_kernelINS0_14default_configENS1_25partition_config_selectorILNS1_17partition_subalgoE9EllbEEZZNS1_14partition_implILS5_9ELb0ES3_jPKlN6thrust23THRUST_200600_302600_NS17counting_iteratorIlNSB_11use_defaultESD_SD_EEPNS0_10empty_typeENS0_5tupleIJPlSF_EEENSH_IJSI_SG_EEENS0_18inequality_wrapperIN6hipcub16HIPCUB_304000_NS8EqualityEEESI_JSF_EEE10hipError_tPvRmT3_T4_T5_T6_T7_T9_mT8_P12ihipStream_tbDpT10_ENKUlT_T0_E_clISt17integral_constantIbLb1EES19_EEDaS14_S15_EUlS14_E_NS1_11comp_targetILNS1_3genE8ELNS1_11target_archE1030ELNS1_3gpuE2ELNS1_3repE0EEENS1_30default_config_static_selectorELNS0_4arch9wavefront6targetE0EEEvT1_.uses_flat_scratch, 0
	.set _ZN7rocprim17ROCPRIM_400000_NS6detail17trampoline_kernelINS0_14default_configENS1_25partition_config_selectorILNS1_17partition_subalgoE9EllbEEZZNS1_14partition_implILS5_9ELb0ES3_jPKlN6thrust23THRUST_200600_302600_NS17counting_iteratorIlNSB_11use_defaultESD_SD_EEPNS0_10empty_typeENS0_5tupleIJPlSF_EEENSH_IJSI_SG_EEENS0_18inequality_wrapperIN6hipcub16HIPCUB_304000_NS8EqualityEEESI_JSF_EEE10hipError_tPvRmT3_T4_T5_T6_T7_T9_mT8_P12ihipStream_tbDpT10_ENKUlT_T0_E_clISt17integral_constantIbLb1EES19_EEDaS14_S15_EUlS14_E_NS1_11comp_targetILNS1_3genE8ELNS1_11target_archE1030ELNS1_3gpuE2ELNS1_3repE0EEENS1_30default_config_static_selectorELNS0_4arch9wavefront6targetE0EEEvT1_.has_dyn_sized_stack, 0
	.set _ZN7rocprim17ROCPRIM_400000_NS6detail17trampoline_kernelINS0_14default_configENS1_25partition_config_selectorILNS1_17partition_subalgoE9EllbEEZZNS1_14partition_implILS5_9ELb0ES3_jPKlN6thrust23THRUST_200600_302600_NS17counting_iteratorIlNSB_11use_defaultESD_SD_EEPNS0_10empty_typeENS0_5tupleIJPlSF_EEENSH_IJSI_SG_EEENS0_18inequality_wrapperIN6hipcub16HIPCUB_304000_NS8EqualityEEESI_JSF_EEE10hipError_tPvRmT3_T4_T5_T6_T7_T9_mT8_P12ihipStream_tbDpT10_ENKUlT_T0_E_clISt17integral_constantIbLb1EES19_EEDaS14_S15_EUlS14_E_NS1_11comp_targetILNS1_3genE8ELNS1_11target_archE1030ELNS1_3gpuE2ELNS1_3repE0EEENS1_30default_config_static_selectorELNS0_4arch9wavefront6targetE0EEEvT1_.has_recursion, 0
	.set _ZN7rocprim17ROCPRIM_400000_NS6detail17trampoline_kernelINS0_14default_configENS1_25partition_config_selectorILNS1_17partition_subalgoE9EllbEEZZNS1_14partition_implILS5_9ELb0ES3_jPKlN6thrust23THRUST_200600_302600_NS17counting_iteratorIlNSB_11use_defaultESD_SD_EEPNS0_10empty_typeENS0_5tupleIJPlSF_EEENSH_IJSI_SG_EEENS0_18inequality_wrapperIN6hipcub16HIPCUB_304000_NS8EqualityEEESI_JSF_EEE10hipError_tPvRmT3_T4_T5_T6_T7_T9_mT8_P12ihipStream_tbDpT10_ENKUlT_T0_E_clISt17integral_constantIbLb1EES19_EEDaS14_S15_EUlS14_E_NS1_11comp_targetILNS1_3genE8ELNS1_11target_archE1030ELNS1_3gpuE2ELNS1_3repE0EEENS1_30default_config_static_selectorELNS0_4arch9wavefront6targetE0EEEvT1_.has_indirect_call, 0
	.section	.AMDGPU.csdata,"",@progbits
; Kernel info:
; codeLenInByte = 0
; TotalNumSgprs: 0
; NumVgprs: 0
; ScratchSize: 0
; MemoryBound: 0
; FloatMode: 240
; IeeeMode: 1
; LDSByteSize: 0 bytes/workgroup (compile time only)
; SGPRBlocks: 0
; VGPRBlocks: 0
; NumSGPRsForWavesPerEU: 1
; NumVGPRsForWavesPerEU: 1
; Occupancy: 16
; WaveLimiterHint : 0
; COMPUTE_PGM_RSRC2:SCRATCH_EN: 0
; COMPUTE_PGM_RSRC2:USER_SGPR: 2
; COMPUTE_PGM_RSRC2:TRAP_HANDLER: 0
; COMPUTE_PGM_RSRC2:TGID_X_EN: 1
; COMPUTE_PGM_RSRC2:TGID_Y_EN: 0
; COMPUTE_PGM_RSRC2:TGID_Z_EN: 0
; COMPUTE_PGM_RSRC2:TIDIG_COMP_CNT: 0
	.section	.text._ZN7rocprim17ROCPRIM_400000_NS6detail17trampoline_kernelINS0_14default_configENS1_25partition_config_selectorILNS1_17partition_subalgoE9EllbEEZZNS1_14partition_implILS5_9ELb0ES3_jPKlN6thrust23THRUST_200600_302600_NS17counting_iteratorIlNSB_11use_defaultESD_SD_EEPNS0_10empty_typeENS0_5tupleIJPlSF_EEENSH_IJSI_SG_EEENS0_18inequality_wrapperIN6hipcub16HIPCUB_304000_NS8EqualityEEESI_JSF_EEE10hipError_tPvRmT3_T4_T5_T6_T7_T9_mT8_P12ihipStream_tbDpT10_ENKUlT_T0_E_clISt17integral_constantIbLb1EES18_IbLb0EEEEDaS14_S15_EUlS14_E_NS1_11comp_targetILNS1_3genE0ELNS1_11target_archE4294967295ELNS1_3gpuE0ELNS1_3repE0EEENS1_30default_config_static_selectorELNS0_4arch9wavefront6targetE0EEEvT1_,"axG",@progbits,_ZN7rocprim17ROCPRIM_400000_NS6detail17trampoline_kernelINS0_14default_configENS1_25partition_config_selectorILNS1_17partition_subalgoE9EllbEEZZNS1_14partition_implILS5_9ELb0ES3_jPKlN6thrust23THRUST_200600_302600_NS17counting_iteratorIlNSB_11use_defaultESD_SD_EEPNS0_10empty_typeENS0_5tupleIJPlSF_EEENSH_IJSI_SG_EEENS0_18inequality_wrapperIN6hipcub16HIPCUB_304000_NS8EqualityEEESI_JSF_EEE10hipError_tPvRmT3_T4_T5_T6_T7_T9_mT8_P12ihipStream_tbDpT10_ENKUlT_T0_E_clISt17integral_constantIbLb1EES18_IbLb0EEEEDaS14_S15_EUlS14_E_NS1_11comp_targetILNS1_3genE0ELNS1_11target_archE4294967295ELNS1_3gpuE0ELNS1_3repE0EEENS1_30default_config_static_selectorELNS0_4arch9wavefront6targetE0EEEvT1_,comdat
	.protected	_ZN7rocprim17ROCPRIM_400000_NS6detail17trampoline_kernelINS0_14default_configENS1_25partition_config_selectorILNS1_17partition_subalgoE9EllbEEZZNS1_14partition_implILS5_9ELb0ES3_jPKlN6thrust23THRUST_200600_302600_NS17counting_iteratorIlNSB_11use_defaultESD_SD_EEPNS0_10empty_typeENS0_5tupleIJPlSF_EEENSH_IJSI_SG_EEENS0_18inequality_wrapperIN6hipcub16HIPCUB_304000_NS8EqualityEEESI_JSF_EEE10hipError_tPvRmT3_T4_T5_T6_T7_T9_mT8_P12ihipStream_tbDpT10_ENKUlT_T0_E_clISt17integral_constantIbLb1EES18_IbLb0EEEEDaS14_S15_EUlS14_E_NS1_11comp_targetILNS1_3genE0ELNS1_11target_archE4294967295ELNS1_3gpuE0ELNS1_3repE0EEENS1_30default_config_static_selectorELNS0_4arch9wavefront6targetE0EEEvT1_ ; -- Begin function _ZN7rocprim17ROCPRIM_400000_NS6detail17trampoline_kernelINS0_14default_configENS1_25partition_config_selectorILNS1_17partition_subalgoE9EllbEEZZNS1_14partition_implILS5_9ELb0ES3_jPKlN6thrust23THRUST_200600_302600_NS17counting_iteratorIlNSB_11use_defaultESD_SD_EEPNS0_10empty_typeENS0_5tupleIJPlSF_EEENSH_IJSI_SG_EEENS0_18inequality_wrapperIN6hipcub16HIPCUB_304000_NS8EqualityEEESI_JSF_EEE10hipError_tPvRmT3_T4_T5_T6_T7_T9_mT8_P12ihipStream_tbDpT10_ENKUlT_T0_E_clISt17integral_constantIbLb1EES18_IbLb0EEEEDaS14_S15_EUlS14_E_NS1_11comp_targetILNS1_3genE0ELNS1_11target_archE4294967295ELNS1_3gpuE0ELNS1_3repE0EEENS1_30default_config_static_selectorELNS0_4arch9wavefront6targetE0EEEvT1_
	.globl	_ZN7rocprim17ROCPRIM_400000_NS6detail17trampoline_kernelINS0_14default_configENS1_25partition_config_selectorILNS1_17partition_subalgoE9EllbEEZZNS1_14partition_implILS5_9ELb0ES3_jPKlN6thrust23THRUST_200600_302600_NS17counting_iteratorIlNSB_11use_defaultESD_SD_EEPNS0_10empty_typeENS0_5tupleIJPlSF_EEENSH_IJSI_SG_EEENS0_18inequality_wrapperIN6hipcub16HIPCUB_304000_NS8EqualityEEESI_JSF_EEE10hipError_tPvRmT3_T4_T5_T6_T7_T9_mT8_P12ihipStream_tbDpT10_ENKUlT_T0_E_clISt17integral_constantIbLb1EES18_IbLb0EEEEDaS14_S15_EUlS14_E_NS1_11comp_targetILNS1_3genE0ELNS1_11target_archE4294967295ELNS1_3gpuE0ELNS1_3repE0EEENS1_30default_config_static_selectorELNS0_4arch9wavefront6targetE0EEEvT1_
	.p2align	8
	.type	_ZN7rocprim17ROCPRIM_400000_NS6detail17trampoline_kernelINS0_14default_configENS1_25partition_config_selectorILNS1_17partition_subalgoE9EllbEEZZNS1_14partition_implILS5_9ELb0ES3_jPKlN6thrust23THRUST_200600_302600_NS17counting_iteratorIlNSB_11use_defaultESD_SD_EEPNS0_10empty_typeENS0_5tupleIJPlSF_EEENSH_IJSI_SG_EEENS0_18inequality_wrapperIN6hipcub16HIPCUB_304000_NS8EqualityEEESI_JSF_EEE10hipError_tPvRmT3_T4_T5_T6_T7_T9_mT8_P12ihipStream_tbDpT10_ENKUlT_T0_E_clISt17integral_constantIbLb1EES18_IbLb0EEEEDaS14_S15_EUlS14_E_NS1_11comp_targetILNS1_3genE0ELNS1_11target_archE4294967295ELNS1_3gpuE0ELNS1_3repE0EEENS1_30default_config_static_selectorELNS0_4arch9wavefront6targetE0EEEvT1_,@function
_ZN7rocprim17ROCPRIM_400000_NS6detail17trampoline_kernelINS0_14default_configENS1_25partition_config_selectorILNS1_17partition_subalgoE9EllbEEZZNS1_14partition_implILS5_9ELb0ES3_jPKlN6thrust23THRUST_200600_302600_NS17counting_iteratorIlNSB_11use_defaultESD_SD_EEPNS0_10empty_typeENS0_5tupleIJPlSF_EEENSH_IJSI_SG_EEENS0_18inequality_wrapperIN6hipcub16HIPCUB_304000_NS8EqualityEEESI_JSF_EEE10hipError_tPvRmT3_T4_T5_T6_T7_T9_mT8_P12ihipStream_tbDpT10_ENKUlT_T0_E_clISt17integral_constantIbLb1EES18_IbLb0EEEEDaS14_S15_EUlS14_E_NS1_11comp_targetILNS1_3genE0ELNS1_11target_archE4294967295ELNS1_3gpuE0ELNS1_3repE0EEENS1_30default_config_static_selectorELNS0_4arch9wavefront6targetE0EEEvT1_: ; @_ZN7rocprim17ROCPRIM_400000_NS6detail17trampoline_kernelINS0_14default_configENS1_25partition_config_selectorILNS1_17partition_subalgoE9EllbEEZZNS1_14partition_implILS5_9ELb0ES3_jPKlN6thrust23THRUST_200600_302600_NS17counting_iteratorIlNSB_11use_defaultESD_SD_EEPNS0_10empty_typeENS0_5tupleIJPlSF_EEENSH_IJSI_SG_EEENS0_18inequality_wrapperIN6hipcub16HIPCUB_304000_NS8EqualityEEESI_JSF_EEE10hipError_tPvRmT3_T4_T5_T6_T7_T9_mT8_P12ihipStream_tbDpT10_ENKUlT_T0_E_clISt17integral_constantIbLb1EES18_IbLb0EEEEDaS14_S15_EUlS14_E_NS1_11comp_targetILNS1_3genE0ELNS1_11target_archE4294967295ELNS1_3gpuE0ELNS1_3repE0EEENS1_30default_config_static_selectorELNS0_4arch9wavefront6targetE0EEEvT1_
; %bb.0:
	.section	.rodata,"a",@progbits
	.p2align	6, 0x0
	.amdhsa_kernel _ZN7rocprim17ROCPRIM_400000_NS6detail17trampoline_kernelINS0_14default_configENS1_25partition_config_selectorILNS1_17partition_subalgoE9EllbEEZZNS1_14partition_implILS5_9ELb0ES3_jPKlN6thrust23THRUST_200600_302600_NS17counting_iteratorIlNSB_11use_defaultESD_SD_EEPNS0_10empty_typeENS0_5tupleIJPlSF_EEENSH_IJSI_SG_EEENS0_18inequality_wrapperIN6hipcub16HIPCUB_304000_NS8EqualityEEESI_JSF_EEE10hipError_tPvRmT3_T4_T5_T6_T7_T9_mT8_P12ihipStream_tbDpT10_ENKUlT_T0_E_clISt17integral_constantIbLb1EES18_IbLb0EEEEDaS14_S15_EUlS14_E_NS1_11comp_targetILNS1_3genE0ELNS1_11target_archE4294967295ELNS1_3gpuE0ELNS1_3repE0EEENS1_30default_config_static_selectorELNS0_4arch9wavefront6targetE0EEEvT1_
		.amdhsa_group_segment_fixed_size 0
		.amdhsa_private_segment_fixed_size 0
		.amdhsa_kernarg_size 112
		.amdhsa_user_sgpr_count 2
		.amdhsa_user_sgpr_dispatch_ptr 0
		.amdhsa_user_sgpr_queue_ptr 0
		.amdhsa_user_sgpr_kernarg_segment_ptr 1
		.amdhsa_user_sgpr_dispatch_id 0
		.amdhsa_user_sgpr_private_segment_size 0
		.amdhsa_wavefront_size32 1
		.amdhsa_uses_dynamic_stack 0
		.amdhsa_enable_private_segment 0
		.amdhsa_system_sgpr_workgroup_id_x 1
		.amdhsa_system_sgpr_workgroup_id_y 0
		.amdhsa_system_sgpr_workgroup_id_z 0
		.amdhsa_system_sgpr_workgroup_info 0
		.amdhsa_system_vgpr_workitem_id 0
		.amdhsa_next_free_vgpr 1
		.amdhsa_next_free_sgpr 1
		.amdhsa_reserve_vcc 0
		.amdhsa_float_round_mode_32 0
		.amdhsa_float_round_mode_16_64 0
		.amdhsa_float_denorm_mode_32 3
		.amdhsa_float_denorm_mode_16_64 3
		.amdhsa_fp16_overflow 0
		.amdhsa_workgroup_processor_mode 1
		.amdhsa_memory_ordered 1
		.amdhsa_forward_progress 1
		.amdhsa_inst_pref_size 0
		.amdhsa_round_robin_scheduling 0
		.amdhsa_exception_fp_ieee_invalid_op 0
		.amdhsa_exception_fp_denorm_src 0
		.amdhsa_exception_fp_ieee_div_zero 0
		.amdhsa_exception_fp_ieee_overflow 0
		.amdhsa_exception_fp_ieee_underflow 0
		.amdhsa_exception_fp_ieee_inexact 0
		.amdhsa_exception_int_div_zero 0
	.end_amdhsa_kernel
	.section	.text._ZN7rocprim17ROCPRIM_400000_NS6detail17trampoline_kernelINS0_14default_configENS1_25partition_config_selectorILNS1_17partition_subalgoE9EllbEEZZNS1_14partition_implILS5_9ELb0ES3_jPKlN6thrust23THRUST_200600_302600_NS17counting_iteratorIlNSB_11use_defaultESD_SD_EEPNS0_10empty_typeENS0_5tupleIJPlSF_EEENSH_IJSI_SG_EEENS0_18inequality_wrapperIN6hipcub16HIPCUB_304000_NS8EqualityEEESI_JSF_EEE10hipError_tPvRmT3_T4_T5_T6_T7_T9_mT8_P12ihipStream_tbDpT10_ENKUlT_T0_E_clISt17integral_constantIbLb1EES18_IbLb0EEEEDaS14_S15_EUlS14_E_NS1_11comp_targetILNS1_3genE0ELNS1_11target_archE4294967295ELNS1_3gpuE0ELNS1_3repE0EEENS1_30default_config_static_selectorELNS0_4arch9wavefront6targetE0EEEvT1_,"axG",@progbits,_ZN7rocprim17ROCPRIM_400000_NS6detail17trampoline_kernelINS0_14default_configENS1_25partition_config_selectorILNS1_17partition_subalgoE9EllbEEZZNS1_14partition_implILS5_9ELb0ES3_jPKlN6thrust23THRUST_200600_302600_NS17counting_iteratorIlNSB_11use_defaultESD_SD_EEPNS0_10empty_typeENS0_5tupleIJPlSF_EEENSH_IJSI_SG_EEENS0_18inequality_wrapperIN6hipcub16HIPCUB_304000_NS8EqualityEEESI_JSF_EEE10hipError_tPvRmT3_T4_T5_T6_T7_T9_mT8_P12ihipStream_tbDpT10_ENKUlT_T0_E_clISt17integral_constantIbLb1EES18_IbLb0EEEEDaS14_S15_EUlS14_E_NS1_11comp_targetILNS1_3genE0ELNS1_11target_archE4294967295ELNS1_3gpuE0ELNS1_3repE0EEENS1_30default_config_static_selectorELNS0_4arch9wavefront6targetE0EEEvT1_,comdat
.Lfunc_end60:
	.size	_ZN7rocprim17ROCPRIM_400000_NS6detail17trampoline_kernelINS0_14default_configENS1_25partition_config_selectorILNS1_17partition_subalgoE9EllbEEZZNS1_14partition_implILS5_9ELb0ES3_jPKlN6thrust23THRUST_200600_302600_NS17counting_iteratorIlNSB_11use_defaultESD_SD_EEPNS0_10empty_typeENS0_5tupleIJPlSF_EEENSH_IJSI_SG_EEENS0_18inequality_wrapperIN6hipcub16HIPCUB_304000_NS8EqualityEEESI_JSF_EEE10hipError_tPvRmT3_T4_T5_T6_T7_T9_mT8_P12ihipStream_tbDpT10_ENKUlT_T0_E_clISt17integral_constantIbLb1EES18_IbLb0EEEEDaS14_S15_EUlS14_E_NS1_11comp_targetILNS1_3genE0ELNS1_11target_archE4294967295ELNS1_3gpuE0ELNS1_3repE0EEENS1_30default_config_static_selectorELNS0_4arch9wavefront6targetE0EEEvT1_, .Lfunc_end60-_ZN7rocprim17ROCPRIM_400000_NS6detail17trampoline_kernelINS0_14default_configENS1_25partition_config_selectorILNS1_17partition_subalgoE9EllbEEZZNS1_14partition_implILS5_9ELb0ES3_jPKlN6thrust23THRUST_200600_302600_NS17counting_iteratorIlNSB_11use_defaultESD_SD_EEPNS0_10empty_typeENS0_5tupleIJPlSF_EEENSH_IJSI_SG_EEENS0_18inequality_wrapperIN6hipcub16HIPCUB_304000_NS8EqualityEEESI_JSF_EEE10hipError_tPvRmT3_T4_T5_T6_T7_T9_mT8_P12ihipStream_tbDpT10_ENKUlT_T0_E_clISt17integral_constantIbLb1EES18_IbLb0EEEEDaS14_S15_EUlS14_E_NS1_11comp_targetILNS1_3genE0ELNS1_11target_archE4294967295ELNS1_3gpuE0ELNS1_3repE0EEENS1_30default_config_static_selectorELNS0_4arch9wavefront6targetE0EEEvT1_
                                        ; -- End function
	.set _ZN7rocprim17ROCPRIM_400000_NS6detail17trampoline_kernelINS0_14default_configENS1_25partition_config_selectorILNS1_17partition_subalgoE9EllbEEZZNS1_14partition_implILS5_9ELb0ES3_jPKlN6thrust23THRUST_200600_302600_NS17counting_iteratorIlNSB_11use_defaultESD_SD_EEPNS0_10empty_typeENS0_5tupleIJPlSF_EEENSH_IJSI_SG_EEENS0_18inequality_wrapperIN6hipcub16HIPCUB_304000_NS8EqualityEEESI_JSF_EEE10hipError_tPvRmT3_T4_T5_T6_T7_T9_mT8_P12ihipStream_tbDpT10_ENKUlT_T0_E_clISt17integral_constantIbLb1EES18_IbLb0EEEEDaS14_S15_EUlS14_E_NS1_11comp_targetILNS1_3genE0ELNS1_11target_archE4294967295ELNS1_3gpuE0ELNS1_3repE0EEENS1_30default_config_static_selectorELNS0_4arch9wavefront6targetE0EEEvT1_.num_vgpr, 0
	.set _ZN7rocprim17ROCPRIM_400000_NS6detail17trampoline_kernelINS0_14default_configENS1_25partition_config_selectorILNS1_17partition_subalgoE9EllbEEZZNS1_14partition_implILS5_9ELb0ES3_jPKlN6thrust23THRUST_200600_302600_NS17counting_iteratorIlNSB_11use_defaultESD_SD_EEPNS0_10empty_typeENS0_5tupleIJPlSF_EEENSH_IJSI_SG_EEENS0_18inequality_wrapperIN6hipcub16HIPCUB_304000_NS8EqualityEEESI_JSF_EEE10hipError_tPvRmT3_T4_T5_T6_T7_T9_mT8_P12ihipStream_tbDpT10_ENKUlT_T0_E_clISt17integral_constantIbLb1EES18_IbLb0EEEEDaS14_S15_EUlS14_E_NS1_11comp_targetILNS1_3genE0ELNS1_11target_archE4294967295ELNS1_3gpuE0ELNS1_3repE0EEENS1_30default_config_static_selectorELNS0_4arch9wavefront6targetE0EEEvT1_.num_agpr, 0
	.set _ZN7rocprim17ROCPRIM_400000_NS6detail17trampoline_kernelINS0_14default_configENS1_25partition_config_selectorILNS1_17partition_subalgoE9EllbEEZZNS1_14partition_implILS5_9ELb0ES3_jPKlN6thrust23THRUST_200600_302600_NS17counting_iteratorIlNSB_11use_defaultESD_SD_EEPNS0_10empty_typeENS0_5tupleIJPlSF_EEENSH_IJSI_SG_EEENS0_18inequality_wrapperIN6hipcub16HIPCUB_304000_NS8EqualityEEESI_JSF_EEE10hipError_tPvRmT3_T4_T5_T6_T7_T9_mT8_P12ihipStream_tbDpT10_ENKUlT_T0_E_clISt17integral_constantIbLb1EES18_IbLb0EEEEDaS14_S15_EUlS14_E_NS1_11comp_targetILNS1_3genE0ELNS1_11target_archE4294967295ELNS1_3gpuE0ELNS1_3repE0EEENS1_30default_config_static_selectorELNS0_4arch9wavefront6targetE0EEEvT1_.numbered_sgpr, 0
	.set _ZN7rocprim17ROCPRIM_400000_NS6detail17trampoline_kernelINS0_14default_configENS1_25partition_config_selectorILNS1_17partition_subalgoE9EllbEEZZNS1_14partition_implILS5_9ELb0ES3_jPKlN6thrust23THRUST_200600_302600_NS17counting_iteratorIlNSB_11use_defaultESD_SD_EEPNS0_10empty_typeENS0_5tupleIJPlSF_EEENSH_IJSI_SG_EEENS0_18inequality_wrapperIN6hipcub16HIPCUB_304000_NS8EqualityEEESI_JSF_EEE10hipError_tPvRmT3_T4_T5_T6_T7_T9_mT8_P12ihipStream_tbDpT10_ENKUlT_T0_E_clISt17integral_constantIbLb1EES18_IbLb0EEEEDaS14_S15_EUlS14_E_NS1_11comp_targetILNS1_3genE0ELNS1_11target_archE4294967295ELNS1_3gpuE0ELNS1_3repE0EEENS1_30default_config_static_selectorELNS0_4arch9wavefront6targetE0EEEvT1_.num_named_barrier, 0
	.set _ZN7rocprim17ROCPRIM_400000_NS6detail17trampoline_kernelINS0_14default_configENS1_25partition_config_selectorILNS1_17partition_subalgoE9EllbEEZZNS1_14partition_implILS5_9ELb0ES3_jPKlN6thrust23THRUST_200600_302600_NS17counting_iteratorIlNSB_11use_defaultESD_SD_EEPNS0_10empty_typeENS0_5tupleIJPlSF_EEENSH_IJSI_SG_EEENS0_18inequality_wrapperIN6hipcub16HIPCUB_304000_NS8EqualityEEESI_JSF_EEE10hipError_tPvRmT3_T4_T5_T6_T7_T9_mT8_P12ihipStream_tbDpT10_ENKUlT_T0_E_clISt17integral_constantIbLb1EES18_IbLb0EEEEDaS14_S15_EUlS14_E_NS1_11comp_targetILNS1_3genE0ELNS1_11target_archE4294967295ELNS1_3gpuE0ELNS1_3repE0EEENS1_30default_config_static_selectorELNS0_4arch9wavefront6targetE0EEEvT1_.private_seg_size, 0
	.set _ZN7rocprim17ROCPRIM_400000_NS6detail17trampoline_kernelINS0_14default_configENS1_25partition_config_selectorILNS1_17partition_subalgoE9EllbEEZZNS1_14partition_implILS5_9ELb0ES3_jPKlN6thrust23THRUST_200600_302600_NS17counting_iteratorIlNSB_11use_defaultESD_SD_EEPNS0_10empty_typeENS0_5tupleIJPlSF_EEENSH_IJSI_SG_EEENS0_18inequality_wrapperIN6hipcub16HIPCUB_304000_NS8EqualityEEESI_JSF_EEE10hipError_tPvRmT3_T4_T5_T6_T7_T9_mT8_P12ihipStream_tbDpT10_ENKUlT_T0_E_clISt17integral_constantIbLb1EES18_IbLb0EEEEDaS14_S15_EUlS14_E_NS1_11comp_targetILNS1_3genE0ELNS1_11target_archE4294967295ELNS1_3gpuE0ELNS1_3repE0EEENS1_30default_config_static_selectorELNS0_4arch9wavefront6targetE0EEEvT1_.uses_vcc, 0
	.set _ZN7rocprim17ROCPRIM_400000_NS6detail17trampoline_kernelINS0_14default_configENS1_25partition_config_selectorILNS1_17partition_subalgoE9EllbEEZZNS1_14partition_implILS5_9ELb0ES3_jPKlN6thrust23THRUST_200600_302600_NS17counting_iteratorIlNSB_11use_defaultESD_SD_EEPNS0_10empty_typeENS0_5tupleIJPlSF_EEENSH_IJSI_SG_EEENS0_18inequality_wrapperIN6hipcub16HIPCUB_304000_NS8EqualityEEESI_JSF_EEE10hipError_tPvRmT3_T4_T5_T6_T7_T9_mT8_P12ihipStream_tbDpT10_ENKUlT_T0_E_clISt17integral_constantIbLb1EES18_IbLb0EEEEDaS14_S15_EUlS14_E_NS1_11comp_targetILNS1_3genE0ELNS1_11target_archE4294967295ELNS1_3gpuE0ELNS1_3repE0EEENS1_30default_config_static_selectorELNS0_4arch9wavefront6targetE0EEEvT1_.uses_flat_scratch, 0
	.set _ZN7rocprim17ROCPRIM_400000_NS6detail17trampoline_kernelINS0_14default_configENS1_25partition_config_selectorILNS1_17partition_subalgoE9EllbEEZZNS1_14partition_implILS5_9ELb0ES3_jPKlN6thrust23THRUST_200600_302600_NS17counting_iteratorIlNSB_11use_defaultESD_SD_EEPNS0_10empty_typeENS0_5tupleIJPlSF_EEENSH_IJSI_SG_EEENS0_18inequality_wrapperIN6hipcub16HIPCUB_304000_NS8EqualityEEESI_JSF_EEE10hipError_tPvRmT3_T4_T5_T6_T7_T9_mT8_P12ihipStream_tbDpT10_ENKUlT_T0_E_clISt17integral_constantIbLb1EES18_IbLb0EEEEDaS14_S15_EUlS14_E_NS1_11comp_targetILNS1_3genE0ELNS1_11target_archE4294967295ELNS1_3gpuE0ELNS1_3repE0EEENS1_30default_config_static_selectorELNS0_4arch9wavefront6targetE0EEEvT1_.has_dyn_sized_stack, 0
	.set _ZN7rocprim17ROCPRIM_400000_NS6detail17trampoline_kernelINS0_14default_configENS1_25partition_config_selectorILNS1_17partition_subalgoE9EllbEEZZNS1_14partition_implILS5_9ELb0ES3_jPKlN6thrust23THRUST_200600_302600_NS17counting_iteratorIlNSB_11use_defaultESD_SD_EEPNS0_10empty_typeENS0_5tupleIJPlSF_EEENSH_IJSI_SG_EEENS0_18inequality_wrapperIN6hipcub16HIPCUB_304000_NS8EqualityEEESI_JSF_EEE10hipError_tPvRmT3_T4_T5_T6_T7_T9_mT8_P12ihipStream_tbDpT10_ENKUlT_T0_E_clISt17integral_constantIbLb1EES18_IbLb0EEEEDaS14_S15_EUlS14_E_NS1_11comp_targetILNS1_3genE0ELNS1_11target_archE4294967295ELNS1_3gpuE0ELNS1_3repE0EEENS1_30default_config_static_selectorELNS0_4arch9wavefront6targetE0EEEvT1_.has_recursion, 0
	.set _ZN7rocprim17ROCPRIM_400000_NS6detail17trampoline_kernelINS0_14default_configENS1_25partition_config_selectorILNS1_17partition_subalgoE9EllbEEZZNS1_14partition_implILS5_9ELb0ES3_jPKlN6thrust23THRUST_200600_302600_NS17counting_iteratorIlNSB_11use_defaultESD_SD_EEPNS0_10empty_typeENS0_5tupleIJPlSF_EEENSH_IJSI_SG_EEENS0_18inequality_wrapperIN6hipcub16HIPCUB_304000_NS8EqualityEEESI_JSF_EEE10hipError_tPvRmT3_T4_T5_T6_T7_T9_mT8_P12ihipStream_tbDpT10_ENKUlT_T0_E_clISt17integral_constantIbLb1EES18_IbLb0EEEEDaS14_S15_EUlS14_E_NS1_11comp_targetILNS1_3genE0ELNS1_11target_archE4294967295ELNS1_3gpuE0ELNS1_3repE0EEENS1_30default_config_static_selectorELNS0_4arch9wavefront6targetE0EEEvT1_.has_indirect_call, 0
	.section	.AMDGPU.csdata,"",@progbits
; Kernel info:
; codeLenInByte = 0
; TotalNumSgprs: 0
; NumVgprs: 0
; ScratchSize: 0
; MemoryBound: 0
; FloatMode: 240
; IeeeMode: 1
; LDSByteSize: 0 bytes/workgroup (compile time only)
; SGPRBlocks: 0
; VGPRBlocks: 0
; NumSGPRsForWavesPerEU: 1
; NumVGPRsForWavesPerEU: 1
; Occupancy: 16
; WaveLimiterHint : 0
; COMPUTE_PGM_RSRC2:SCRATCH_EN: 0
; COMPUTE_PGM_RSRC2:USER_SGPR: 2
; COMPUTE_PGM_RSRC2:TRAP_HANDLER: 0
; COMPUTE_PGM_RSRC2:TGID_X_EN: 1
; COMPUTE_PGM_RSRC2:TGID_Y_EN: 0
; COMPUTE_PGM_RSRC2:TGID_Z_EN: 0
; COMPUTE_PGM_RSRC2:TIDIG_COMP_CNT: 0
	.section	.text._ZN7rocprim17ROCPRIM_400000_NS6detail17trampoline_kernelINS0_14default_configENS1_25partition_config_selectorILNS1_17partition_subalgoE9EllbEEZZNS1_14partition_implILS5_9ELb0ES3_jPKlN6thrust23THRUST_200600_302600_NS17counting_iteratorIlNSB_11use_defaultESD_SD_EEPNS0_10empty_typeENS0_5tupleIJPlSF_EEENSH_IJSI_SG_EEENS0_18inequality_wrapperIN6hipcub16HIPCUB_304000_NS8EqualityEEESI_JSF_EEE10hipError_tPvRmT3_T4_T5_T6_T7_T9_mT8_P12ihipStream_tbDpT10_ENKUlT_T0_E_clISt17integral_constantIbLb1EES18_IbLb0EEEEDaS14_S15_EUlS14_E_NS1_11comp_targetILNS1_3genE5ELNS1_11target_archE942ELNS1_3gpuE9ELNS1_3repE0EEENS1_30default_config_static_selectorELNS0_4arch9wavefront6targetE0EEEvT1_,"axG",@progbits,_ZN7rocprim17ROCPRIM_400000_NS6detail17trampoline_kernelINS0_14default_configENS1_25partition_config_selectorILNS1_17partition_subalgoE9EllbEEZZNS1_14partition_implILS5_9ELb0ES3_jPKlN6thrust23THRUST_200600_302600_NS17counting_iteratorIlNSB_11use_defaultESD_SD_EEPNS0_10empty_typeENS0_5tupleIJPlSF_EEENSH_IJSI_SG_EEENS0_18inequality_wrapperIN6hipcub16HIPCUB_304000_NS8EqualityEEESI_JSF_EEE10hipError_tPvRmT3_T4_T5_T6_T7_T9_mT8_P12ihipStream_tbDpT10_ENKUlT_T0_E_clISt17integral_constantIbLb1EES18_IbLb0EEEEDaS14_S15_EUlS14_E_NS1_11comp_targetILNS1_3genE5ELNS1_11target_archE942ELNS1_3gpuE9ELNS1_3repE0EEENS1_30default_config_static_selectorELNS0_4arch9wavefront6targetE0EEEvT1_,comdat
	.protected	_ZN7rocprim17ROCPRIM_400000_NS6detail17trampoline_kernelINS0_14default_configENS1_25partition_config_selectorILNS1_17partition_subalgoE9EllbEEZZNS1_14partition_implILS5_9ELb0ES3_jPKlN6thrust23THRUST_200600_302600_NS17counting_iteratorIlNSB_11use_defaultESD_SD_EEPNS0_10empty_typeENS0_5tupleIJPlSF_EEENSH_IJSI_SG_EEENS0_18inequality_wrapperIN6hipcub16HIPCUB_304000_NS8EqualityEEESI_JSF_EEE10hipError_tPvRmT3_T4_T5_T6_T7_T9_mT8_P12ihipStream_tbDpT10_ENKUlT_T0_E_clISt17integral_constantIbLb1EES18_IbLb0EEEEDaS14_S15_EUlS14_E_NS1_11comp_targetILNS1_3genE5ELNS1_11target_archE942ELNS1_3gpuE9ELNS1_3repE0EEENS1_30default_config_static_selectorELNS0_4arch9wavefront6targetE0EEEvT1_ ; -- Begin function _ZN7rocprim17ROCPRIM_400000_NS6detail17trampoline_kernelINS0_14default_configENS1_25partition_config_selectorILNS1_17partition_subalgoE9EllbEEZZNS1_14partition_implILS5_9ELb0ES3_jPKlN6thrust23THRUST_200600_302600_NS17counting_iteratorIlNSB_11use_defaultESD_SD_EEPNS0_10empty_typeENS0_5tupleIJPlSF_EEENSH_IJSI_SG_EEENS0_18inequality_wrapperIN6hipcub16HIPCUB_304000_NS8EqualityEEESI_JSF_EEE10hipError_tPvRmT3_T4_T5_T6_T7_T9_mT8_P12ihipStream_tbDpT10_ENKUlT_T0_E_clISt17integral_constantIbLb1EES18_IbLb0EEEEDaS14_S15_EUlS14_E_NS1_11comp_targetILNS1_3genE5ELNS1_11target_archE942ELNS1_3gpuE9ELNS1_3repE0EEENS1_30default_config_static_selectorELNS0_4arch9wavefront6targetE0EEEvT1_
	.globl	_ZN7rocprim17ROCPRIM_400000_NS6detail17trampoline_kernelINS0_14default_configENS1_25partition_config_selectorILNS1_17partition_subalgoE9EllbEEZZNS1_14partition_implILS5_9ELb0ES3_jPKlN6thrust23THRUST_200600_302600_NS17counting_iteratorIlNSB_11use_defaultESD_SD_EEPNS0_10empty_typeENS0_5tupleIJPlSF_EEENSH_IJSI_SG_EEENS0_18inequality_wrapperIN6hipcub16HIPCUB_304000_NS8EqualityEEESI_JSF_EEE10hipError_tPvRmT3_T4_T5_T6_T7_T9_mT8_P12ihipStream_tbDpT10_ENKUlT_T0_E_clISt17integral_constantIbLb1EES18_IbLb0EEEEDaS14_S15_EUlS14_E_NS1_11comp_targetILNS1_3genE5ELNS1_11target_archE942ELNS1_3gpuE9ELNS1_3repE0EEENS1_30default_config_static_selectorELNS0_4arch9wavefront6targetE0EEEvT1_
	.p2align	8
	.type	_ZN7rocprim17ROCPRIM_400000_NS6detail17trampoline_kernelINS0_14default_configENS1_25partition_config_selectorILNS1_17partition_subalgoE9EllbEEZZNS1_14partition_implILS5_9ELb0ES3_jPKlN6thrust23THRUST_200600_302600_NS17counting_iteratorIlNSB_11use_defaultESD_SD_EEPNS0_10empty_typeENS0_5tupleIJPlSF_EEENSH_IJSI_SG_EEENS0_18inequality_wrapperIN6hipcub16HIPCUB_304000_NS8EqualityEEESI_JSF_EEE10hipError_tPvRmT3_T4_T5_T6_T7_T9_mT8_P12ihipStream_tbDpT10_ENKUlT_T0_E_clISt17integral_constantIbLb1EES18_IbLb0EEEEDaS14_S15_EUlS14_E_NS1_11comp_targetILNS1_3genE5ELNS1_11target_archE942ELNS1_3gpuE9ELNS1_3repE0EEENS1_30default_config_static_selectorELNS0_4arch9wavefront6targetE0EEEvT1_,@function
_ZN7rocprim17ROCPRIM_400000_NS6detail17trampoline_kernelINS0_14default_configENS1_25partition_config_selectorILNS1_17partition_subalgoE9EllbEEZZNS1_14partition_implILS5_9ELb0ES3_jPKlN6thrust23THRUST_200600_302600_NS17counting_iteratorIlNSB_11use_defaultESD_SD_EEPNS0_10empty_typeENS0_5tupleIJPlSF_EEENSH_IJSI_SG_EEENS0_18inequality_wrapperIN6hipcub16HIPCUB_304000_NS8EqualityEEESI_JSF_EEE10hipError_tPvRmT3_T4_T5_T6_T7_T9_mT8_P12ihipStream_tbDpT10_ENKUlT_T0_E_clISt17integral_constantIbLb1EES18_IbLb0EEEEDaS14_S15_EUlS14_E_NS1_11comp_targetILNS1_3genE5ELNS1_11target_archE942ELNS1_3gpuE9ELNS1_3repE0EEENS1_30default_config_static_selectorELNS0_4arch9wavefront6targetE0EEEvT1_: ; @_ZN7rocprim17ROCPRIM_400000_NS6detail17trampoline_kernelINS0_14default_configENS1_25partition_config_selectorILNS1_17partition_subalgoE9EllbEEZZNS1_14partition_implILS5_9ELb0ES3_jPKlN6thrust23THRUST_200600_302600_NS17counting_iteratorIlNSB_11use_defaultESD_SD_EEPNS0_10empty_typeENS0_5tupleIJPlSF_EEENSH_IJSI_SG_EEENS0_18inequality_wrapperIN6hipcub16HIPCUB_304000_NS8EqualityEEESI_JSF_EEE10hipError_tPvRmT3_T4_T5_T6_T7_T9_mT8_P12ihipStream_tbDpT10_ENKUlT_T0_E_clISt17integral_constantIbLb1EES18_IbLb0EEEEDaS14_S15_EUlS14_E_NS1_11comp_targetILNS1_3genE5ELNS1_11target_archE942ELNS1_3gpuE9ELNS1_3repE0EEENS1_30default_config_static_selectorELNS0_4arch9wavefront6targetE0EEEvT1_
; %bb.0:
	.section	.rodata,"a",@progbits
	.p2align	6, 0x0
	.amdhsa_kernel _ZN7rocprim17ROCPRIM_400000_NS6detail17trampoline_kernelINS0_14default_configENS1_25partition_config_selectorILNS1_17partition_subalgoE9EllbEEZZNS1_14partition_implILS5_9ELb0ES3_jPKlN6thrust23THRUST_200600_302600_NS17counting_iteratorIlNSB_11use_defaultESD_SD_EEPNS0_10empty_typeENS0_5tupleIJPlSF_EEENSH_IJSI_SG_EEENS0_18inequality_wrapperIN6hipcub16HIPCUB_304000_NS8EqualityEEESI_JSF_EEE10hipError_tPvRmT3_T4_T5_T6_T7_T9_mT8_P12ihipStream_tbDpT10_ENKUlT_T0_E_clISt17integral_constantIbLb1EES18_IbLb0EEEEDaS14_S15_EUlS14_E_NS1_11comp_targetILNS1_3genE5ELNS1_11target_archE942ELNS1_3gpuE9ELNS1_3repE0EEENS1_30default_config_static_selectorELNS0_4arch9wavefront6targetE0EEEvT1_
		.amdhsa_group_segment_fixed_size 0
		.amdhsa_private_segment_fixed_size 0
		.amdhsa_kernarg_size 112
		.amdhsa_user_sgpr_count 2
		.amdhsa_user_sgpr_dispatch_ptr 0
		.amdhsa_user_sgpr_queue_ptr 0
		.amdhsa_user_sgpr_kernarg_segment_ptr 1
		.amdhsa_user_sgpr_dispatch_id 0
		.amdhsa_user_sgpr_private_segment_size 0
		.amdhsa_wavefront_size32 1
		.amdhsa_uses_dynamic_stack 0
		.amdhsa_enable_private_segment 0
		.amdhsa_system_sgpr_workgroup_id_x 1
		.amdhsa_system_sgpr_workgroup_id_y 0
		.amdhsa_system_sgpr_workgroup_id_z 0
		.amdhsa_system_sgpr_workgroup_info 0
		.amdhsa_system_vgpr_workitem_id 0
		.amdhsa_next_free_vgpr 1
		.amdhsa_next_free_sgpr 1
		.amdhsa_reserve_vcc 0
		.amdhsa_float_round_mode_32 0
		.amdhsa_float_round_mode_16_64 0
		.amdhsa_float_denorm_mode_32 3
		.amdhsa_float_denorm_mode_16_64 3
		.amdhsa_fp16_overflow 0
		.amdhsa_workgroup_processor_mode 1
		.amdhsa_memory_ordered 1
		.amdhsa_forward_progress 1
		.amdhsa_inst_pref_size 0
		.amdhsa_round_robin_scheduling 0
		.amdhsa_exception_fp_ieee_invalid_op 0
		.amdhsa_exception_fp_denorm_src 0
		.amdhsa_exception_fp_ieee_div_zero 0
		.amdhsa_exception_fp_ieee_overflow 0
		.amdhsa_exception_fp_ieee_underflow 0
		.amdhsa_exception_fp_ieee_inexact 0
		.amdhsa_exception_int_div_zero 0
	.end_amdhsa_kernel
	.section	.text._ZN7rocprim17ROCPRIM_400000_NS6detail17trampoline_kernelINS0_14default_configENS1_25partition_config_selectorILNS1_17partition_subalgoE9EllbEEZZNS1_14partition_implILS5_9ELb0ES3_jPKlN6thrust23THRUST_200600_302600_NS17counting_iteratorIlNSB_11use_defaultESD_SD_EEPNS0_10empty_typeENS0_5tupleIJPlSF_EEENSH_IJSI_SG_EEENS0_18inequality_wrapperIN6hipcub16HIPCUB_304000_NS8EqualityEEESI_JSF_EEE10hipError_tPvRmT3_T4_T5_T6_T7_T9_mT8_P12ihipStream_tbDpT10_ENKUlT_T0_E_clISt17integral_constantIbLb1EES18_IbLb0EEEEDaS14_S15_EUlS14_E_NS1_11comp_targetILNS1_3genE5ELNS1_11target_archE942ELNS1_3gpuE9ELNS1_3repE0EEENS1_30default_config_static_selectorELNS0_4arch9wavefront6targetE0EEEvT1_,"axG",@progbits,_ZN7rocprim17ROCPRIM_400000_NS6detail17trampoline_kernelINS0_14default_configENS1_25partition_config_selectorILNS1_17partition_subalgoE9EllbEEZZNS1_14partition_implILS5_9ELb0ES3_jPKlN6thrust23THRUST_200600_302600_NS17counting_iteratorIlNSB_11use_defaultESD_SD_EEPNS0_10empty_typeENS0_5tupleIJPlSF_EEENSH_IJSI_SG_EEENS0_18inequality_wrapperIN6hipcub16HIPCUB_304000_NS8EqualityEEESI_JSF_EEE10hipError_tPvRmT3_T4_T5_T6_T7_T9_mT8_P12ihipStream_tbDpT10_ENKUlT_T0_E_clISt17integral_constantIbLb1EES18_IbLb0EEEEDaS14_S15_EUlS14_E_NS1_11comp_targetILNS1_3genE5ELNS1_11target_archE942ELNS1_3gpuE9ELNS1_3repE0EEENS1_30default_config_static_selectorELNS0_4arch9wavefront6targetE0EEEvT1_,comdat
.Lfunc_end61:
	.size	_ZN7rocprim17ROCPRIM_400000_NS6detail17trampoline_kernelINS0_14default_configENS1_25partition_config_selectorILNS1_17partition_subalgoE9EllbEEZZNS1_14partition_implILS5_9ELb0ES3_jPKlN6thrust23THRUST_200600_302600_NS17counting_iteratorIlNSB_11use_defaultESD_SD_EEPNS0_10empty_typeENS0_5tupleIJPlSF_EEENSH_IJSI_SG_EEENS0_18inequality_wrapperIN6hipcub16HIPCUB_304000_NS8EqualityEEESI_JSF_EEE10hipError_tPvRmT3_T4_T5_T6_T7_T9_mT8_P12ihipStream_tbDpT10_ENKUlT_T0_E_clISt17integral_constantIbLb1EES18_IbLb0EEEEDaS14_S15_EUlS14_E_NS1_11comp_targetILNS1_3genE5ELNS1_11target_archE942ELNS1_3gpuE9ELNS1_3repE0EEENS1_30default_config_static_selectorELNS0_4arch9wavefront6targetE0EEEvT1_, .Lfunc_end61-_ZN7rocprim17ROCPRIM_400000_NS6detail17trampoline_kernelINS0_14default_configENS1_25partition_config_selectorILNS1_17partition_subalgoE9EllbEEZZNS1_14partition_implILS5_9ELb0ES3_jPKlN6thrust23THRUST_200600_302600_NS17counting_iteratorIlNSB_11use_defaultESD_SD_EEPNS0_10empty_typeENS0_5tupleIJPlSF_EEENSH_IJSI_SG_EEENS0_18inequality_wrapperIN6hipcub16HIPCUB_304000_NS8EqualityEEESI_JSF_EEE10hipError_tPvRmT3_T4_T5_T6_T7_T9_mT8_P12ihipStream_tbDpT10_ENKUlT_T0_E_clISt17integral_constantIbLb1EES18_IbLb0EEEEDaS14_S15_EUlS14_E_NS1_11comp_targetILNS1_3genE5ELNS1_11target_archE942ELNS1_3gpuE9ELNS1_3repE0EEENS1_30default_config_static_selectorELNS0_4arch9wavefront6targetE0EEEvT1_
                                        ; -- End function
	.set _ZN7rocprim17ROCPRIM_400000_NS6detail17trampoline_kernelINS0_14default_configENS1_25partition_config_selectorILNS1_17partition_subalgoE9EllbEEZZNS1_14partition_implILS5_9ELb0ES3_jPKlN6thrust23THRUST_200600_302600_NS17counting_iteratorIlNSB_11use_defaultESD_SD_EEPNS0_10empty_typeENS0_5tupleIJPlSF_EEENSH_IJSI_SG_EEENS0_18inequality_wrapperIN6hipcub16HIPCUB_304000_NS8EqualityEEESI_JSF_EEE10hipError_tPvRmT3_T4_T5_T6_T7_T9_mT8_P12ihipStream_tbDpT10_ENKUlT_T0_E_clISt17integral_constantIbLb1EES18_IbLb0EEEEDaS14_S15_EUlS14_E_NS1_11comp_targetILNS1_3genE5ELNS1_11target_archE942ELNS1_3gpuE9ELNS1_3repE0EEENS1_30default_config_static_selectorELNS0_4arch9wavefront6targetE0EEEvT1_.num_vgpr, 0
	.set _ZN7rocprim17ROCPRIM_400000_NS6detail17trampoline_kernelINS0_14default_configENS1_25partition_config_selectorILNS1_17partition_subalgoE9EllbEEZZNS1_14partition_implILS5_9ELb0ES3_jPKlN6thrust23THRUST_200600_302600_NS17counting_iteratorIlNSB_11use_defaultESD_SD_EEPNS0_10empty_typeENS0_5tupleIJPlSF_EEENSH_IJSI_SG_EEENS0_18inequality_wrapperIN6hipcub16HIPCUB_304000_NS8EqualityEEESI_JSF_EEE10hipError_tPvRmT3_T4_T5_T6_T7_T9_mT8_P12ihipStream_tbDpT10_ENKUlT_T0_E_clISt17integral_constantIbLb1EES18_IbLb0EEEEDaS14_S15_EUlS14_E_NS1_11comp_targetILNS1_3genE5ELNS1_11target_archE942ELNS1_3gpuE9ELNS1_3repE0EEENS1_30default_config_static_selectorELNS0_4arch9wavefront6targetE0EEEvT1_.num_agpr, 0
	.set _ZN7rocprim17ROCPRIM_400000_NS6detail17trampoline_kernelINS0_14default_configENS1_25partition_config_selectorILNS1_17partition_subalgoE9EllbEEZZNS1_14partition_implILS5_9ELb0ES3_jPKlN6thrust23THRUST_200600_302600_NS17counting_iteratorIlNSB_11use_defaultESD_SD_EEPNS0_10empty_typeENS0_5tupleIJPlSF_EEENSH_IJSI_SG_EEENS0_18inequality_wrapperIN6hipcub16HIPCUB_304000_NS8EqualityEEESI_JSF_EEE10hipError_tPvRmT3_T4_T5_T6_T7_T9_mT8_P12ihipStream_tbDpT10_ENKUlT_T0_E_clISt17integral_constantIbLb1EES18_IbLb0EEEEDaS14_S15_EUlS14_E_NS1_11comp_targetILNS1_3genE5ELNS1_11target_archE942ELNS1_3gpuE9ELNS1_3repE0EEENS1_30default_config_static_selectorELNS0_4arch9wavefront6targetE0EEEvT1_.numbered_sgpr, 0
	.set _ZN7rocprim17ROCPRIM_400000_NS6detail17trampoline_kernelINS0_14default_configENS1_25partition_config_selectorILNS1_17partition_subalgoE9EllbEEZZNS1_14partition_implILS5_9ELb0ES3_jPKlN6thrust23THRUST_200600_302600_NS17counting_iteratorIlNSB_11use_defaultESD_SD_EEPNS0_10empty_typeENS0_5tupleIJPlSF_EEENSH_IJSI_SG_EEENS0_18inequality_wrapperIN6hipcub16HIPCUB_304000_NS8EqualityEEESI_JSF_EEE10hipError_tPvRmT3_T4_T5_T6_T7_T9_mT8_P12ihipStream_tbDpT10_ENKUlT_T0_E_clISt17integral_constantIbLb1EES18_IbLb0EEEEDaS14_S15_EUlS14_E_NS1_11comp_targetILNS1_3genE5ELNS1_11target_archE942ELNS1_3gpuE9ELNS1_3repE0EEENS1_30default_config_static_selectorELNS0_4arch9wavefront6targetE0EEEvT1_.num_named_barrier, 0
	.set _ZN7rocprim17ROCPRIM_400000_NS6detail17trampoline_kernelINS0_14default_configENS1_25partition_config_selectorILNS1_17partition_subalgoE9EllbEEZZNS1_14partition_implILS5_9ELb0ES3_jPKlN6thrust23THRUST_200600_302600_NS17counting_iteratorIlNSB_11use_defaultESD_SD_EEPNS0_10empty_typeENS0_5tupleIJPlSF_EEENSH_IJSI_SG_EEENS0_18inequality_wrapperIN6hipcub16HIPCUB_304000_NS8EqualityEEESI_JSF_EEE10hipError_tPvRmT3_T4_T5_T6_T7_T9_mT8_P12ihipStream_tbDpT10_ENKUlT_T0_E_clISt17integral_constantIbLb1EES18_IbLb0EEEEDaS14_S15_EUlS14_E_NS1_11comp_targetILNS1_3genE5ELNS1_11target_archE942ELNS1_3gpuE9ELNS1_3repE0EEENS1_30default_config_static_selectorELNS0_4arch9wavefront6targetE0EEEvT1_.private_seg_size, 0
	.set _ZN7rocprim17ROCPRIM_400000_NS6detail17trampoline_kernelINS0_14default_configENS1_25partition_config_selectorILNS1_17partition_subalgoE9EllbEEZZNS1_14partition_implILS5_9ELb0ES3_jPKlN6thrust23THRUST_200600_302600_NS17counting_iteratorIlNSB_11use_defaultESD_SD_EEPNS0_10empty_typeENS0_5tupleIJPlSF_EEENSH_IJSI_SG_EEENS0_18inequality_wrapperIN6hipcub16HIPCUB_304000_NS8EqualityEEESI_JSF_EEE10hipError_tPvRmT3_T4_T5_T6_T7_T9_mT8_P12ihipStream_tbDpT10_ENKUlT_T0_E_clISt17integral_constantIbLb1EES18_IbLb0EEEEDaS14_S15_EUlS14_E_NS1_11comp_targetILNS1_3genE5ELNS1_11target_archE942ELNS1_3gpuE9ELNS1_3repE0EEENS1_30default_config_static_selectorELNS0_4arch9wavefront6targetE0EEEvT1_.uses_vcc, 0
	.set _ZN7rocprim17ROCPRIM_400000_NS6detail17trampoline_kernelINS0_14default_configENS1_25partition_config_selectorILNS1_17partition_subalgoE9EllbEEZZNS1_14partition_implILS5_9ELb0ES3_jPKlN6thrust23THRUST_200600_302600_NS17counting_iteratorIlNSB_11use_defaultESD_SD_EEPNS0_10empty_typeENS0_5tupleIJPlSF_EEENSH_IJSI_SG_EEENS0_18inequality_wrapperIN6hipcub16HIPCUB_304000_NS8EqualityEEESI_JSF_EEE10hipError_tPvRmT3_T4_T5_T6_T7_T9_mT8_P12ihipStream_tbDpT10_ENKUlT_T0_E_clISt17integral_constantIbLb1EES18_IbLb0EEEEDaS14_S15_EUlS14_E_NS1_11comp_targetILNS1_3genE5ELNS1_11target_archE942ELNS1_3gpuE9ELNS1_3repE0EEENS1_30default_config_static_selectorELNS0_4arch9wavefront6targetE0EEEvT1_.uses_flat_scratch, 0
	.set _ZN7rocprim17ROCPRIM_400000_NS6detail17trampoline_kernelINS0_14default_configENS1_25partition_config_selectorILNS1_17partition_subalgoE9EllbEEZZNS1_14partition_implILS5_9ELb0ES3_jPKlN6thrust23THRUST_200600_302600_NS17counting_iteratorIlNSB_11use_defaultESD_SD_EEPNS0_10empty_typeENS0_5tupleIJPlSF_EEENSH_IJSI_SG_EEENS0_18inequality_wrapperIN6hipcub16HIPCUB_304000_NS8EqualityEEESI_JSF_EEE10hipError_tPvRmT3_T4_T5_T6_T7_T9_mT8_P12ihipStream_tbDpT10_ENKUlT_T0_E_clISt17integral_constantIbLb1EES18_IbLb0EEEEDaS14_S15_EUlS14_E_NS1_11comp_targetILNS1_3genE5ELNS1_11target_archE942ELNS1_3gpuE9ELNS1_3repE0EEENS1_30default_config_static_selectorELNS0_4arch9wavefront6targetE0EEEvT1_.has_dyn_sized_stack, 0
	.set _ZN7rocprim17ROCPRIM_400000_NS6detail17trampoline_kernelINS0_14default_configENS1_25partition_config_selectorILNS1_17partition_subalgoE9EllbEEZZNS1_14partition_implILS5_9ELb0ES3_jPKlN6thrust23THRUST_200600_302600_NS17counting_iteratorIlNSB_11use_defaultESD_SD_EEPNS0_10empty_typeENS0_5tupleIJPlSF_EEENSH_IJSI_SG_EEENS0_18inequality_wrapperIN6hipcub16HIPCUB_304000_NS8EqualityEEESI_JSF_EEE10hipError_tPvRmT3_T4_T5_T6_T7_T9_mT8_P12ihipStream_tbDpT10_ENKUlT_T0_E_clISt17integral_constantIbLb1EES18_IbLb0EEEEDaS14_S15_EUlS14_E_NS1_11comp_targetILNS1_3genE5ELNS1_11target_archE942ELNS1_3gpuE9ELNS1_3repE0EEENS1_30default_config_static_selectorELNS0_4arch9wavefront6targetE0EEEvT1_.has_recursion, 0
	.set _ZN7rocprim17ROCPRIM_400000_NS6detail17trampoline_kernelINS0_14default_configENS1_25partition_config_selectorILNS1_17partition_subalgoE9EllbEEZZNS1_14partition_implILS5_9ELb0ES3_jPKlN6thrust23THRUST_200600_302600_NS17counting_iteratorIlNSB_11use_defaultESD_SD_EEPNS0_10empty_typeENS0_5tupleIJPlSF_EEENSH_IJSI_SG_EEENS0_18inequality_wrapperIN6hipcub16HIPCUB_304000_NS8EqualityEEESI_JSF_EEE10hipError_tPvRmT3_T4_T5_T6_T7_T9_mT8_P12ihipStream_tbDpT10_ENKUlT_T0_E_clISt17integral_constantIbLb1EES18_IbLb0EEEEDaS14_S15_EUlS14_E_NS1_11comp_targetILNS1_3genE5ELNS1_11target_archE942ELNS1_3gpuE9ELNS1_3repE0EEENS1_30default_config_static_selectorELNS0_4arch9wavefront6targetE0EEEvT1_.has_indirect_call, 0
	.section	.AMDGPU.csdata,"",@progbits
; Kernel info:
; codeLenInByte = 0
; TotalNumSgprs: 0
; NumVgprs: 0
; ScratchSize: 0
; MemoryBound: 0
; FloatMode: 240
; IeeeMode: 1
; LDSByteSize: 0 bytes/workgroup (compile time only)
; SGPRBlocks: 0
; VGPRBlocks: 0
; NumSGPRsForWavesPerEU: 1
; NumVGPRsForWavesPerEU: 1
; Occupancy: 16
; WaveLimiterHint : 0
; COMPUTE_PGM_RSRC2:SCRATCH_EN: 0
; COMPUTE_PGM_RSRC2:USER_SGPR: 2
; COMPUTE_PGM_RSRC2:TRAP_HANDLER: 0
; COMPUTE_PGM_RSRC2:TGID_X_EN: 1
; COMPUTE_PGM_RSRC2:TGID_Y_EN: 0
; COMPUTE_PGM_RSRC2:TGID_Z_EN: 0
; COMPUTE_PGM_RSRC2:TIDIG_COMP_CNT: 0
	.section	.text._ZN7rocprim17ROCPRIM_400000_NS6detail17trampoline_kernelINS0_14default_configENS1_25partition_config_selectorILNS1_17partition_subalgoE9EllbEEZZNS1_14partition_implILS5_9ELb0ES3_jPKlN6thrust23THRUST_200600_302600_NS17counting_iteratorIlNSB_11use_defaultESD_SD_EEPNS0_10empty_typeENS0_5tupleIJPlSF_EEENSH_IJSI_SG_EEENS0_18inequality_wrapperIN6hipcub16HIPCUB_304000_NS8EqualityEEESI_JSF_EEE10hipError_tPvRmT3_T4_T5_T6_T7_T9_mT8_P12ihipStream_tbDpT10_ENKUlT_T0_E_clISt17integral_constantIbLb1EES18_IbLb0EEEEDaS14_S15_EUlS14_E_NS1_11comp_targetILNS1_3genE4ELNS1_11target_archE910ELNS1_3gpuE8ELNS1_3repE0EEENS1_30default_config_static_selectorELNS0_4arch9wavefront6targetE0EEEvT1_,"axG",@progbits,_ZN7rocprim17ROCPRIM_400000_NS6detail17trampoline_kernelINS0_14default_configENS1_25partition_config_selectorILNS1_17partition_subalgoE9EllbEEZZNS1_14partition_implILS5_9ELb0ES3_jPKlN6thrust23THRUST_200600_302600_NS17counting_iteratorIlNSB_11use_defaultESD_SD_EEPNS0_10empty_typeENS0_5tupleIJPlSF_EEENSH_IJSI_SG_EEENS0_18inequality_wrapperIN6hipcub16HIPCUB_304000_NS8EqualityEEESI_JSF_EEE10hipError_tPvRmT3_T4_T5_T6_T7_T9_mT8_P12ihipStream_tbDpT10_ENKUlT_T0_E_clISt17integral_constantIbLb1EES18_IbLb0EEEEDaS14_S15_EUlS14_E_NS1_11comp_targetILNS1_3genE4ELNS1_11target_archE910ELNS1_3gpuE8ELNS1_3repE0EEENS1_30default_config_static_selectorELNS0_4arch9wavefront6targetE0EEEvT1_,comdat
	.protected	_ZN7rocprim17ROCPRIM_400000_NS6detail17trampoline_kernelINS0_14default_configENS1_25partition_config_selectorILNS1_17partition_subalgoE9EllbEEZZNS1_14partition_implILS5_9ELb0ES3_jPKlN6thrust23THRUST_200600_302600_NS17counting_iteratorIlNSB_11use_defaultESD_SD_EEPNS0_10empty_typeENS0_5tupleIJPlSF_EEENSH_IJSI_SG_EEENS0_18inequality_wrapperIN6hipcub16HIPCUB_304000_NS8EqualityEEESI_JSF_EEE10hipError_tPvRmT3_T4_T5_T6_T7_T9_mT8_P12ihipStream_tbDpT10_ENKUlT_T0_E_clISt17integral_constantIbLb1EES18_IbLb0EEEEDaS14_S15_EUlS14_E_NS1_11comp_targetILNS1_3genE4ELNS1_11target_archE910ELNS1_3gpuE8ELNS1_3repE0EEENS1_30default_config_static_selectorELNS0_4arch9wavefront6targetE0EEEvT1_ ; -- Begin function _ZN7rocprim17ROCPRIM_400000_NS6detail17trampoline_kernelINS0_14default_configENS1_25partition_config_selectorILNS1_17partition_subalgoE9EllbEEZZNS1_14partition_implILS5_9ELb0ES3_jPKlN6thrust23THRUST_200600_302600_NS17counting_iteratorIlNSB_11use_defaultESD_SD_EEPNS0_10empty_typeENS0_5tupleIJPlSF_EEENSH_IJSI_SG_EEENS0_18inequality_wrapperIN6hipcub16HIPCUB_304000_NS8EqualityEEESI_JSF_EEE10hipError_tPvRmT3_T4_T5_T6_T7_T9_mT8_P12ihipStream_tbDpT10_ENKUlT_T0_E_clISt17integral_constantIbLb1EES18_IbLb0EEEEDaS14_S15_EUlS14_E_NS1_11comp_targetILNS1_3genE4ELNS1_11target_archE910ELNS1_3gpuE8ELNS1_3repE0EEENS1_30default_config_static_selectorELNS0_4arch9wavefront6targetE0EEEvT1_
	.globl	_ZN7rocprim17ROCPRIM_400000_NS6detail17trampoline_kernelINS0_14default_configENS1_25partition_config_selectorILNS1_17partition_subalgoE9EllbEEZZNS1_14partition_implILS5_9ELb0ES3_jPKlN6thrust23THRUST_200600_302600_NS17counting_iteratorIlNSB_11use_defaultESD_SD_EEPNS0_10empty_typeENS0_5tupleIJPlSF_EEENSH_IJSI_SG_EEENS0_18inequality_wrapperIN6hipcub16HIPCUB_304000_NS8EqualityEEESI_JSF_EEE10hipError_tPvRmT3_T4_T5_T6_T7_T9_mT8_P12ihipStream_tbDpT10_ENKUlT_T0_E_clISt17integral_constantIbLb1EES18_IbLb0EEEEDaS14_S15_EUlS14_E_NS1_11comp_targetILNS1_3genE4ELNS1_11target_archE910ELNS1_3gpuE8ELNS1_3repE0EEENS1_30default_config_static_selectorELNS0_4arch9wavefront6targetE0EEEvT1_
	.p2align	8
	.type	_ZN7rocprim17ROCPRIM_400000_NS6detail17trampoline_kernelINS0_14default_configENS1_25partition_config_selectorILNS1_17partition_subalgoE9EllbEEZZNS1_14partition_implILS5_9ELb0ES3_jPKlN6thrust23THRUST_200600_302600_NS17counting_iteratorIlNSB_11use_defaultESD_SD_EEPNS0_10empty_typeENS0_5tupleIJPlSF_EEENSH_IJSI_SG_EEENS0_18inequality_wrapperIN6hipcub16HIPCUB_304000_NS8EqualityEEESI_JSF_EEE10hipError_tPvRmT3_T4_T5_T6_T7_T9_mT8_P12ihipStream_tbDpT10_ENKUlT_T0_E_clISt17integral_constantIbLb1EES18_IbLb0EEEEDaS14_S15_EUlS14_E_NS1_11comp_targetILNS1_3genE4ELNS1_11target_archE910ELNS1_3gpuE8ELNS1_3repE0EEENS1_30default_config_static_selectorELNS0_4arch9wavefront6targetE0EEEvT1_,@function
_ZN7rocprim17ROCPRIM_400000_NS6detail17trampoline_kernelINS0_14default_configENS1_25partition_config_selectorILNS1_17partition_subalgoE9EllbEEZZNS1_14partition_implILS5_9ELb0ES3_jPKlN6thrust23THRUST_200600_302600_NS17counting_iteratorIlNSB_11use_defaultESD_SD_EEPNS0_10empty_typeENS0_5tupleIJPlSF_EEENSH_IJSI_SG_EEENS0_18inequality_wrapperIN6hipcub16HIPCUB_304000_NS8EqualityEEESI_JSF_EEE10hipError_tPvRmT3_T4_T5_T6_T7_T9_mT8_P12ihipStream_tbDpT10_ENKUlT_T0_E_clISt17integral_constantIbLb1EES18_IbLb0EEEEDaS14_S15_EUlS14_E_NS1_11comp_targetILNS1_3genE4ELNS1_11target_archE910ELNS1_3gpuE8ELNS1_3repE0EEENS1_30default_config_static_selectorELNS0_4arch9wavefront6targetE0EEEvT1_: ; @_ZN7rocprim17ROCPRIM_400000_NS6detail17trampoline_kernelINS0_14default_configENS1_25partition_config_selectorILNS1_17partition_subalgoE9EllbEEZZNS1_14partition_implILS5_9ELb0ES3_jPKlN6thrust23THRUST_200600_302600_NS17counting_iteratorIlNSB_11use_defaultESD_SD_EEPNS0_10empty_typeENS0_5tupleIJPlSF_EEENSH_IJSI_SG_EEENS0_18inequality_wrapperIN6hipcub16HIPCUB_304000_NS8EqualityEEESI_JSF_EEE10hipError_tPvRmT3_T4_T5_T6_T7_T9_mT8_P12ihipStream_tbDpT10_ENKUlT_T0_E_clISt17integral_constantIbLb1EES18_IbLb0EEEEDaS14_S15_EUlS14_E_NS1_11comp_targetILNS1_3genE4ELNS1_11target_archE910ELNS1_3gpuE8ELNS1_3repE0EEENS1_30default_config_static_selectorELNS0_4arch9wavefront6targetE0EEEvT1_
; %bb.0:
	.section	.rodata,"a",@progbits
	.p2align	6, 0x0
	.amdhsa_kernel _ZN7rocprim17ROCPRIM_400000_NS6detail17trampoline_kernelINS0_14default_configENS1_25partition_config_selectorILNS1_17partition_subalgoE9EllbEEZZNS1_14partition_implILS5_9ELb0ES3_jPKlN6thrust23THRUST_200600_302600_NS17counting_iteratorIlNSB_11use_defaultESD_SD_EEPNS0_10empty_typeENS0_5tupleIJPlSF_EEENSH_IJSI_SG_EEENS0_18inequality_wrapperIN6hipcub16HIPCUB_304000_NS8EqualityEEESI_JSF_EEE10hipError_tPvRmT3_T4_T5_T6_T7_T9_mT8_P12ihipStream_tbDpT10_ENKUlT_T0_E_clISt17integral_constantIbLb1EES18_IbLb0EEEEDaS14_S15_EUlS14_E_NS1_11comp_targetILNS1_3genE4ELNS1_11target_archE910ELNS1_3gpuE8ELNS1_3repE0EEENS1_30default_config_static_selectorELNS0_4arch9wavefront6targetE0EEEvT1_
		.amdhsa_group_segment_fixed_size 0
		.amdhsa_private_segment_fixed_size 0
		.amdhsa_kernarg_size 112
		.amdhsa_user_sgpr_count 2
		.amdhsa_user_sgpr_dispatch_ptr 0
		.amdhsa_user_sgpr_queue_ptr 0
		.amdhsa_user_sgpr_kernarg_segment_ptr 1
		.amdhsa_user_sgpr_dispatch_id 0
		.amdhsa_user_sgpr_private_segment_size 0
		.amdhsa_wavefront_size32 1
		.amdhsa_uses_dynamic_stack 0
		.amdhsa_enable_private_segment 0
		.amdhsa_system_sgpr_workgroup_id_x 1
		.amdhsa_system_sgpr_workgroup_id_y 0
		.amdhsa_system_sgpr_workgroup_id_z 0
		.amdhsa_system_sgpr_workgroup_info 0
		.amdhsa_system_vgpr_workitem_id 0
		.amdhsa_next_free_vgpr 1
		.amdhsa_next_free_sgpr 1
		.amdhsa_reserve_vcc 0
		.amdhsa_float_round_mode_32 0
		.amdhsa_float_round_mode_16_64 0
		.amdhsa_float_denorm_mode_32 3
		.amdhsa_float_denorm_mode_16_64 3
		.amdhsa_fp16_overflow 0
		.amdhsa_workgroup_processor_mode 1
		.amdhsa_memory_ordered 1
		.amdhsa_forward_progress 1
		.amdhsa_inst_pref_size 0
		.amdhsa_round_robin_scheduling 0
		.amdhsa_exception_fp_ieee_invalid_op 0
		.amdhsa_exception_fp_denorm_src 0
		.amdhsa_exception_fp_ieee_div_zero 0
		.amdhsa_exception_fp_ieee_overflow 0
		.amdhsa_exception_fp_ieee_underflow 0
		.amdhsa_exception_fp_ieee_inexact 0
		.amdhsa_exception_int_div_zero 0
	.end_amdhsa_kernel
	.section	.text._ZN7rocprim17ROCPRIM_400000_NS6detail17trampoline_kernelINS0_14default_configENS1_25partition_config_selectorILNS1_17partition_subalgoE9EllbEEZZNS1_14partition_implILS5_9ELb0ES3_jPKlN6thrust23THRUST_200600_302600_NS17counting_iteratorIlNSB_11use_defaultESD_SD_EEPNS0_10empty_typeENS0_5tupleIJPlSF_EEENSH_IJSI_SG_EEENS0_18inequality_wrapperIN6hipcub16HIPCUB_304000_NS8EqualityEEESI_JSF_EEE10hipError_tPvRmT3_T4_T5_T6_T7_T9_mT8_P12ihipStream_tbDpT10_ENKUlT_T0_E_clISt17integral_constantIbLb1EES18_IbLb0EEEEDaS14_S15_EUlS14_E_NS1_11comp_targetILNS1_3genE4ELNS1_11target_archE910ELNS1_3gpuE8ELNS1_3repE0EEENS1_30default_config_static_selectorELNS0_4arch9wavefront6targetE0EEEvT1_,"axG",@progbits,_ZN7rocprim17ROCPRIM_400000_NS6detail17trampoline_kernelINS0_14default_configENS1_25partition_config_selectorILNS1_17partition_subalgoE9EllbEEZZNS1_14partition_implILS5_9ELb0ES3_jPKlN6thrust23THRUST_200600_302600_NS17counting_iteratorIlNSB_11use_defaultESD_SD_EEPNS0_10empty_typeENS0_5tupleIJPlSF_EEENSH_IJSI_SG_EEENS0_18inequality_wrapperIN6hipcub16HIPCUB_304000_NS8EqualityEEESI_JSF_EEE10hipError_tPvRmT3_T4_T5_T6_T7_T9_mT8_P12ihipStream_tbDpT10_ENKUlT_T0_E_clISt17integral_constantIbLb1EES18_IbLb0EEEEDaS14_S15_EUlS14_E_NS1_11comp_targetILNS1_3genE4ELNS1_11target_archE910ELNS1_3gpuE8ELNS1_3repE0EEENS1_30default_config_static_selectorELNS0_4arch9wavefront6targetE0EEEvT1_,comdat
.Lfunc_end62:
	.size	_ZN7rocprim17ROCPRIM_400000_NS6detail17trampoline_kernelINS0_14default_configENS1_25partition_config_selectorILNS1_17partition_subalgoE9EllbEEZZNS1_14partition_implILS5_9ELb0ES3_jPKlN6thrust23THRUST_200600_302600_NS17counting_iteratorIlNSB_11use_defaultESD_SD_EEPNS0_10empty_typeENS0_5tupleIJPlSF_EEENSH_IJSI_SG_EEENS0_18inequality_wrapperIN6hipcub16HIPCUB_304000_NS8EqualityEEESI_JSF_EEE10hipError_tPvRmT3_T4_T5_T6_T7_T9_mT8_P12ihipStream_tbDpT10_ENKUlT_T0_E_clISt17integral_constantIbLb1EES18_IbLb0EEEEDaS14_S15_EUlS14_E_NS1_11comp_targetILNS1_3genE4ELNS1_11target_archE910ELNS1_3gpuE8ELNS1_3repE0EEENS1_30default_config_static_selectorELNS0_4arch9wavefront6targetE0EEEvT1_, .Lfunc_end62-_ZN7rocprim17ROCPRIM_400000_NS6detail17trampoline_kernelINS0_14default_configENS1_25partition_config_selectorILNS1_17partition_subalgoE9EllbEEZZNS1_14partition_implILS5_9ELb0ES3_jPKlN6thrust23THRUST_200600_302600_NS17counting_iteratorIlNSB_11use_defaultESD_SD_EEPNS0_10empty_typeENS0_5tupleIJPlSF_EEENSH_IJSI_SG_EEENS0_18inequality_wrapperIN6hipcub16HIPCUB_304000_NS8EqualityEEESI_JSF_EEE10hipError_tPvRmT3_T4_T5_T6_T7_T9_mT8_P12ihipStream_tbDpT10_ENKUlT_T0_E_clISt17integral_constantIbLb1EES18_IbLb0EEEEDaS14_S15_EUlS14_E_NS1_11comp_targetILNS1_3genE4ELNS1_11target_archE910ELNS1_3gpuE8ELNS1_3repE0EEENS1_30default_config_static_selectorELNS0_4arch9wavefront6targetE0EEEvT1_
                                        ; -- End function
	.set _ZN7rocprim17ROCPRIM_400000_NS6detail17trampoline_kernelINS0_14default_configENS1_25partition_config_selectorILNS1_17partition_subalgoE9EllbEEZZNS1_14partition_implILS5_9ELb0ES3_jPKlN6thrust23THRUST_200600_302600_NS17counting_iteratorIlNSB_11use_defaultESD_SD_EEPNS0_10empty_typeENS0_5tupleIJPlSF_EEENSH_IJSI_SG_EEENS0_18inequality_wrapperIN6hipcub16HIPCUB_304000_NS8EqualityEEESI_JSF_EEE10hipError_tPvRmT3_T4_T5_T6_T7_T9_mT8_P12ihipStream_tbDpT10_ENKUlT_T0_E_clISt17integral_constantIbLb1EES18_IbLb0EEEEDaS14_S15_EUlS14_E_NS1_11comp_targetILNS1_3genE4ELNS1_11target_archE910ELNS1_3gpuE8ELNS1_3repE0EEENS1_30default_config_static_selectorELNS0_4arch9wavefront6targetE0EEEvT1_.num_vgpr, 0
	.set _ZN7rocprim17ROCPRIM_400000_NS6detail17trampoline_kernelINS0_14default_configENS1_25partition_config_selectorILNS1_17partition_subalgoE9EllbEEZZNS1_14partition_implILS5_9ELb0ES3_jPKlN6thrust23THRUST_200600_302600_NS17counting_iteratorIlNSB_11use_defaultESD_SD_EEPNS0_10empty_typeENS0_5tupleIJPlSF_EEENSH_IJSI_SG_EEENS0_18inequality_wrapperIN6hipcub16HIPCUB_304000_NS8EqualityEEESI_JSF_EEE10hipError_tPvRmT3_T4_T5_T6_T7_T9_mT8_P12ihipStream_tbDpT10_ENKUlT_T0_E_clISt17integral_constantIbLb1EES18_IbLb0EEEEDaS14_S15_EUlS14_E_NS1_11comp_targetILNS1_3genE4ELNS1_11target_archE910ELNS1_3gpuE8ELNS1_3repE0EEENS1_30default_config_static_selectorELNS0_4arch9wavefront6targetE0EEEvT1_.num_agpr, 0
	.set _ZN7rocprim17ROCPRIM_400000_NS6detail17trampoline_kernelINS0_14default_configENS1_25partition_config_selectorILNS1_17partition_subalgoE9EllbEEZZNS1_14partition_implILS5_9ELb0ES3_jPKlN6thrust23THRUST_200600_302600_NS17counting_iteratorIlNSB_11use_defaultESD_SD_EEPNS0_10empty_typeENS0_5tupleIJPlSF_EEENSH_IJSI_SG_EEENS0_18inequality_wrapperIN6hipcub16HIPCUB_304000_NS8EqualityEEESI_JSF_EEE10hipError_tPvRmT3_T4_T5_T6_T7_T9_mT8_P12ihipStream_tbDpT10_ENKUlT_T0_E_clISt17integral_constantIbLb1EES18_IbLb0EEEEDaS14_S15_EUlS14_E_NS1_11comp_targetILNS1_3genE4ELNS1_11target_archE910ELNS1_3gpuE8ELNS1_3repE0EEENS1_30default_config_static_selectorELNS0_4arch9wavefront6targetE0EEEvT1_.numbered_sgpr, 0
	.set _ZN7rocprim17ROCPRIM_400000_NS6detail17trampoline_kernelINS0_14default_configENS1_25partition_config_selectorILNS1_17partition_subalgoE9EllbEEZZNS1_14partition_implILS5_9ELb0ES3_jPKlN6thrust23THRUST_200600_302600_NS17counting_iteratorIlNSB_11use_defaultESD_SD_EEPNS0_10empty_typeENS0_5tupleIJPlSF_EEENSH_IJSI_SG_EEENS0_18inequality_wrapperIN6hipcub16HIPCUB_304000_NS8EqualityEEESI_JSF_EEE10hipError_tPvRmT3_T4_T5_T6_T7_T9_mT8_P12ihipStream_tbDpT10_ENKUlT_T0_E_clISt17integral_constantIbLb1EES18_IbLb0EEEEDaS14_S15_EUlS14_E_NS1_11comp_targetILNS1_3genE4ELNS1_11target_archE910ELNS1_3gpuE8ELNS1_3repE0EEENS1_30default_config_static_selectorELNS0_4arch9wavefront6targetE0EEEvT1_.num_named_barrier, 0
	.set _ZN7rocprim17ROCPRIM_400000_NS6detail17trampoline_kernelINS0_14default_configENS1_25partition_config_selectorILNS1_17partition_subalgoE9EllbEEZZNS1_14partition_implILS5_9ELb0ES3_jPKlN6thrust23THRUST_200600_302600_NS17counting_iteratorIlNSB_11use_defaultESD_SD_EEPNS0_10empty_typeENS0_5tupleIJPlSF_EEENSH_IJSI_SG_EEENS0_18inequality_wrapperIN6hipcub16HIPCUB_304000_NS8EqualityEEESI_JSF_EEE10hipError_tPvRmT3_T4_T5_T6_T7_T9_mT8_P12ihipStream_tbDpT10_ENKUlT_T0_E_clISt17integral_constantIbLb1EES18_IbLb0EEEEDaS14_S15_EUlS14_E_NS1_11comp_targetILNS1_3genE4ELNS1_11target_archE910ELNS1_3gpuE8ELNS1_3repE0EEENS1_30default_config_static_selectorELNS0_4arch9wavefront6targetE0EEEvT1_.private_seg_size, 0
	.set _ZN7rocprim17ROCPRIM_400000_NS6detail17trampoline_kernelINS0_14default_configENS1_25partition_config_selectorILNS1_17partition_subalgoE9EllbEEZZNS1_14partition_implILS5_9ELb0ES3_jPKlN6thrust23THRUST_200600_302600_NS17counting_iteratorIlNSB_11use_defaultESD_SD_EEPNS0_10empty_typeENS0_5tupleIJPlSF_EEENSH_IJSI_SG_EEENS0_18inequality_wrapperIN6hipcub16HIPCUB_304000_NS8EqualityEEESI_JSF_EEE10hipError_tPvRmT3_T4_T5_T6_T7_T9_mT8_P12ihipStream_tbDpT10_ENKUlT_T0_E_clISt17integral_constantIbLb1EES18_IbLb0EEEEDaS14_S15_EUlS14_E_NS1_11comp_targetILNS1_3genE4ELNS1_11target_archE910ELNS1_3gpuE8ELNS1_3repE0EEENS1_30default_config_static_selectorELNS0_4arch9wavefront6targetE0EEEvT1_.uses_vcc, 0
	.set _ZN7rocprim17ROCPRIM_400000_NS6detail17trampoline_kernelINS0_14default_configENS1_25partition_config_selectorILNS1_17partition_subalgoE9EllbEEZZNS1_14partition_implILS5_9ELb0ES3_jPKlN6thrust23THRUST_200600_302600_NS17counting_iteratorIlNSB_11use_defaultESD_SD_EEPNS0_10empty_typeENS0_5tupleIJPlSF_EEENSH_IJSI_SG_EEENS0_18inequality_wrapperIN6hipcub16HIPCUB_304000_NS8EqualityEEESI_JSF_EEE10hipError_tPvRmT3_T4_T5_T6_T7_T9_mT8_P12ihipStream_tbDpT10_ENKUlT_T0_E_clISt17integral_constantIbLb1EES18_IbLb0EEEEDaS14_S15_EUlS14_E_NS1_11comp_targetILNS1_3genE4ELNS1_11target_archE910ELNS1_3gpuE8ELNS1_3repE0EEENS1_30default_config_static_selectorELNS0_4arch9wavefront6targetE0EEEvT1_.uses_flat_scratch, 0
	.set _ZN7rocprim17ROCPRIM_400000_NS6detail17trampoline_kernelINS0_14default_configENS1_25partition_config_selectorILNS1_17partition_subalgoE9EllbEEZZNS1_14partition_implILS5_9ELb0ES3_jPKlN6thrust23THRUST_200600_302600_NS17counting_iteratorIlNSB_11use_defaultESD_SD_EEPNS0_10empty_typeENS0_5tupleIJPlSF_EEENSH_IJSI_SG_EEENS0_18inequality_wrapperIN6hipcub16HIPCUB_304000_NS8EqualityEEESI_JSF_EEE10hipError_tPvRmT3_T4_T5_T6_T7_T9_mT8_P12ihipStream_tbDpT10_ENKUlT_T0_E_clISt17integral_constantIbLb1EES18_IbLb0EEEEDaS14_S15_EUlS14_E_NS1_11comp_targetILNS1_3genE4ELNS1_11target_archE910ELNS1_3gpuE8ELNS1_3repE0EEENS1_30default_config_static_selectorELNS0_4arch9wavefront6targetE0EEEvT1_.has_dyn_sized_stack, 0
	.set _ZN7rocprim17ROCPRIM_400000_NS6detail17trampoline_kernelINS0_14default_configENS1_25partition_config_selectorILNS1_17partition_subalgoE9EllbEEZZNS1_14partition_implILS5_9ELb0ES3_jPKlN6thrust23THRUST_200600_302600_NS17counting_iteratorIlNSB_11use_defaultESD_SD_EEPNS0_10empty_typeENS0_5tupleIJPlSF_EEENSH_IJSI_SG_EEENS0_18inequality_wrapperIN6hipcub16HIPCUB_304000_NS8EqualityEEESI_JSF_EEE10hipError_tPvRmT3_T4_T5_T6_T7_T9_mT8_P12ihipStream_tbDpT10_ENKUlT_T0_E_clISt17integral_constantIbLb1EES18_IbLb0EEEEDaS14_S15_EUlS14_E_NS1_11comp_targetILNS1_3genE4ELNS1_11target_archE910ELNS1_3gpuE8ELNS1_3repE0EEENS1_30default_config_static_selectorELNS0_4arch9wavefront6targetE0EEEvT1_.has_recursion, 0
	.set _ZN7rocprim17ROCPRIM_400000_NS6detail17trampoline_kernelINS0_14default_configENS1_25partition_config_selectorILNS1_17partition_subalgoE9EllbEEZZNS1_14partition_implILS5_9ELb0ES3_jPKlN6thrust23THRUST_200600_302600_NS17counting_iteratorIlNSB_11use_defaultESD_SD_EEPNS0_10empty_typeENS0_5tupleIJPlSF_EEENSH_IJSI_SG_EEENS0_18inequality_wrapperIN6hipcub16HIPCUB_304000_NS8EqualityEEESI_JSF_EEE10hipError_tPvRmT3_T4_T5_T6_T7_T9_mT8_P12ihipStream_tbDpT10_ENKUlT_T0_E_clISt17integral_constantIbLb1EES18_IbLb0EEEEDaS14_S15_EUlS14_E_NS1_11comp_targetILNS1_3genE4ELNS1_11target_archE910ELNS1_3gpuE8ELNS1_3repE0EEENS1_30default_config_static_selectorELNS0_4arch9wavefront6targetE0EEEvT1_.has_indirect_call, 0
	.section	.AMDGPU.csdata,"",@progbits
; Kernel info:
; codeLenInByte = 0
; TotalNumSgprs: 0
; NumVgprs: 0
; ScratchSize: 0
; MemoryBound: 0
; FloatMode: 240
; IeeeMode: 1
; LDSByteSize: 0 bytes/workgroup (compile time only)
; SGPRBlocks: 0
; VGPRBlocks: 0
; NumSGPRsForWavesPerEU: 1
; NumVGPRsForWavesPerEU: 1
; Occupancy: 16
; WaveLimiterHint : 0
; COMPUTE_PGM_RSRC2:SCRATCH_EN: 0
; COMPUTE_PGM_RSRC2:USER_SGPR: 2
; COMPUTE_PGM_RSRC2:TRAP_HANDLER: 0
; COMPUTE_PGM_RSRC2:TGID_X_EN: 1
; COMPUTE_PGM_RSRC2:TGID_Y_EN: 0
; COMPUTE_PGM_RSRC2:TGID_Z_EN: 0
; COMPUTE_PGM_RSRC2:TIDIG_COMP_CNT: 0
	.section	.text._ZN7rocprim17ROCPRIM_400000_NS6detail17trampoline_kernelINS0_14default_configENS1_25partition_config_selectorILNS1_17partition_subalgoE9EllbEEZZNS1_14partition_implILS5_9ELb0ES3_jPKlN6thrust23THRUST_200600_302600_NS17counting_iteratorIlNSB_11use_defaultESD_SD_EEPNS0_10empty_typeENS0_5tupleIJPlSF_EEENSH_IJSI_SG_EEENS0_18inequality_wrapperIN6hipcub16HIPCUB_304000_NS8EqualityEEESI_JSF_EEE10hipError_tPvRmT3_T4_T5_T6_T7_T9_mT8_P12ihipStream_tbDpT10_ENKUlT_T0_E_clISt17integral_constantIbLb1EES18_IbLb0EEEEDaS14_S15_EUlS14_E_NS1_11comp_targetILNS1_3genE3ELNS1_11target_archE908ELNS1_3gpuE7ELNS1_3repE0EEENS1_30default_config_static_selectorELNS0_4arch9wavefront6targetE0EEEvT1_,"axG",@progbits,_ZN7rocprim17ROCPRIM_400000_NS6detail17trampoline_kernelINS0_14default_configENS1_25partition_config_selectorILNS1_17partition_subalgoE9EllbEEZZNS1_14partition_implILS5_9ELb0ES3_jPKlN6thrust23THRUST_200600_302600_NS17counting_iteratorIlNSB_11use_defaultESD_SD_EEPNS0_10empty_typeENS0_5tupleIJPlSF_EEENSH_IJSI_SG_EEENS0_18inequality_wrapperIN6hipcub16HIPCUB_304000_NS8EqualityEEESI_JSF_EEE10hipError_tPvRmT3_T4_T5_T6_T7_T9_mT8_P12ihipStream_tbDpT10_ENKUlT_T0_E_clISt17integral_constantIbLb1EES18_IbLb0EEEEDaS14_S15_EUlS14_E_NS1_11comp_targetILNS1_3genE3ELNS1_11target_archE908ELNS1_3gpuE7ELNS1_3repE0EEENS1_30default_config_static_selectorELNS0_4arch9wavefront6targetE0EEEvT1_,comdat
	.protected	_ZN7rocprim17ROCPRIM_400000_NS6detail17trampoline_kernelINS0_14default_configENS1_25partition_config_selectorILNS1_17partition_subalgoE9EllbEEZZNS1_14partition_implILS5_9ELb0ES3_jPKlN6thrust23THRUST_200600_302600_NS17counting_iteratorIlNSB_11use_defaultESD_SD_EEPNS0_10empty_typeENS0_5tupleIJPlSF_EEENSH_IJSI_SG_EEENS0_18inequality_wrapperIN6hipcub16HIPCUB_304000_NS8EqualityEEESI_JSF_EEE10hipError_tPvRmT3_T4_T5_T6_T7_T9_mT8_P12ihipStream_tbDpT10_ENKUlT_T0_E_clISt17integral_constantIbLb1EES18_IbLb0EEEEDaS14_S15_EUlS14_E_NS1_11comp_targetILNS1_3genE3ELNS1_11target_archE908ELNS1_3gpuE7ELNS1_3repE0EEENS1_30default_config_static_selectorELNS0_4arch9wavefront6targetE0EEEvT1_ ; -- Begin function _ZN7rocprim17ROCPRIM_400000_NS6detail17trampoline_kernelINS0_14default_configENS1_25partition_config_selectorILNS1_17partition_subalgoE9EllbEEZZNS1_14partition_implILS5_9ELb0ES3_jPKlN6thrust23THRUST_200600_302600_NS17counting_iteratorIlNSB_11use_defaultESD_SD_EEPNS0_10empty_typeENS0_5tupleIJPlSF_EEENSH_IJSI_SG_EEENS0_18inequality_wrapperIN6hipcub16HIPCUB_304000_NS8EqualityEEESI_JSF_EEE10hipError_tPvRmT3_T4_T5_T6_T7_T9_mT8_P12ihipStream_tbDpT10_ENKUlT_T0_E_clISt17integral_constantIbLb1EES18_IbLb0EEEEDaS14_S15_EUlS14_E_NS1_11comp_targetILNS1_3genE3ELNS1_11target_archE908ELNS1_3gpuE7ELNS1_3repE0EEENS1_30default_config_static_selectorELNS0_4arch9wavefront6targetE0EEEvT1_
	.globl	_ZN7rocprim17ROCPRIM_400000_NS6detail17trampoline_kernelINS0_14default_configENS1_25partition_config_selectorILNS1_17partition_subalgoE9EllbEEZZNS1_14partition_implILS5_9ELb0ES3_jPKlN6thrust23THRUST_200600_302600_NS17counting_iteratorIlNSB_11use_defaultESD_SD_EEPNS0_10empty_typeENS0_5tupleIJPlSF_EEENSH_IJSI_SG_EEENS0_18inequality_wrapperIN6hipcub16HIPCUB_304000_NS8EqualityEEESI_JSF_EEE10hipError_tPvRmT3_T4_T5_T6_T7_T9_mT8_P12ihipStream_tbDpT10_ENKUlT_T0_E_clISt17integral_constantIbLb1EES18_IbLb0EEEEDaS14_S15_EUlS14_E_NS1_11comp_targetILNS1_3genE3ELNS1_11target_archE908ELNS1_3gpuE7ELNS1_3repE0EEENS1_30default_config_static_selectorELNS0_4arch9wavefront6targetE0EEEvT1_
	.p2align	8
	.type	_ZN7rocprim17ROCPRIM_400000_NS6detail17trampoline_kernelINS0_14default_configENS1_25partition_config_selectorILNS1_17partition_subalgoE9EllbEEZZNS1_14partition_implILS5_9ELb0ES3_jPKlN6thrust23THRUST_200600_302600_NS17counting_iteratorIlNSB_11use_defaultESD_SD_EEPNS0_10empty_typeENS0_5tupleIJPlSF_EEENSH_IJSI_SG_EEENS0_18inequality_wrapperIN6hipcub16HIPCUB_304000_NS8EqualityEEESI_JSF_EEE10hipError_tPvRmT3_T4_T5_T6_T7_T9_mT8_P12ihipStream_tbDpT10_ENKUlT_T0_E_clISt17integral_constantIbLb1EES18_IbLb0EEEEDaS14_S15_EUlS14_E_NS1_11comp_targetILNS1_3genE3ELNS1_11target_archE908ELNS1_3gpuE7ELNS1_3repE0EEENS1_30default_config_static_selectorELNS0_4arch9wavefront6targetE0EEEvT1_,@function
_ZN7rocprim17ROCPRIM_400000_NS6detail17trampoline_kernelINS0_14default_configENS1_25partition_config_selectorILNS1_17partition_subalgoE9EllbEEZZNS1_14partition_implILS5_9ELb0ES3_jPKlN6thrust23THRUST_200600_302600_NS17counting_iteratorIlNSB_11use_defaultESD_SD_EEPNS0_10empty_typeENS0_5tupleIJPlSF_EEENSH_IJSI_SG_EEENS0_18inequality_wrapperIN6hipcub16HIPCUB_304000_NS8EqualityEEESI_JSF_EEE10hipError_tPvRmT3_T4_T5_T6_T7_T9_mT8_P12ihipStream_tbDpT10_ENKUlT_T0_E_clISt17integral_constantIbLb1EES18_IbLb0EEEEDaS14_S15_EUlS14_E_NS1_11comp_targetILNS1_3genE3ELNS1_11target_archE908ELNS1_3gpuE7ELNS1_3repE0EEENS1_30default_config_static_selectorELNS0_4arch9wavefront6targetE0EEEvT1_: ; @_ZN7rocprim17ROCPRIM_400000_NS6detail17trampoline_kernelINS0_14default_configENS1_25partition_config_selectorILNS1_17partition_subalgoE9EllbEEZZNS1_14partition_implILS5_9ELb0ES3_jPKlN6thrust23THRUST_200600_302600_NS17counting_iteratorIlNSB_11use_defaultESD_SD_EEPNS0_10empty_typeENS0_5tupleIJPlSF_EEENSH_IJSI_SG_EEENS0_18inequality_wrapperIN6hipcub16HIPCUB_304000_NS8EqualityEEESI_JSF_EEE10hipError_tPvRmT3_T4_T5_T6_T7_T9_mT8_P12ihipStream_tbDpT10_ENKUlT_T0_E_clISt17integral_constantIbLb1EES18_IbLb0EEEEDaS14_S15_EUlS14_E_NS1_11comp_targetILNS1_3genE3ELNS1_11target_archE908ELNS1_3gpuE7ELNS1_3repE0EEENS1_30default_config_static_selectorELNS0_4arch9wavefront6targetE0EEEvT1_
; %bb.0:
	.section	.rodata,"a",@progbits
	.p2align	6, 0x0
	.amdhsa_kernel _ZN7rocprim17ROCPRIM_400000_NS6detail17trampoline_kernelINS0_14default_configENS1_25partition_config_selectorILNS1_17partition_subalgoE9EllbEEZZNS1_14partition_implILS5_9ELb0ES3_jPKlN6thrust23THRUST_200600_302600_NS17counting_iteratorIlNSB_11use_defaultESD_SD_EEPNS0_10empty_typeENS0_5tupleIJPlSF_EEENSH_IJSI_SG_EEENS0_18inequality_wrapperIN6hipcub16HIPCUB_304000_NS8EqualityEEESI_JSF_EEE10hipError_tPvRmT3_T4_T5_T6_T7_T9_mT8_P12ihipStream_tbDpT10_ENKUlT_T0_E_clISt17integral_constantIbLb1EES18_IbLb0EEEEDaS14_S15_EUlS14_E_NS1_11comp_targetILNS1_3genE3ELNS1_11target_archE908ELNS1_3gpuE7ELNS1_3repE0EEENS1_30default_config_static_selectorELNS0_4arch9wavefront6targetE0EEEvT1_
		.amdhsa_group_segment_fixed_size 0
		.amdhsa_private_segment_fixed_size 0
		.amdhsa_kernarg_size 112
		.amdhsa_user_sgpr_count 2
		.amdhsa_user_sgpr_dispatch_ptr 0
		.amdhsa_user_sgpr_queue_ptr 0
		.amdhsa_user_sgpr_kernarg_segment_ptr 1
		.amdhsa_user_sgpr_dispatch_id 0
		.amdhsa_user_sgpr_private_segment_size 0
		.amdhsa_wavefront_size32 1
		.amdhsa_uses_dynamic_stack 0
		.amdhsa_enable_private_segment 0
		.amdhsa_system_sgpr_workgroup_id_x 1
		.amdhsa_system_sgpr_workgroup_id_y 0
		.amdhsa_system_sgpr_workgroup_id_z 0
		.amdhsa_system_sgpr_workgroup_info 0
		.amdhsa_system_vgpr_workitem_id 0
		.amdhsa_next_free_vgpr 1
		.amdhsa_next_free_sgpr 1
		.amdhsa_reserve_vcc 0
		.amdhsa_float_round_mode_32 0
		.amdhsa_float_round_mode_16_64 0
		.amdhsa_float_denorm_mode_32 3
		.amdhsa_float_denorm_mode_16_64 3
		.amdhsa_fp16_overflow 0
		.amdhsa_workgroup_processor_mode 1
		.amdhsa_memory_ordered 1
		.amdhsa_forward_progress 1
		.amdhsa_inst_pref_size 0
		.amdhsa_round_robin_scheduling 0
		.amdhsa_exception_fp_ieee_invalid_op 0
		.amdhsa_exception_fp_denorm_src 0
		.amdhsa_exception_fp_ieee_div_zero 0
		.amdhsa_exception_fp_ieee_overflow 0
		.amdhsa_exception_fp_ieee_underflow 0
		.amdhsa_exception_fp_ieee_inexact 0
		.amdhsa_exception_int_div_zero 0
	.end_amdhsa_kernel
	.section	.text._ZN7rocprim17ROCPRIM_400000_NS6detail17trampoline_kernelINS0_14default_configENS1_25partition_config_selectorILNS1_17partition_subalgoE9EllbEEZZNS1_14partition_implILS5_9ELb0ES3_jPKlN6thrust23THRUST_200600_302600_NS17counting_iteratorIlNSB_11use_defaultESD_SD_EEPNS0_10empty_typeENS0_5tupleIJPlSF_EEENSH_IJSI_SG_EEENS0_18inequality_wrapperIN6hipcub16HIPCUB_304000_NS8EqualityEEESI_JSF_EEE10hipError_tPvRmT3_T4_T5_T6_T7_T9_mT8_P12ihipStream_tbDpT10_ENKUlT_T0_E_clISt17integral_constantIbLb1EES18_IbLb0EEEEDaS14_S15_EUlS14_E_NS1_11comp_targetILNS1_3genE3ELNS1_11target_archE908ELNS1_3gpuE7ELNS1_3repE0EEENS1_30default_config_static_selectorELNS0_4arch9wavefront6targetE0EEEvT1_,"axG",@progbits,_ZN7rocprim17ROCPRIM_400000_NS6detail17trampoline_kernelINS0_14default_configENS1_25partition_config_selectorILNS1_17partition_subalgoE9EllbEEZZNS1_14partition_implILS5_9ELb0ES3_jPKlN6thrust23THRUST_200600_302600_NS17counting_iteratorIlNSB_11use_defaultESD_SD_EEPNS0_10empty_typeENS0_5tupleIJPlSF_EEENSH_IJSI_SG_EEENS0_18inequality_wrapperIN6hipcub16HIPCUB_304000_NS8EqualityEEESI_JSF_EEE10hipError_tPvRmT3_T4_T5_T6_T7_T9_mT8_P12ihipStream_tbDpT10_ENKUlT_T0_E_clISt17integral_constantIbLb1EES18_IbLb0EEEEDaS14_S15_EUlS14_E_NS1_11comp_targetILNS1_3genE3ELNS1_11target_archE908ELNS1_3gpuE7ELNS1_3repE0EEENS1_30default_config_static_selectorELNS0_4arch9wavefront6targetE0EEEvT1_,comdat
.Lfunc_end63:
	.size	_ZN7rocprim17ROCPRIM_400000_NS6detail17trampoline_kernelINS0_14default_configENS1_25partition_config_selectorILNS1_17partition_subalgoE9EllbEEZZNS1_14partition_implILS5_9ELb0ES3_jPKlN6thrust23THRUST_200600_302600_NS17counting_iteratorIlNSB_11use_defaultESD_SD_EEPNS0_10empty_typeENS0_5tupleIJPlSF_EEENSH_IJSI_SG_EEENS0_18inequality_wrapperIN6hipcub16HIPCUB_304000_NS8EqualityEEESI_JSF_EEE10hipError_tPvRmT3_T4_T5_T6_T7_T9_mT8_P12ihipStream_tbDpT10_ENKUlT_T0_E_clISt17integral_constantIbLb1EES18_IbLb0EEEEDaS14_S15_EUlS14_E_NS1_11comp_targetILNS1_3genE3ELNS1_11target_archE908ELNS1_3gpuE7ELNS1_3repE0EEENS1_30default_config_static_selectorELNS0_4arch9wavefront6targetE0EEEvT1_, .Lfunc_end63-_ZN7rocprim17ROCPRIM_400000_NS6detail17trampoline_kernelINS0_14default_configENS1_25partition_config_selectorILNS1_17partition_subalgoE9EllbEEZZNS1_14partition_implILS5_9ELb0ES3_jPKlN6thrust23THRUST_200600_302600_NS17counting_iteratorIlNSB_11use_defaultESD_SD_EEPNS0_10empty_typeENS0_5tupleIJPlSF_EEENSH_IJSI_SG_EEENS0_18inequality_wrapperIN6hipcub16HIPCUB_304000_NS8EqualityEEESI_JSF_EEE10hipError_tPvRmT3_T4_T5_T6_T7_T9_mT8_P12ihipStream_tbDpT10_ENKUlT_T0_E_clISt17integral_constantIbLb1EES18_IbLb0EEEEDaS14_S15_EUlS14_E_NS1_11comp_targetILNS1_3genE3ELNS1_11target_archE908ELNS1_3gpuE7ELNS1_3repE0EEENS1_30default_config_static_selectorELNS0_4arch9wavefront6targetE0EEEvT1_
                                        ; -- End function
	.set _ZN7rocprim17ROCPRIM_400000_NS6detail17trampoline_kernelINS0_14default_configENS1_25partition_config_selectorILNS1_17partition_subalgoE9EllbEEZZNS1_14partition_implILS5_9ELb0ES3_jPKlN6thrust23THRUST_200600_302600_NS17counting_iteratorIlNSB_11use_defaultESD_SD_EEPNS0_10empty_typeENS0_5tupleIJPlSF_EEENSH_IJSI_SG_EEENS0_18inequality_wrapperIN6hipcub16HIPCUB_304000_NS8EqualityEEESI_JSF_EEE10hipError_tPvRmT3_T4_T5_T6_T7_T9_mT8_P12ihipStream_tbDpT10_ENKUlT_T0_E_clISt17integral_constantIbLb1EES18_IbLb0EEEEDaS14_S15_EUlS14_E_NS1_11comp_targetILNS1_3genE3ELNS1_11target_archE908ELNS1_3gpuE7ELNS1_3repE0EEENS1_30default_config_static_selectorELNS0_4arch9wavefront6targetE0EEEvT1_.num_vgpr, 0
	.set _ZN7rocprim17ROCPRIM_400000_NS6detail17trampoline_kernelINS0_14default_configENS1_25partition_config_selectorILNS1_17partition_subalgoE9EllbEEZZNS1_14partition_implILS5_9ELb0ES3_jPKlN6thrust23THRUST_200600_302600_NS17counting_iteratorIlNSB_11use_defaultESD_SD_EEPNS0_10empty_typeENS0_5tupleIJPlSF_EEENSH_IJSI_SG_EEENS0_18inequality_wrapperIN6hipcub16HIPCUB_304000_NS8EqualityEEESI_JSF_EEE10hipError_tPvRmT3_T4_T5_T6_T7_T9_mT8_P12ihipStream_tbDpT10_ENKUlT_T0_E_clISt17integral_constantIbLb1EES18_IbLb0EEEEDaS14_S15_EUlS14_E_NS1_11comp_targetILNS1_3genE3ELNS1_11target_archE908ELNS1_3gpuE7ELNS1_3repE0EEENS1_30default_config_static_selectorELNS0_4arch9wavefront6targetE0EEEvT1_.num_agpr, 0
	.set _ZN7rocprim17ROCPRIM_400000_NS6detail17trampoline_kernelINS0_14default_configENS1_25partition_config_selectorILNS1_17partition_subalgoE9EllbEEZZNS1_14partition_implILS5_9ELb0ES3_jPKlN6thrust23THRUST_200600_302600_NS17counting_iteratorIlNSB_11use_defaultESD_SD_EEPNS0_10empty_typeENS0_5tupleIJPlSF_EEENSH_IJSI_SG_EEENS0_18inequality_wrapperIN6hipcub16HIPCUB_304000_NS8EqualityEEESI_JSF_EEE10hipError_tPvRmT3_T4_T5_T6_T7_T9_mT8_P12ihipStream_tbDpT10_ENKUlT_T0_E_clISt17integral_constantIbLb1EES18_IbLb0EEEEDaS14_S15_EUlS14_E_NS1_11comp_targetILNS1_3genE3ELNS1_11target_archE908ELNS1_3gpuE7ELNS1_3repE0EEENS1_30default_config_static_selectorELNS0_4arch9wavefront6targetE0EEEvT1_.numbered_sgpr, 0
	.set _ZN7rocprim17ROCPRIM_400000_NS6detail17trampoline_kernelINS0_14default_configENS1_25partition_config_selectorILNS1_17partition_subalgoE9EllbEEZZNS1_14partition_implILS5_9ELb0ES3_jPKlN6thrust23THRUST_200600_302600_NS17counting_iteratorIlNSB_11use_defaultESD_SD_EEPNS0_10empty_typeENS0_5tupleIJPlSF_EEENSH_IJSI_SG_EEENS0_18inequality_wrapperIN6hipcub16HIPCUB_304000_NS8EqualityEEESI_JSF_EEE10hipError_tPvRmT3_T4_T5_T6_T7_T9_mT8_P12ihipStream_tbDpT10_ENKUlT_T0_E_clISt17integral_constantIbLb1EES18_IbLb0EEEEDaS14_S15_EUlS14_E_NS1_11comp_targetILNS1_3genE3ELNS1_11target_archE908ELNS1_3gpuE7ELNS1_3repE0EEENS1_30default_config_static_selectorELNS0_4arch9wavefront6targetE0EEEvT1_.num_named_barrier, 0
	.set _ZN7rocprim17ROCPRIM_400000_NS6detail17trampoline_kernelINS0_14default_configENS1_25partition_config_selectorILNS1_17partition_subalgoE9EllbEEZZNS1_14partition_implILS5_9ELb0ES3_jPKlN6thrust23THRUST_200600_302600_NS17counting_iteratorIlNSB_11use_defaultESD_SD_EEPNS0_10empty_typeENS0_5tupleIJPlSF_EEENSH_IJSI_SG_EEENS0_18inequality_wrapperIN6hipcub16HIPCUB_304000_NS8EqualityEEESI_JSF_EEE10hipError_tPvRmT3_T4_T5_T6_T7_T9_mT8_P12ihipStream_tbDpT10_ENKUlT_T0_E_clISt17integral_constantIbLb1EES18_IbLb0EEEEDaS14_S15_EUlS14_E_NS1_11comp_targetILNS1_3genE3ELNS1_11target_archE908ELNS1_3gpuE7ELNS1_3repE0EEENS1_30default_config_static_selectorELNS0_4arch9wavefront6targetE0EEEvT1_.private_seg_size, 0
	.set _ZN7rocprim17ROCPRIM_400000_NS6detail17trampoline_kernelINS0_14default_configENS1_25partition_config_selectorILNS1_17partition_subalgoE9EllbEEZZNS1_14partition_implILS5_9ELb0ES3_jPKlN6thrust23THRUST_200600_302600_NS17counting_iteratorIlNSB_11use_defaultESD_SD_EEPNS0_10empty_typeENS0_5tupleIJPlSF_EEENSH_IJSI_SG_EEENS0_18inequality_wrapperIN6hipcub16HIPCUB_304000_NS8EqualityEEESI_JSF_EEE10hipError_tPvRmT3_T4_T5_T6_T7_T9_mT8_P12ihipStream_tbDpT10_ENKUlT_T0_E_clISt17integral_constantIbLb1EES18_IbLb0EEEEDaS14_S15_EUlS14_E_NS1_11comp_targetILNS1_3genE3ELNS1_11target_archE908ELNS1_3gpuE7ELNS1_3repE0EEENS1_30default_config_static_selectorELNS0_4arch9wavefront6targetE0EEEvT1_.uses_vcc, 0
	.set _ZN7rocprim17ROCPRIM_400000_NS6detail17trampoline_kernelINS0_14default_configENS1_25partition_config_selectorILNS1_17partition_subalgoE9EllbEEZZNS1_14partition_implILS5_9ELb0ES3_jPKlN6thrust23THRUST_200600_302600_NS17counting_iteratorIlNSB_11use_defaultESD_SD_EEPNS0_10empty_typeENS0_5tupleIJPlSF_EEENSH_IJSI_SG_EEENS0_18inequality_wrapperIN6hipcub16HIPCUB_304000_NS8EqualityEEESI_JSF_EEE10hipError_tPvRmT3_T4_T5_T6_T7_T9_mT8_P12ihipStream_tbDpT10_ENKUlT_T0_E_clISt17integral_constantIbLb1EES18_IbLb0EEEEDaS14_S15_EUlS14_E_NS1_11comp_targetILNS1_3genE3ELNS1_11target_archE908ELNS1_3gpuE7ELNS1_3repE0EEENS1_30default_config_static_selectorELNS0_4arch9wavefront6targetE0EEEvT1_.uses_flat_scratch, 0
	.set _ZN7rocprim17ROCPRIM_400000_NS6detail17trampoline_kernelINS0_14default_configENS1_25partition_config_selectorILNS1_17partition_subalgoE9EllbEEZZNS1_14partition_implILS5_9ELb0ES3_jPKlN6thrust23THRUST_200600_302600_NS17counting_iteratorIlNSB_11use_defaultESD_SD_EEPNS0_10empty_typeENS0_5tupleIJPlSF_EEENSH_IJSI_SG_EEENS0_18inequality_wrapperIN6hipcub16HIPCUB_304000_NS8EqualityEEESI_JSF_EEE10hipError_tPvRmT3_T4_T5_T6_T7_T9_mT8_P12ihipStream_tbDpT10_ENKUlT_T0_E_clISt17integral_constantIbLb1EES18_IbLb0EEEEDaS14_S15_EUlS14_E_NS1_11comp_targetILNS1_3genE3ELNS1_11target_archE908ELNS1_3gpuE7ELNS1_3repE0EEENS1_30default_config_static_selectorELNS0_4arch9wavefront6targetE0EEEvT1_.has_dyn_sized_stack, 0
	.set _ZN7rocprim17ROCPRIM_400000_NS6detail17trampoline_kernelINS0_14default_configENS1_25partition_config_selectorILNS1_17partition_subalgoE9EllbEEZZNS1_14partition_implILS5_9ELb0ES3_jPKlN6thrust23THRUST_200600_302600_NS17counting_iteratorIlNSB_11use_defaultESD_SD_EEPNS0_10empty_typeENS0_5tupleIJPlSF_EEENSH_IJSI_SG_EEENS0_18inequality_wrapperIN6hipcub16HIPCUB_304000_NS8EqualityEEESI_JSF_EEE10hipError_tPvRmT3_T4_T5_T6_T7_T9_mT8_P12ihipStream_tbDpT10_ENKUlT_T0_E_clISt17integral_constantIbLb1EES18_IbLb0EEEEDaS14_S15_EUlS14_E_NS1_11comp_targetILNS1_3genE3ELNS1_11target_archE908ELNS1_3gpuE7ELNS1_3repE0EEENS1_30default_config_static_selectorELNS0_4arch9wavefront6targetE0EEEvT1_.has_recursion, 0
	.set _ZN7rocprim17ROCPRIM_400000_NS6detail17trampoline_kernelINS0_14default_configENS1_25partition_config_selectorILNS1_17partition_subalgoE9EllbEEZZNS1_14partition_implILS5_9ELb0ES3_jPKlN6thrust23THRUST_200600_302600_NS17counting_iteratorIlNSB_11use_defaultESD_SD_EEPNS0_10empty_typeENS0_5tupleIJPlSF_EEENSH_IJSI_SG_EEENS0_18inequality_wrapperIN6hipcub16HIPCUB_304000_NS8EqualityEEESI_JSF_EEE10hipError_tPvRmT3_T4_T5_T6_T7_T9_mT8_P12ihipStream_tbDpT10_ENKUlT_T0_E_clISt17integral_constantIbLb1EES18_IbLb0EEEEDaS14_S15_EUlS14_E_NS1_11comp_targetILNS1_3genE3ELNS1_11target_archE908ELNS1_3gpuE7ELNS1_3repE0EEENS1_30default_config_static_selectorELNS0_4arch9wavefront6targetE0EEEvT1_.has_indirect_call, 0
	.section	.AMDGPU.csdata,"",@progbits
; Kernel info:
; codeLenInByte = 0
; TotalNumSgprs: 0
; NumVgprs: 0
; ScratchSize: 0
; MemoryBound: 0
; FloatMode: 240
; IeeeMode: 1
; LDSByteSize: 0 bytes/workgroup (compile time only)
; SGPRBlocks: 0
; VGPRBlocks: 0
; NumSGPRsForWavesPerEU: 1
; NumVGPRsForWavesPerEU: 1
; Occupancy: 16
; WaveLimiterHint : 0
; COMPUTE_PGM_RSRC2:SCRATCH_EN: 0
; COMPUTE_PGM_RSRC2:USER_SGPR: 2
; COMPUTE_PGM_RSRC2:TRAP_HANDLER: 0
; COMPUTE_PGM_RSRC2:TGID_X_EN: 1
; COMPUTE_PGM_RSRC2:TGID_Y_EN: 0
; COMPUTE_PGM_RSRC2:TGID_Z_EN: 0
; COMPUTE_PGM_RSRC2:TIDIG_COMP_CNT: 0
	.section	.text._ZN7rocprim17ROCPRIM_400000_NS6detail17trampoline_kernelINS0_14default_configENS1_25partition_config_selectorILNS1_17partition_subalgoE9EllbEEZZNS1_14partition_implILS5_9ELb0ES3_jPKlN6thrust23THRUST_200600_302600_NS17counting_iteratorIlNSB_11use_defaultESD_SD_EEPNS0_10empty_typeENS0_5tupleIJPlSF_EEENSH_IJSI_SG_EEENS0_18inequality_wrapperIN6hipcub16HIPCUB_304000_NS8EqualityEEESI_JSF_EEE10hipError_tPvRmT3_T4_T5_T6_T7_T9_mT8_P12ihipStream_tbDpT10_ENKUlT_T0_E_clISt17integral_constantIbLb1EES18_IbLb0EEEEDaS14_S15_EUlS14_E_NS1_11comp_targetILNS1_3genE2ELNS1_11target_archE906ELNS1_3gpuE6ELNS1_3repE0EEENS1_30default_config_static_selectorELNS0_4arch9wavefront6targetE0EEEvT1_,"axG",@progbits,_ZN7rocprim17ROCPRIM_400000_NS6detail17trampoline_kernelINS0_14default_configENS1_25partition_config_selectorILNS1_17partition_subalgoE9EllbEEZZNS1_14partition_implILS5_9ELb0ES3_jPKlN6thrust23THRUST_200600_302600_NS17counting_iteratorIlNSB_11use_defaultESD_SD_EEPNS0_10empty_typeENS0_5tupleIJPlSF_EEENSH_IJSI_SG_EEENS0_18inequality_wrapperIN6hipcub16HIPCUB_304000_NS8EqualityEEESI_JSF_EEE10hipError_tPvRmT3_T4_T5_T6_T7_T9_mT8_P12ihipStream_tbDpT10_ENKUlT_T0_E_clISt17integral_constantIbLb1EES18_IbLb0EEEEDaS14_S15_EUlS14_E_NS1_11comp_targetILNS1_3genE2ELNS1_11target_archE906ELNS1_3gpuE6ELNS1_3repE0EEENS1_30default_config_static_selectorELNS0_4arch9wavefront6targetE0EEEvT1_,comdat
	.protected	_ZN7rocprim17ROCPRIM_400000_NS6detail17trampoline_kernelINS0_14default_configENS1_25partition_config_selectorILNS1_17partition_subalgoE9EllbEEZZNS1_14partition_implILS5_9ELb0ES3_jPKlN6thrust23THRUST_200600_302600_NS17counting_iteratorIlNSB_11use_defaultESD_SD_EEPNS0_10empty_typeENS0_5tupleIJPlSF_EEENSH_IJSI_SG_EEENS0_18inequality_wrapperIN6hipcub16HIPCUB_304000_NS8EqualityEEESI_JSF_EEE10hipError_tPvRmT3_T4_T5_T6_T7_T9_mT8_P12ihipStream_tbDpT10_ENKUlT_T0_E_clISt17integral_constantIbLb1EES18_IbLb0EEEEDaS14_S15_EUlS14_E_NS1_11comp_targetILNS1_3genE2ELNS1_11target_archE906ELNS1_3gpuE6ELNS1_3repE0EEENS1_30default_config_static_selectorELNS0_4arch9wavefront6targetE0EEEvT1_ ; -- Begin function _ZN7rocprim17ROCPRIM_400000_NS6detail17trampoline_kernelINS0_14default_configENS1_25partition_config_selectorILNS1_17partition_subalgoE9EllbEEZZNS1_14partition_implILS5_9ELb0ES3_jPKlN6thrust23THRUST_200600_302600_NS17counting_iteratorIlNSB_11use_defaultESD_SD_EEPNS0_10empty_typeENS0_5tupleIJPlSF_EEENSH_IJSI_SG_EEENS0_18inequality_wrapperIN6hipcub16HIPCUB_304000_NS8EqualityEEESI_JSF_EEE10hipError_tPvRmT3_T4_T5_T6_T7_T9_mT8_P12ihipStream_tbDpT10_ENKUlT_T0_E_clISt17integral_constantIbLb1EES18_IbLb0EEEEDaS14_S15_EUlS14_E_NS1_11comp_targetILNS1_3genE2ELNS1_11target_archE906ELNS1_3gpuE6ELNS1_3repE0EEENS1_30default_config_static_selectorELNS0_4arch9wavefront6targetE0EEEvT1_
	.globl	_ZN7rocprim17ROCPRIM_400000_NS6detail17trampoline_kernelINS0_14default_configENS1_25partition_config_selectorILNS1_17partition_subalgoE9EllbEEZZNS1_14partition_implILS5_9ELb0ES3_jPKlN6thrust23THRUST_200600_302600_NS17counting_iteratorIlNSB_11use_defaultESD_SD_EEPNS0_10empty_typeENS0_5tupleIJPlSF_EEENSH_IJSI_SG_EEENS0_18inequality_wrapperIN6hipcub16HIPCUB_304000_NS8EqualityEEESI_JSF_EEE10hipError_tPvRmT3_T4_T5_T6_T7_T9_mT8_P12ihipStream_tbDpT10_ENKUlT_T0_E_clISt17integral_constantIbLb1EES18_IbLb0EEEEDaS14_S15_EUlS14_E_NS1_11comp_targetILNS1_3genE2ELNS1_11target_archE906ELNS1_3gpuE6ELNS1_3repE0EEENS1_30default_config_static_selectorELNS0_4arch9wavefront6targetE0EEEvT1_
	.p2align	8
	.type	_ZN7rocprim17ROCPRIM_400000_NS6detail17trampoline_kernelINS0_14default_configENS1_25partition_config_selectorILNS1_17partition_subalgoE9EllbEEZZNS1_14partition_implILS5_9ELb0ES3_jPKlN6thrust23THRUST_200600_302600_NS17counting_iteratorIlNSB_11use_defaultESD_SD_EEPNS0_10empty_typeENS0_5tupleIJPlSF_EEENSH_IJSI_SG_EEENS0_18inequality_wrapperIN6hipcub16HIPCUB_304000_NS8EqualityEEESI_JSF_EEE10hipError_tPvRmT3_T4_T5_T6_T7_T9_mT8_P12ihipStream_tbDpT10_ENKUlT_T0_E_clISt17integral_constantIbLb1EES18_IbLb0EEEEDaS14_S15_EUlS14_E_NS1_11comp_targetILNS1_3genE2ELNS1_11target_archE906ELNS1_3gpuE6ELNS1_3repE0EEENS1_30default_config_static_selectorELNS0_4arch9wavefront6targetE0EEEvT1_,@function
_ZN7rocprim17ROCPRIM_400000_NS6detail17trampoline_kernelINS0_14default_configENS1_25partition_config_selectorILNS1_17partition_subalgoE9EllbEEZZNS1_14partition_implILS5_9ELb0ES3_jPKlN6thrust23THRUST_200600_302600_NS17counting_iteratorIlNSB_11use_defaultESD_SD_EEPNS0_10empty_typeENS0_5tupleIJPlSF_EEENSH_IJSI_SG_EEENS0_18inequality_wrapperIN6hipcub16HIPCUB_304000_NS8EqualityEEESI_JSF_EEE10hipError_tPvRmT3_T4_T5_T6_T7_T9_mT8_P12ihipStream_tbDpT10_ENKUlT_T0_E_clISt17integral_constantIbLb1EES18_IbLb0EEEEDaS14_S15_EUlS14_E_NS1_11comp_targetILNS1_3genE2ELNS1_11target_archE906ELNS1_3gpuE6ELNS1_3repE0EEENS1_30default_config_static_selectorELNS0_4arch9wavefront6targetE0EEEvT1_: ; @_ZN7rocprim17ROCPRIM_400000_NS6detail17trampoline_kernelINS0_14default_configENS1_25partition_config_selectorILNS1_17partition_subalgoE9EllbEEZZNS1_14partition_implILS5_9ELb0ES3_jPKlN6thrust23THRUST_200600_302600_NS17counting_iteratorIlNSB_11use_defaultESD_SD_EEPNS0_10empty_typeENS0_5tupleIJPlSF_EEENSH_IJSI_SG_EEENS0_18inequality_wrapperIN6hipcub16HIPCUB_304000_NS8EqualityEEESI_JSF_EEE10hipError_tPvRmT3_T4_T5_T6_T7_T9_mT8_P12ihipStream_tbDpT10_ENKUlT_T0_E_clISt17integral_constantIbLb1EES18_IbLb0EEEEDaS14_S15_EUlS14_E_NS1_11comp_targetILNS1_3genE2ELNS1_11target_archE906ELNS1_3gpuE6ELNS1_3repE0EEENS1_30default_config_static_selectorELNS0_4arch9wavefront6targetE0EEEvT1_
; %bb.0:
	.section	.rodata,"a",@progbits
	.p2align	6, 0x0
	.amdhsa_kernel _ZN7rocprim17ROCPRIM_400000_NS6detail17trampoline_kernelINS0_14default_configENS1_25partition_config_selectorILNS1_17partition_subalgoE9EllbEEZZNS1_14partition_implILS5_9ELb0ES3_jPKlN6thrust23THRUST_200600_302600_NS17counting_iteratorIlNSB_11use_defaultESD_SD_EEPNS0_10empty_typeENS0_5tupleIJPlSF_EEENSH_IJSI_SG_EEENS0_18inequality_wrapperIN6hipcub16HIPCUB_304000_NS8EqualityEEESI_JSF_EEE10hipError_tPvRmT3_T4_T5_T6_T7_T9_mT8_P12ihipStream_tbDpT10_ENKUlT_T0_E_clISt17integral_constantIbLb1EES18_IbLb0EEEEDaS14_S15_EUlS14_E_NS1_11comp_targetILNS1_3genE2ELNS1_11target_archE906ELNS1_3gpuE6ELNS1_3repE0EEENS1_30default_config_static_selectorELNS0_4arch9wavefront6targetE0EEEvT1_
		.amdhsa_group_segment_fixed_size 0
		.amdhsa_private_segment_fixed_size 0
		.amdhsa_kernarg_size 112
		.amdhsa_user_sgpr_count 2
		.amdhsa_user_sgpr_dispatch_ptr 0
		.amdhsa_user_sgpr_queue_ptr 0
		.amdhsa_user_sgpr_kernarg_segment_ptr 1
		.amdhsa_user_sgpr_dispatch_id 0
		.amdhsa_user_sgpr_private_segment_size 0
		.amdhsa_wavefront_size32 1
		.amdhsa_uses_dynamic_stack 0
		.amdhsa_enable_private_segment 0
		.amdhsa_system_sgpr_workgroup_id_x 1
		.amdhsa_system_sgpr_workgroup_id_y 0
		.amdhsa_system_sgpr_workgroup_id_z 0
		.amdhsa_system_sgpr_workgroup_info 0
		.amdhsa_system_vgpr_workitem_id 0
		.amdhsa_next_free_vgpr 1
		.amdhsa_next_free_sgpr 1
		.amdhsa_reserve_vcc 0
		.amdhsa_float_round_mode_32 0
		.amdhsa_float_round_mode_16_64 0
		.amdhsa_float_denorm_mode_32 3
		.amdhsa_float_denorm_mode_16_64 3
		.amdhsa_fp16_overflow 0
		.amdhsa_workgroup_processor_mode 1
		.amdhsa_memory_ordered 1
		.amdhsa_forward_progress 1
		.amdhsa_inst_pref_size 0
		.amdhsa_round_robin_scheduling 0
		.amdhsa_exception_fp_ieee_invalid_op 0
		.amdhsa_exception_fp_denorm_src 0
		.amdhsa_exception_fp_ieee_div_zero 0
		.amdhsa_exception_fp_ieee_overflow 0
		.amdhsa_exception_fp_ieee_underflow 0
		.amdhsa_exception_fp_ieee_inexact 0
		.amdhsa_exception_int_div_zero 0
	.end_amdhsa_kernel
	.section	.text._ZN7rocprim17ROCPRIM_400000_NS6detail17trampoline_kernelINS0_14default_configENS1_25partition_config_selectorILNS1_17partition_subalgoE9EllbEEZZNS1_14partition_implILS5_9ELb0ES3_jPKlN6thrust23THRUST_200600_302600_NS17counting_iteratorIlNSB_11use_defaultESD_SD_EEPNS0_10empty_typeENS0_5tupleIJPlSF_EEENSH_IJSI_SG_EEENS0_18inequality_wrapperIN6hipcub16HIPCUB_304000_NS8EqualityEEESI_JSF_EEE10hipError_tPvRmT3_T4_T5_T6_T7_T9_mT8_P12ihipStream_tbDpT10_ENKUlT_T0_E_clISt17integral_constantIbLb1EES18_IbLb0EEEEDaS14_S15_EUlS14_E_NS1_11comp_targetILNS1_3genE2ELNS1_11target_archE906ELNS1_3gpuE6ELNS1_3repE0EEENS1_30default_config_static_selectorELNS0_4arch9wavefront6targetE0EEEvT1_,"axG",@progbits,_ZN7rocprim17ROCPRIM_400000_NS6detail17trampoline_kernelINS0_14default_configENS1_25partition_config_selectorILNS1_17partition_subalgoE9EllbEEZZNS1_14partition_implILS5_9ELb0ES3_jPKlN6thrust23THRUST_200600_302600_NS17counting_iteratorIlNSB_11use_defaultESD_SD_EEPNS0_10empty_typeENS0_5tupleIJPlSF_EEENSH_IJSI_SG_EEENS0_18inequality_wrapperIN6hipcub16HIPCUB_304000_NS8EqualityEEESI_JSF_EEE10hipError_tPvRmT3_T4_T5_T6_T7_T9_mT8_P12ihipStream_tbDpT10_ENKUlT_T0_E_clISt17integral_constantIbLb1EES18_IbLb0EEEEDaS14_S15_EUlS14_E_NS1_11comp_targetILNS1_3genE2ELNS1_11target_archE906ELNS1_3gpuE6ELNS1_3repE0EEENS1_30default_config_static_selectorELNS0_4arch9wavefront6targetE0EEEvT1_,comdat
.Lfunc_end64:
	.size	_ZN7rocprim17ROCPRIM_400000_NS6detail17trampoline_kernelINS0_14default_configENS1_25partition_config_selectorILNS1_17partition_subalgoE9EllbEEZZNS1_14partition_implILS5_9ELb0ES3_jPKlN6thrust23THRUST_200600_302600_NS17counting_iteratorIlNSB_11use_defaultESD_SD_EEPNS0_10empty_typeENS0_5tupleIJPlSF_EEENSH_IJSI_SG_EEENS0_18inequality_wrapperIN6hipcub16HIPCUB_304000_NS8EqualityEEESI_JSF_EEE10hipError_tPvRmT3_T4_T5_T6_T7_T9_mT8_P12ihipStream_tbDpT10_ENKUlT_T0_E_clISt17integral_constantIbLb1EES18_IbLb0EEEEDaS14_S15_EUlS14_E_NS1_11comp_targetILNS1_3genE2ELNS1_11target_archE906ELNS1_3gpuE6ELNS1_3repE0EEENS1_30default_config_static_selectorELNS0_4arch9wavefront6targetE0EEEvT1_, .Lfunc_end64-_ZN7rocprim17ROCPRIM_400000_NS6detail17trampoline_kernelINS0_14default_configENS1_25partition_config_selectorILNS1_17partition_subalgoE9EllbEEZZNS1_14partition_implILS5_9ELb0ES3_jPKlN6thrust23THRUST_200600_302600_NS17counting_iteratorIlNSB_11use_defaultESD_SD_EEPNS0_10empty_typeENS0_5tupleIJPlSF_EEENSH_IJSI_SG_EEENS0_18inequality_wrapperIN6hipcub16HIPCUB_304000_NS8EqualityEEESI_JSF_EEE10hipError_tPvRmT3_T4_T5_T6_T7_T9_mT8_P12ihipStream_tbDpT10_ENKUlT_T0_E_clISt17integral_constantIbLb1EES18_IbLb0EEEEDaS14_S15_EUlS14_E_NS1_11comp_targetILNS1_3genE2ELNS1_11target_archE906ELNS1_3gpuE6ELNS1_3repE0EEENS1_30default_config_static_selectorELNS0_4arch9wavefront6targetE0EEEvT1_
                                        ; -- End function
	.set _ZN7rocprim17ROCPRIM_400000_NS6detail17trampoline_kernelINS0_14default_configENS1_25partition_config_selectorILNS1_17partition_subalgoE9EllbEEZZNS1_14partition_implILS5_9ELb0ES3_jPKlN6thrust23THRUST_200600_302600_NS17counting_iteratorIlNSB_11use_defaultESD_SD_EEPNS0_10empty_typeENS0_5tupleIJPlSF_EEENSH_IJSI_SG_EEENS0_18inequality_wrapperIN6hipcub16HIPCUB_304000_NS8EqualityEEESI_JSF_EEE10hipError_tPvRmT3_T4_T5_T6_T7_T9_mT8_P12ihipStream_tbDpT10_ENKUlT_T0_E_clISt17integral_constantIbLb1EES18_IbLb0EEEEDaS14_S15_EUlS14_E_NS1_11comp_targetILNS1_3genE2ELNS1_11target_archE906ELNS1_3gpuE6ELNS1_3repE0EEENS1_30default_config_static_selectorELNS0_4arch9wavefront6targetE0EEEvT1_.num_vgpr, 0
	.set _ZN7rocprim17ROCPRIM_400000_NS6detail17trampoline_kernelINS0_14default_configENS1_25partition_config_selectorILNS1_17partition_subalgoE9EllbEEZZNS1_14partition_implILS5_9ELb0ES3_jPKlN6thrust23THRUST_200600_302600_NS17counting_iteratorIlNSB_11use_defaultESD_SD_EEPNS0_10empty_typeENS0_5tupleIJPlSF_EEENSH_IJSI_SG_EEENS0_18inequality_wrapperIN6hipcub16HIPCUB_304000_NS8EqualityEEESI_JSF_EEE10hipError_tPvRmT3_T4_T5_T6_T7_T9_mT8_P12ihipStream_tbDpT10_ENKUlT_T0_E_clISt17integral_constantIbLb1EES18_IbLb0EEEEDaS14_S15_EUlS14_E_NS1_11comp_targetILNS1_3genE2ELNS1_11target_archE906ELNS1_3gpuE6ELNS1_3repE0EEENS1_30default_config_static_selectorELNS0_4arch9wavefront6targetE0EEEvT1_.num_agpr, 0
	.set _ZN7rocprim17ROCPRIM_400000_NS6detail17trampoline_kernelINS0_14default_configENS1_25partition_config_selectorILNS1_17partition_subalgoE9EllbEEZZNS1_14partition_implILS5_9ELb0ES3_jPKlN6thrust23THRUST_200600_302600_NS17counting_iteratorIlNSB_11use_defaultESD_SD_EEPNS0_10empty_typeENS0_5tupleIJPlSF_EEENSH_IJSI_SG_EEENS0_18inequality_wrapperIN6hipcub16HIPCUB_304000_NS8EqualityEEESI_JSF_EEE10hipError_tPvRmT3_T4_T5_T6_T7_T9_mT8_P12ihipStream_tbDpT10_ENKUlT_T0_E_clISt17integral_constantIbLb1EES18_IbLb0EEEEDaS14_S15_EUlS14_E_NS1_11comp_targetILNS1_3genE2ELNS1_11target_archE906ELNS1_3gpuE6ELNS1_3repE0EEENS1_30default_config_static_selectorELNS0_4arch9wavefront6targetE0EEEvT1_.numbered_sgpr, 0
	.set _ZN7rocprim17ROCPRIM_400000_NS6detail17trampoline_kernelINS0_14default_configENS1_25partition_config_selectorILNS1_17partition_subalgoE9EllbEEZZNS1_14partition_implILS5_9ELb0ES3_jPKlN6thrust23THRUST_200600_302600_NS17counting_iteratorIlNSB_11use_defaultESD_SD_EEPNS0_10empty_typeENS0_5tupleIJPlSF_EEENSH_IJSI_SG_EEENS0_18inequality_wrapperIN6hipcub16HIPCUB_304000_NS8EqualityEEESI_JSF_EEE10hipError_tPvRmT3_T4_T5_T6_T7_T9_mT8_P12ihipStream_tbDpT10_ENKUlT_T0_E_clISt17integral_constantIbLb1EES18_IbLb0EEEEDaS14_S15_EUlS14_E_NS1_11comp_targetILNS1_3genE2ELNS1_11target_archE906ELNS1_3gpuE6ELNS1_3repE0EEENS1_30default_config_static_selectorELNS0_4arch9wavefront6targetE0EEEvT1_.num_named_barrier, 0
	.set _ZN7rocprim17ROCPRIM_400000_NS6detail17trampoline_kernelINS0_14default_configENS1_25partition_config_selectorILNS1_17partition_subalgoE9EllbEEZZNS1_14partition_implILS5_9ELb0ES3_jPKlN6thrust23THRUST_200600_302600_NS17counting_iteratorIlNSB_11use_defaultESD_SD_EEPNS0_10empty_typeENS0_5tupleIJPlSF_EEENSH_IJSI_SG_EEENS0_18inequality_wrapperIN6hipcub16HIPCUB_304000_NS8EqualityEEESI_JSF_EEE10hipError_tPvRmT3_T4_T5_T6_T7_T9_mT8_P12ihipStream_tbDpT10_ENKUlT_T0_E_clISt17integral_constantIbLb1EES18_IbLb0EEEEDaS14_S15_EUlS14_E_NS1_11comp_targetILNS1_3genE2ELNS1_11target_archE906ELNS1_3gpuE6ELNS1_3repE0EEENS1_30default_config_static_selectorELNS0_4arch9wavefront6targetE0EEEvT1_.private_seg_size, 0
	.set _ZN7rocprim17ROCPRIM_400000_NS6detail17trampoline_kernelINS0_14default_configENS1_25partition_config_selectorILNS1_17partition_subalgoE9EllbEEZZNS1_14partition_implILS5_9ELb0ES3_jPKlN6thrust23THRUST_200600_302600_NS17counting_iteratorIlNSB_11use_defaultESD_SD_EEPNS0_10empty_typeENS0_5tupleIJPlSF_EEENSH_IJSI_SG_EEENS0_18inequality_wrapperIN6hipcub16HIPCUB_304000_NS8EqualityEEESI_JSF_EEE10hipError_tPvRmT3_T4_T5_T6_T7_T9_mT8_P12ihipStream_tbDpT10_ENKUlT_T0_E_clISt17integral_constantIbLb1EES18_IbLb0EEEEDaS14_S15_EUlS14_E_NS1_11comp_targetILNS1_3genE2ELNS1_11target_archE906ELNS1_3gpuE6ELNS1_3repE0EEENS1_30default_config_static_selectorELNS0_4arch9wavefront6targetE0EEEvT1_.uses_vcc, 0
	.set _ZN7rocprim17ROCPRIM_400000_NS6detail17trampoline_kernelINS0_14default_configENS1_25partition_config_selectorILNS1_17partition_subalgoE9EllbEEZZNS1_14partition_implILS5_9ELb0ES3_jPKlN6thrust23THRUST_200600_302600_NS17counting_iteratorIlNSB_11use_defaultESD_SD_EEPNS0_10empty_typeENS0_5tupleIJPlSF_EEENSH_IJSI_SG_EEENS0_18inequality_wrapperIN6hipcub16HIPCUB_304000_NS8EqualityEEESI_JSF_EEE10hipError_tPvRmT3_T4_T5_T6_T7_T9_mT8_P12ihipStream_tbDpT10_ENKUlT_T0_E_clISt17integral_constantIbLb1EES18_IbLb0EEEEDaS14_S15_EUlS14_E_NS1_11comp_targetILNS1_3genE2ELNS1_11target_archE906ELNS1_3gpuE6ELNS1_3repE0EEENS1_30default_config_static_selectorELNS0_4arch9wavefront6targetE0EEEvT1_.uses_flat_scratch, 0
	.set _ZN7rocprim17ROCPRIM_400000_NS6detail17trampoline_kernelINS0_14default_configENS1_25partition_config_selectorILNS1_17partition_subalgoE9EllbEEZZNS1_14partition_implILS5_9ELb0ES3_jPKlN6thrust23THRUST_200600_302600_NS17counting_iteratorIlNSB_11use_defaultESD_SD_EEPNS0_10empty_typeENS0_5tupleIJPlSF_EEENSH_IJSI_SG_EEENS0_18inequality_wrapperIN6hipcub16HIPCUB_304000_NS8EqualityEEESI_JSF_EEE10hipError_tPvRmT3_T4_T5_T6_T7_T9_mT8_P12ihipStream_tbDpT10_ENKUlT_T0_E_clISt17integral_constantIbLb1EES18_IbLb0EEEEDaS14_S15_EUlS14_E_NS1_11comp_targetILNS1_3genE2ELNS1_11target_archE906ELNS1_3gpuE6ELNS1_3repE0EEENS1_30default_config_static_selectorELNS0_4arch9wavefront6targetE0EEEvT1_.has_dyn_sized_stack, 0
	.set _ZN7rocprim17ROCPRIM_400000_NS6detail17trampoline_kernelINS0_14default_configENS1_25partition_config_selectorILNS1_17partition_subalgoE9EllbEEZZNS1_14partition_implILS5_9ELb0ES3_jPKlN6thrust23THRUST_200600_302600_NS17counting_iteratorIlNSB_11use_defaultESD_SD_EEPNS0_10empty_typeENS0_5tupleIJPlSF_EEENSH_IJSI_SG_EEENS0_18inequality_wrapperIN6hipcub16HIPCUB_304000_NS8EqualityEEESI_JSF_EEE10hipError_tPvRmT3_T4_T5_T6_T7_T9_mT8_P12ihipStream_tbDpT10_ENKUlT_T0_E_clISt17integral_constantIbLb1EES18_IbLb0EEEEDaS14_S15_EUlS14_E_NS1_11comp_targetILNS1_3genE2ELNS1_11target_archE906ELNS1_3gpuE6ELNS1_3repE0EEENS1_30default_config_static_selectorELNS0_4arch9wavefront6targetE0EEEvT1_.has_recursion, 0
	.set _ZN7rocprim17ROCPRIM_400000_NS6detail17trampoline_kernelINS0_14default_configENS1_25partition_config_selectorILNS1_17partition_subalgoE9EllbEEZZNS1_14partition_implILS5_9ELb0ES3_jPKlN6thrust23THRUST_200600_302600_NS17counting_iteratorIlNSB_11use_defaultESD_SD_EEPNS0_10empty_typeENS0_5tupleIJPlSF_EEENSH_IJSI_SG_EEENS0_18inequality_wrapperIN6hipcub16HIPCUB_304000_NS8EqualityEEESI_JSF_EEE10hipError_tPvRmT3_T4_T5_T6_T7_T9_mT8_P12ihipStream_tbDpT10_ENKUlT_T0_E_clISt17integral_constantIbLb1EES18_IbLb0EEEEDaS14_S15_EUlS14_E_NS1_11comp_targetILNS1_3genE2ELNS1_11target_archE906ELNS1_3gpuE6ELNS1_3repE0EEENS1_30default_config_static_selectorELNS0_4arch9wavefront6targetE0EEEvT1_.has_indirect_call, 0
	.section	.AMDGPU.csdata,"",@progbits
; Kernel info:
; codeLenInByte = 0
; TotalNumSgprs: 0
; NumVgprs: 0
; ScratchSize: 0
; MemoryBound: 0
; FloatMode: 240
; IeeeMode: 1
; LDSByteSize: 0 bytes/workgroup (compile time only)
; SGPRBlocks: 0
; VGPRBlocks: 0
; NumSGPRsForWavesPerEU: 1
; NumVGPRsForWavesPerEU: 1
; Occupancy: 16
; WaveLimiterHint : 0
; COMPUTE_PGM_RSRC2:SCRATCH_EN: 0
; COMPUTE_PGM_RSRC2:USER_SGPR: 2
; COMPUTE_PGM_RSRC2:TRAP_HANDLER: 0
; COMPUTE_PGM_RSRC2:TGID_X_EN: 1
; COMPUTE_PGM_RSRC2:TGID_Y_EN: 0
; COMPUTE_PGM_RSRC2:TGID_Z_EN: 0
; COMPUTE_PGM_RSRC2:TIDIG_COMP_CNT: 0
	.section	.text._ZN7rocprim17ROCPRIM_400000_NS6detail17trampoline_kernelINS0_14default_configENS1_25partition_config_selectorILNS1_17partition_subalgoE9EllbEEZZNS1_14partition_implILS5_9ELb0ES3_jPKlN6thrust23THRUST_200600_302600_NS17counting_iteratorIlNSB_11use_defaultESD_SD_EEPNS0_10empty_typeENS0_5tupleIJPlSF_EEENSH_IJSI_SG_EEENS0_18inequality_wrapperIN6hipcub16HIPCUB_304000_NS8EqualityEEESI_JSF_EEE10hipError_tPvRmT3_T4_T5_T6_T7_T9_mT8_P12ihipStream_tbDpT10_ENKUlT_T0_E_clISt17integral_constantIbLb1EES18_IbLb0EEEEDaS14_S15_EUlS14_E_NS1_11comp_targetILNS1_3genE10ELNS1_11target_archE1200ELNS1_3gpuE4ELNS1_3repE0EEENS1_30default_config_static_selectorELNS0_4arch9wavefront6targetE0EEEvT1_,"axG",@progbits,_ZN7rocprim17ROCPRIM_400000_NS6detail17trampoline_kernelINS0_14default_configENS1_25partition_config_selectorILNS1_17partition_subalgoE9EllbEEZZNS1_14partition_implILS5_9ELb0ES3_jPKlN6thrust23THRUST_200600_302600_NS17counting_iteratorIlNSB_11use_defaultESD_SD_EEPNS0_10empty_typeENS0_5tupleIJPlSF_EEENSH_IJSI_SG_EEENS0_18inequality_wrapperIN6hipcub16HIPCUB_304000_NS8EqualityEEESI_JSF_EEE10hipError_tPvRmT3_T4_T5_T6_T7_T9_mT8_P12ihipStream_tbDpT10_ENKUlT_T0_E_clISt17integral_constantIbLb1EES18_IbLb0EEEEDaS14_S15_EUlS14_E_NS1_11comp_targetILNS1_3genE10ELNS1_11target_archE1200ELNS1_3gpuE4ELNS1_3repE0EEENS1_30default_config_static_selectorELNS0_4arch9wavefront6targetE0EEEvT1_,comdat
	.protected	_ZN7rocprim17ROCPRIM_400000_NS6detail17trampoline_kernelINS0_14default_configENS1_25partition_config_selectorILNS1_17partition_subalgoE9EllbEEZZNS1_14partition_implILS5_9ELb0ES3_jPKlN6thrust23THRUST_200600_302600_NS17counting_iteratorIlNSB_11use_defaultESD_SD_EEPNS0_10empty_typeENS0_5tupleIJPlSF_EEENSH_IJSI_SG_EEENS0_18inequality_wrapperIN6hipcub16HIPCUB_304000_NS8EqualityEEESI_JSF_EEE10hipError_tPvRmT3_T4_T5_T6_T7_T9_mT8_P12ihipStream_tbDpT10_ENKUlT_T0_E_clISt17integral_constantIbLb1EES18_IbLb0EEEEDaS14_S15_EUlS14_E_NS1_11comp_targetILNS1_3genE10ELNS1_11target_archE1200ELNS1_3gpuE4ELNS1_3repE0EEENS1_30default_config_static_selectorELNS0_4arch9wavefront6targetE0EEEvT1_ ; -- Begin function _ZN7rocprim17ROCPRIM_400000_NS6detail17trampoline_kernelINS0_14default_configENS1_25partition_config_selectorILNS1_17partition_subalgoE9EllbEEZZNS1_14partition_implILS5_9ELb0ES3_jPKlN6thrust23THRUST_200600_302600_NS17counting_iteratorIlNSB_11use_defaultESD_SD_EEPNS0_10empty_typeENS0_5tupleIJPlSF_EEENSH_IJSI_SG_EEENS0_18inequality_wrapperIN6hipcub16HIPCUB_304000_NS8EqualityEEESI_JSF_EEE10hipError_tPvRmT3_T4_T5_T6_T7_T9_mT8_P12ihipStream_tbDpT10_ENKUlT_T0_E_clISt17integral_constantIbLb1EES18_IbLb0EEEEDaS14_S15_EUlS14_E_NS1_11comp_targetILNS1_3genE10ELNS1_11target_archE1200ELNS1_3gpuE4ELNS1_3repE0EEENS1_30default_config_static_selectorELNS0_4arch9wavefront6targetE0EEEvT1_
	.globl	_ZN7rocprim17ROCPRIM_400000_NS6detail17trampoline_kernelINS0_14default_configENS1_25partition_config_selectorILNS1_17partition_subalgoE9EllbEEZZNS1_14partition_implILS5_9ELb0ES3_jPKlN6thrust23THRUST_200600_302600_NS17counting_iteratorIlNSB_11use_defaultESD_SD_EEPNS0_10empty_typeENS0_5tupleIJPlSF_EEENSH_IJSI_SG_EEENS0_18inequality_wrapperIN6hipcub16HIPCUB_304000_NS8EqualityEEESI_JSF_EEE10hipError_tPvRmT3_T4_T5_T6_T7_T9_mT8_P12ihipStream_tbDpT10_ENKUlT_T0_E_clISt17integral_constantIbLb1EES18_IbLb0EEEEDaS14_S15_EUlS14_E_NS1_11comp_targetILNS1_3genE10ELNS1_11target_archE1200ELNS1_3gpuE4ELNS1_3repE0EEENS1_30default_config_static_selectorELNS0_4arch9wavefront6targetE0EEEvT1_
	.p2align	8
	.type	_ZN7rocprim17ROCPRIM_400000_NS6detail17trampoline_kernelINS0_14default_configENS1_25partition_config_selectorILNS1_17partition_subalgoE9EllbEEZZNS1_14partition_implILS5_9ELb0ES3_jPKlN6thrust23THRUST_200600_302600_NS17counting_iteratorIlNSB_11use_defaultESD_SD_EEPNS0_10empty_typeENS0_5tupleIJPlSF_EEENSH_IJSI_SG_EEENS0_18inequality_wrapperIN6hipcub16HIPCUB_304000_NS8EqualityEEESI_JSF_EEE10hipError_tPvRmT3_T4_T5_T6_T7_T9_mT8_P12ihipStream_tbDpT10_ENKUlT_T0_E_clISt17integral_constantIbLb1EES18_IbLb0EEEEDaS14_S15_EUlS14_E_NS1_11comp_targetILNS1_3genE10ELNS1_11target_archE1200ELNS1_3gpuE4ELNS1_3repE0EEENS1_30default_config_static_selectorELNS0_4arch9wavefront6targetE0EEEvT1_,@function
_ZN7rocprim17ROCPRIM_400000_NS6detail17trampoline_kernelINS0_14default_configENS1_25partition_config_selectorILNS1_17partition_subalgoE9EllbEEZZNS1_14partition_implILS5_9ELb0ES3_jPKlN6thrust23THRUST_200600_302600_NS17counting_iteratorIlNSB_11use_defaultESD_SD_EEPNS0_10empty_typeENS0_5tupleIJPlSF_EEENSH_IJSI_SG_EEENS0_18inequality_wrapperIN6hipcub16HIPCUB_304000_NS8EqualityEEESI_JSF_EEE10hipError_tPvRmT3_T4_T5_T6_T7_T9_mT8_P12ihipStream_tbDpT10_ENKUlT_T0_E_clISt17integral_constantIbLb1EES18_IbLb0EEEEDaS14_S15_EUlS14_E_NS1_11comp_targetILNS1_3genE10ELNS1_11target_archE1200ELNS1_3gpuE4ELNS1_3repE0EEENS1_30default_config_static_selectorELNS0_4arch9wavefront6targetE0EEEvT1_: ; @_ZN7rocprim17ROCPRIM_400000_NS6detail17trampoline_kernelINS0_14default_configENS1_25partition_config_selectorILNS1_17partition_subalgoE9EllbEEZZNS1_14partition_implILS5_9ELb0ES3_jPKlN6thrust23THRUST_200600_302600_NS17counting_iteratorIlNSB_11use_defaultESD_SD_EEPNS0_10empty_typeENS0_5tupleIJPlSF_EEENSH_IJSI_SG_EEENS0_18inequality_wrapperIN6hipcub16HIPCUB_304000_NS8EqualityEEESI_JSF_EEE10hipError_tPvRmT3_T4_T5_T6_T7_T9_mT8_P12ihipStream_tbDpT10_ENKUlT_T0_E_clISt17integral_constantIbLb1EES18_IbLb0EEEEDaS14_S15_EUlS14_E_NS1_11comp_targetILNS1_3genE10ELNS1_11target_archE1200ELNS1_3gpuE4ELNS1_3repE0EEENS1_30default_config_static_selectorELNS0_4arch9wavefront6targetE0EEEvT1_
; %bb.0:
	s_endpgm
	.section	.rodata,"a",@progbits
	.p2align	6, 0x0
	.amdhsa_kernel _ZN7rocprim17ROCPRIM_400000_NS6detail17trampoline_kernelINS0_14default_configENS1_25partition_config_selectorILNS1_17partition_subalgoE9EllbEEZZNS1_14partition_implILS5_9ELb0ES3_jPKlN6thrust23THRUST_200600_302600_NS17counting_iteratorIlNSB_11use_defaultESD_SD_EEPNS0_10empty_typeENS0_5tupleIJPlSF_EEENSH_IJSI_SG_EEENS0_18inequality_wrapperIN6hipcub16HIPCUB_304000_NS8EqualityEEESI_JSF_EEE10hipError_tPvRmT3_T4_T5_T6_T7_T9_mT8_P12ihipStream_tbDpT10_ENKUlT_T0_E_clISt17integral_constantIbLb1EES18_IbLb0EEEEDaS14_S15_EUlS14_E_NS1_11comp_targetILNS1_3genE10ELNS1_11target_archE1200ELNS1_3gpuE4ELNS1_3repE0EEENS1_30default_config_static_selectorELNS0_4arch9wavefront6targetE0EEEvT1_
		.amdhsa_group_segment_fixed_size 0
		.amdhsa_private_segment_fixed_size 0
		.amdhsa_kernarg_size 112
		.amdhsa_user_sgpr_count 2
		.amdhsa_user_sgpr_dispatch_ptr 0
		.amdhsa_user_sgpr_queue_ptr 0
		.amdhsa_user_sgpr_kernarg_segment_ptr 1
		.amdhsa_user_sgpr_dispatch_id 0
		.amdhsa_user_sgpr_private_segment_size 0
		.amdhsa_wavefront_size32 1
		.amdhsa_uses_dynamic_stack 0
		.amdhsa_enable_private_segment 0
		.amdhsa_system_sgpr_workgroup_id_x 1
		.amdhsa_system_sgpr_workgroup_id_y 0
		.amdhsa_system_sgpr_workgroup_id_z 0
		.amdhsa_system_sgpr_workgroup_info 0
		.amdhsa_system_vgpr_workitem_id 0
		.amdhsa_next_free_vgpr 1
		.amdhsa_next_free_sgpr 1
		.amdhsa_reserve_vcc 0
		.amdhsa_float_round_mode_32 0
		.amdhsa_float_round_mode_16_64 0
		.amdhsa_float_denorm_mode_32 3
		.amdhsa_float_denorm_mode_16_64 3
		.amdhsa_fp16_overflow 0
		.amdhsa_workgroup_processor_mode 1
		.amdhsa_memory_ordered 1
		.amdhsa_forward_progress 1
		.amdhsa_inst_pref_size 1
		.amdhsa_round_robin_scheduling 0
		.amdhsa_exception_fp_ieee_invalid_op 0
		.amdhsa_exception_fp_denorm_src 0
		.amdhsa_exception_fp_ieee_div_zero 0
		.amdhsa_exception_fp_ieee_overflow 0
		.amdhsa_exception_fp_ieee_underflow 0
		.amdhsa_exception_fp_ieee_inexact 0
		.amdhsa_exception_int_div_zero 0
	.end_amdhsa_kernel
	.section	.text._ZN7rocprim17ROCPRIM_400000_NS6detail17trampoline_kernelINS0_14default_configENS1_25partition_config_selectorILNS1_17partition_subalgoE9EllbEEZZNS1_14partition_implILS5_9ELb0ES3_jPKlN6thrust23THRUST_200600_302600_NS17counting_iteratorIlNSB_11use_defaultESD_SD_EEPNS0_10empty_typeENS0_5tupleIJPlSF_EEENSH_IJSI_SG_EEENS0_18inequality_wrapperIN6hipcub16HIPCUB_304000_NS8EqualityEEESI_JSF_EEE10hipError_tPvRmT3_T4_T5_T6_T7_T9_mT8_P12ihipStream_tbDpT10_ENKUlT_T0_E_clISt17integral_constantIbLb1EES18_IbLb0EEEEDaS14_S15_EUlS14_E_NS1_11comp_targetILNS1_3genE10ELNS1_11target_archE1200ELNS1_3gpuE4ELNS1_3repE0EEENS1_30default_config_static_selectorELNS0_4arch9wavefront6targetE0EEEvT1_,"axG",@progbits,_ZN7rocprim17ROCPRIM_400000_NS6detail17trampoline_kernelINS0_14default_configENS1_25partition_config_selectorILNS1_17partition_subalgoE9EllbEEZZNS1_14partition_implILS5_9ELb0ES3_jPKlN6thrust23THRUST_200600_302600_NS17counting_iteratorIlNSB_11use_defaultESD_SD_EEPNS0_10empty_typeENS0_5tupleIJPlSF_EEENSH_IJSI_SG_EEENS0_18inequality_wrapperIN6hipcub16HIPCUB_304000_NS8EqualityEEESI_JSF_EEE10hipError_tPvRmT3_T4_T5_T6_T7_T9_mT8_P12ihipStream_tbDpT10_ENKUlT_T0_E_clISt17integral_constantIbLb1EES18_IbLb0EEEEDaS14_S15_EUlS14_E_NS1_11comp_targetILNS1_3genE10ELNS1_11target_archE1200ELNS1_3gpuE4ELNS1_3repE0EEENS1_30default_config_static_selectorELNS0_4arch9wavefront6targetE0EEEvT1_,comdat
.Lfunc_end65:
	.size	_ZN7rocprim17ROCPRIM_400000_NS6detail17trampoline_kernelINS0_14default_configENS1_25partition_config_selectorILNS1_17partition_subalgoE9EllbEEZZNS1_14partition_implILS5_9ELb0ES3_jPKlN6thrust23THRUST_200600_302600_NS17counting_iteratorIlNSB_11use_defaultESD_SD_EEPNS0_10empty_typeENS0_5tupleIJPlSF_EEENSH_IJSI_SG_EEENS0_18inequality_wrapperIN6hipcub16HIPCUB_304000_NS8EqualityEEESI_JSF_EEE10hipError_tPvRmT3_T4_T5_T6_T7_T9_mT8_P12ihipStream_tbDpT10_ENKUlT_T0_E_clISt17integral_constantIbLb1EES18_IbLb0EEEEDaS14_S15_EUlS14_E_NS1_11comp_targetILNS1_3genE10ELNS1_11target_archE1200ELNS1_3gpuE4ELNS1_3repE0EEENS1_30default_config_static_selectorELNS0_4arch9wavefront6targetE0EEEvT1_, .Lfunc_end65-_ZN7rocprim17ROCPRIM_400000_NS6detail17trampoline_kernelINS0_14default_configENS1_25partition_config_selectorILNS1_17partition_subalgoE9EllbEEZZNS1_14partition_implILS5_9ELb0ES3_jPKlN6thrust23THRUST_200600_302600_NS17counting_iteratorIlNSB_11use_defaultESD_SD_EEPNS0_10empty_typeENS0_5tupleIJPlSF_EEENSH_IJSI_SG_EEENS0_18inequality_wrapperIN6hipcub16HIPCUB_304000_NS8EqualityEEESI_JSF_EEE10hipError_tPvRmT3_T4_T5_T6_T7_T9_mT8_P12ihipStream_tbDpT10_ENKUlT_T0_E_clISt17integral_constantIbLb1EES18_IbLb0EEEEDaS14_S15_EUlS14_E_NS1_11comp_targetILNS1_3genE10ELNS1_11target_archE1200ELNS1_3gpuE4ELNS1_3repE0EEENS1_30default_config_static_selectorELNS0_4arch9wavefront6targetE0EEEvT1_
                                        ; -- End function
	.set _ZN7rocprim17ROCPRIM_400000_NS6detail17trampoline_kernelINS0_14default_configENS1_25partition_config_selectorILNS1_17partition_subalgoE9EllbEEZZNS1_14partition_implILS5_9ELb0ES3_jPKlN6thrust23THRUST_200600_302600_NS17counting_iteratorIlNSB_11use_defaultESD_SD_EEPNS0_10empty_typeENS0_5tupleIJPlSF_EEENSH_IJSI_SG_EEENS0_18inequality_wrapperIN6hipcub16HIPCUB_304000_NS8EqualityEEESI_JSF_EEE10hipError_tPvRmT3_T4_T5_T6_T7_T9_mT8_P12ihipStream_tbDpT10_ENKUlT_T0_E_clISt17integral_constantIbLb1EES18_IbLb0EEEEDaS14_S15_EUlS14_E_NS1_11comp_targetILNS1_3genE10ELNS1_11target_archE1200ELNS1_3gpuE4ELNS1_3repE0EEENS1_30default_config_static_selectorELNS0_4arch9wavefront6targetE0EEEvT1_.num_vgpr, 0
	.set _ZN7rocprim17ROCPRIM_400000_NS6detail17trampoline_kernelINS0_14default_configENS1_25partition_config_selectorILNS1_17partition_subalgoE9EllbEEZZNS1_14partition_implILS5_9ELb0ES3_jPKlN6thrust23THRUST_200600_302600_NS17counting_iteratorIlNSB_11use_defaultESD_SD_EEPNS0_10empty_typeENS0_5tupleIJPlSF_EEENSH_IJSI_SG_EEENS0_18inequality_wrapperIN6hipcub16HIPCUB_304000_NS8EqualityEEESI_JSF_EEE10hipError_tPvRmT3_T4_T5_T6_T7_T9_mT8_P12ihipStream_tbDpT10_ENKUlT_T0_E_clISt17integral_constantIbLb1EES18_IbLb0EEEEDaS14_S15_EUlS14_E_NS1_11comp_targetILNS1_3genE10ELNS1_11target_archE1200ELNS1_3gpuE4ELNS1_3repE0EEENS1_30default_config_static_selectorELNS0_4arch9wavefront6targetE0EEEvT1_.num_agpr, 0
	.set _ZN7rocprim17ROCPRIM_400000_NS6detail17trampoline_kernelINS0_14default_configENS1_25partition_config_selectorILNS1_17partition_subalgoE9EllbEEZZNS1_14partition_implILS5_9ELb0ES3_jPKlN6thrust23THRUST_200600_302600_NS17counting_iteratorIlNSB_11use_defaultESD_SD_EEPNS0_10empty_typeENS0_5tupleIJPlSF_EEENSH_IJSI_SG_EEENS0_18inequality_wrapperIN6hipcub16HIPCUB_304000_NS8EqualityEEESI_JSF_EEE10hipError_tPvRmT3_T4_T5_T6_T7_T9_mT8_P12ihipStream_tbDpT10_ENKUlT_T0_E_clISt17integral_constantIbLb1EES18_IbLb0EEEEDaS14_S15_EUlS14_E_NS1_11comp_targetILNS1_3genE10ELNS1_11target_archE1200ELNS1_3gpuE4ELNS1_3repE0EEENS1_30default_config_static_selectorELNS0_4arch9wavefront6targetE0EEEvT1_.numbered_sgpr, 0
	.set _ZN7rocprim17ROCPRIM_400000_NS6detail17trampoline_kernelINS0_14default_configENS1_25partition_config_selectorILNS1_17partition_subalgoE9EllbEEZZNS1_14partition_implILS5_9ELb0ES3_jPKlN6thrust23THRUST_200600_302600_NS17counting_iteratorIlNSB_11use_defaultESD_SD_EEPNS0_10empty_typeENS0_5tupleIJPlSF_EEENSH_IJSI_SG_EEENS0_18inequality_wrapperIN6hipcub16HIPCUB_304000_NS8EqualityEEESI_JSF_EEE10hipError_tPvRmT3_T4_T5_T6_T7_T9_mT8_P12ihipStream_tbDpT10_ENKUlT_T0_E_clISt17integral_constantIbLb1EES18_IbLb0EEEEDaS14_S15_EUlS14_E_NS1_11comp_targetILNS1_3genE10ELNS1_11target_archE1200ELNS1_3gpuE4ELNS1_3repE0EEENS1_30default_config_static_selectorELNS0_4arch9wavefront6targetE0EEEvT1_.num_named_barrier, 0
	.set _ZN7rocprim17ROCPRIM_400000_NS6detail17trampoline_kernelINS0_14default_configENS1_25partition_config_selectorILNS1_17partition_subalgoE9EllbEEZZNS1_14partition_implILS5_9ELb0ES3_jPKlN6thrust23THRUST_200600_302600_NS17counting_iteratorIlNSB_11use_defaultESD_SD_EEPNS0_10empty_typeENS0_5tupleIJPlSF_EEENSH_IJSI_SG_EEENS0_18inequality_wrapperIN6hipcub16HIPCUB_304000_NS8EqualityEEESI_JSF_EEE10hipError_tPvRmT3_T4_T5_T6_T7_T9_mT8_P12ihipStream_tbDpT10_ENKUlT_T0_E_clISt17integral_constantIbLb1EES18_IbLb0EEEEDaS14_S15_EUlS14_E_NS1_11comp_targetILNS1_3genE10ELNS1_11target_archE1200ELNS1_3gpuE4ELNS1_3repE0EEENS1_30default_config_static_selectorELNS0_4arch9wavefront6targetE0EEEvT1_.private_seg_size, 0
	.set _ZN7rocprim17ROCPRIM_400000_NS6detail17trampoline_kernelINS0_14default_configENS1_25partition_config_selectorILNS1_17partition_subalgoE9EllbEEZZNS1_14partition_implILS5_9ELb0ES3_jPKlN6thrust23THRUST_200600_302600_NS17counting_iteratorIlNSB_11use_defaultESD_SD_EEPNS0_10empty_typeENS0_5tupleIJPlSF_EEENSH_IJSI_SG_EEENS0_18inequality_wrapperIN6hipcub16HIPCUB_304000_NS8EqualityEEESI_JSF_EEE10hipError_tPvRmT3_T4_T5_T6_T7_T9_mT8_P12ihipStream_tbDpT10_ENKUlT_T0_E_clISt17integral_constantIbLb1EES18_IbLb0EEEEDaS14_S15_EUlS14_E_NS1_11comp_targetILNS1_3genE10ELNS1_11target_archE1200ELNS1_3gpuE4ELNS1_3repE0EEENS1_30default_config_static_selectorELNS0_4arch9wavefront6targetE0EEEvT1_.uses_vcc, 0
	.set _ZN7rocprim17ROCPRIM_400000_NS6detail17trampoline_kernelINS0_14default_configENS1_25partition_config_selectorILNS1_17partition_subalgoE9EllbEEZZNS1_14partition_implILS5_9ELb0ES3_jPKlN6thrust23THRUST_200600_302600_NS17counting_iteratorIlNSB_11use_defaultESD_SD_EEPNS0_10empty_typeENS0_5tupleIJPlSF_EEENSH_IJSI_SG_EEENS0_18inequality_wrapperIN6hipcub16HIPCUB_304000_NS8EqualityEEESI_JSF_EEE10hipError_tPvRmT3_T4_T5_T6_T7_T9_mT8_P12ihipStream_tbDpT10_ENKUlT_T0_E_clISt17integral_constantIbLb1EES18_IbLb0EEEEDaS14_S15_EUlS14_E_NS1_11comp_targetILNS1_3genE10ELNS1_11target_archE1200ELNS1_3gpuE4ELNS1_3repE0EEENS1_30default_config_static_selectorELNS0_4arch9wavefront6targetE0EEEvT1_.uses_flat_scratch, 0
	.set _ZN7rocprim17ROCPRIM_400000_NS6detail17trampoline_kernelINS0_14default_configENS1_25partition_config_selectorILNS1_17partition_subalgoE9EllbEEZZNS1_14partition_implILS5_9ELb0ES3_jPKlN6thrust23THRUST_200600_302600_NS17counting_iteratorIlNSB_11use_defaultESD_SD_EEPNS0_10empty_typeENS0_5tupleIJPlSF_EEENSH_IJSI_SG_EEENS0_18inequality_wrapperIN6hipcub16HIPCUB_304000_NS8EqualityEEESI_JSF_EEE10hipError_tPvRmT3_T4_T5_T6_T7_T9_mT8_P12ihipStream_tbDpT10_ENKUlT_T0_E_clISt17integral_constantIbLb1EES18_IbLb0EEEEDaS14_S15_EUlS14_E_NS1_11comp_targetILNS1_3genE10ELNS1_11target_archE1200ELNS1_3gpuE4ELNS1_3repE0EEENS1_30default_config_static_selectorELNS0_4arch9wavefront6targetE0EEEvT1_.has_dyn_sized_stack, 0
	.set _ZN7rocprim17ROCPRIM_400000_NS6detail17trampoline_kernelINS0_14default_configENS1_25partition_config_selectorILNS1_17partition_subalgoE9EllbEEZZNS1_14partition_implILS5_9ELb0ES3_jPKlN6thrust23THRUST_200600_302600_NS17counting_iteratorIlNSB_11use_defaultESD_SD_EEPNS0_10empty_typeENS0_5tupleIJPlSF_EEENSH_IJSI_SG_EEENS0_18inequality_wrapperIN6hipcub16HIPCUB_304000_NS8EqualityEEESI_JSF_EEE10hipError_tPvRmT3_T4_T5_T6_T7_T9_mT8_P12ihipStream_tbDpT10_ENKUlT_T0_E_clISt17integral_constantIbLb1EES18_IbLb0EEEEDaS14_S15_EUlS14_E_NS1_11comp_targetILNS1_3genE10ELNS1_11target_archE1200ELNS1_3gpuE4ELNS1_3repE0EEENS1_30default_config_static_selectorELNS0_4arch9wavefront6targetE0EEEvT1_.has_recursion, 0
	.set _ZN7rocprim17ROCPRIM_400000_NS6detail17trampoline_kernelINS0_14default_configENS1_25partition_config_selectorILNS1_17partition_subalgoE9EllbEEZZNS1_14partition_implILS5_9ELb0ES3_jPKlN6thrust23THRUST_200600_302600_NS17counting_iteratorIlNSB_11use_defaultESD_SD_EEPNS0_10empty_typeENS0_5tupleIJPlSF_EEENSH_IJSI_SG_EEENS0_18inequality_wrapperIN6hipcub16HIPCUB_304000_NS8EqualityEEESI_JSF_EEE10hipError_tPvRmT3_T4_T5_T6_T7_T9_mT8_P12ihipStream_tbDpT10_ENKUlT_T0_E_clISt17integral_constantIbLb1EES18_IbLb0EEEEDaS14_S15_EUlS14_E_NS1_11comp_targetILNS1_3genE10ELNS1_11target_archE1200ELNS1_3gpuE4ELNS1_3repE0EEENS1_30default_config_static_selectorELNS0_4arch9wavefront6targetE0EEEvT1_.has_indirect_call, 0
	.section	.AMDGPU.csdata,"",@progbits
; Kernel info:
; codeLenInByte = 4
; TotalNumSgprs: 0
; NumVgprs: 0
; ScratchSize: 0
; MemoryBound: 0
; FloatMode: 240
; IeeeMode: 1
; LDSByteSize: 0 bytes/workgroup (compile time only)
; SGPRBlocks: 0
; VGPRBlocks: 0
; NumSGPRsForWavesPerEU: 1
; NumVGPRsForWavesPerEU: 1
; Occupancy: 16
; WaveLimiterHint : 0
; COMPUTE_PGM_RSRC2:SCRATCH_EN: 0
; COMPUTE_PGM_RSRC2:USER_SGPR: 2
; COMPUTE_PGM_RSRC2:TRAP_HANDLER: 0
; COMPUTE_PGM_RSRC2:TGID_X_EN: 1
; COMPUTE_PGM_RSRC2:TGID_Y_EN: 0
; COMPUTE_PGM_RSRC2:TGID_Z_EN: 0
; COMPUTE_PGM_RSRC2:TIDIG_COMP_CNT: 0
	.section	.text._ZN7rocprim17ROCPRIM_400000_NS6detail17trampoline_kernelINS0_14default_configENS1_25partition_config_selectorILNS1_17partition_subalgoE9EllbEEZZNS1_14partition_implILS5_9ELb0ES3_jPKlN6thrust23THRUST_200600_302600_NS17counting_iteratorIlNSB_11use_defaultESD_SD_EEPNS0_10empty_typeENS0_5tupleIJPlSF_EEENSH_IJSI_SG_EEENS0_18inequality_wrapperIN6hipcub16HIPCUB_304000_NS8EqualityEEESI_JSF_EEE10hipError_tPvRmT3_T4_T5_T6_T7_T9_mT8_P12ihipStream_tbDpT10_ENKUlT_T0_E_clISt17integral_constantIbLb1EES18_IbLb0EEEEDaS14_S15_EUlS14_E_NS1_11comp_targetILNS1_3genE9ELNS1_11target_archE1100ELNS1_3gpuE3ELNS1_3repE0EEENS1_30default_config_static_selectorELNS0_4arch9wavefront6targetE0EEEvT1_,"axG",@progbits,_ZN7rocprim17ROCPRIM_400000_NS6detail17trampoline_kernelINS0_14default_configENS1_25partition_config_selectorILNS1_17partition_subalgoE9EllbEEZZNS1_14partition_implILS5_9ELb0ES3_jPKlN6thrust23THRUST_200600_302600_NS17counting_iteratorIlNSB_11use_defaultESD_SD_EEPNS0_10empty_typeENS0_5tupleIJPlSF_EEENSH_IJSI_SG_EEENS0_18inequality_wrapperIN6hipcub16HIPCUB_304000_NS8EqualityEEESI_JSF_EEE10hipError_tPvRmT3_T4_T5_T6_T7_T9_mT8_P12ihipStream_tbDpT10_ENKUlT_T0_E_clISt17integral_constantIbLb1EES18_IbLb0EEEEDaS14_S15_EUlS14_E_NS1_11comp_targetILNS1_3genE9ELNS1_11target_archE1100ELNS1_3gpuE3ELNS1_3repE0EEENS1_30default_config_static_selectorELNS0_4arch9wavefront6targetE0EEEvT1_,comdat
	.protected	_ZN7rocprim17ROCPRIM_400000_NS6detail17trampoline_kernelINS0_14default_configENS1_25partition_config_selectorILNS1_17partition_subalgoE9EllbEEZZNS1_14partition_implILS5_9ELb0ES3_jPKlN6thrust23THRUST_200600_302600_NS17counting_iteratorIlNSB_11use_defaultESD_SD_EEPNS0_10empty_typeENS0_5tupleIJPlSF_EEENSH_IJSI_SG_EEENS0_18inequality_wrapperIN6hipcub16HIPCUB_304000_NS8EqualityEEESI_JSF_EEE10hipError_tPvRmT3_T4_T5_T6_T7_T9_mT8_P12ihipStream_tbDpT10_ENKUlT_T0_E_clISt17integral_constantIbLb1EES18_IbLb0EEEEDaS14_S15_EUlS14_E_NS1_11comp_targetILNS1_3genE9ELNS1_11target_archE1100ELNS1_3gpuE3ELNS1_3repE0EEENS1_30default_config_static_selectorELNS0_4arch9wavefront6targetE0EEEvT1_ ; -- Begin function _ZN7rocprim17ROCPRIM_400000_NS6detail17trampoline_kernelINS0_14default_configENS1_25partition_config_selectorILNS1_17partition_subalgoE9EllbEEZZNS1_14partition_implILS5_9ELb0ES3_jPKlN6thrust23THRUST_200600_302600_NS17counting_iteratorIlNSB_11use_defaultESD_SD_EEPNS0_10empty_typeENS0_5tupleIJPlSF_EEENSH_IJSI_SG_EEENS0_18inequality_wrapperIN6hipcub16HIPCUB_304000_NS8EqualityEEESI_JSF_EEE10hipError_tPvRmT3_T4_T5_T6_T7_T9_mT8_P12ihipStream_tbDpT10_ENKUlT_T0_E_clISt17integral_constantIbLb1EES18_IbLb0EEEEDaS14_S15_EUlS14_E_NS1_11comp_targetILNS1_3genE9ELNS1_11target_archE1100ELNS1_3gpuE3ELNS1_3repE0EEENS1_30default_config_static_selectorELNS0_4arch9wavefront6targetE0EEEvT1_
	.globl	_ZN7rocprim17ROCPRIM_400000_NS6detail17trampoline_kernelINS0_14default_configENS1_25partition_config_selectorILNS1_17partition_subalgoE9EllbEEZZNS1_14partition_implILS5_9ELb0ES3_jPKlN6thrust23THRUST_200600_302600_NS17counting_iteratorIlNSB_11use_defaultESD_SD_EEPNS0_10empty_typeENS0_5tupleIJPlSF_EEENSH_IJSI_SG_EEENS0_18inequality_wrapperIN6hipcub16HIPCUB_304000_NS8EqualityEEESI_JSF_EEE10hipError_tPvRmT3_T4_T5_T6_T7_T9_mT8_P12ihipStream_tbDpT10_ENKUlT_T0_E_clISt17integral_constantIbLb1EES18_IbLb0EEEEDaS14_S15_EUlS14_E_NS1_11comp_targetILNS1_3genE9ELNS1_11target_archE1100ELNS1_3gpuE3ELNS1_3repE0EEENS1_30default_config_static_selectorELNS0_4arch9wavefront6targetE0EEEvT1_
	.p2align	8
	.type	_ZN7rocprim17ROCPRIM_400000_NS6detail17trampoline_kernelINS0_14default_configENS1_25partition_config_selectorILNS1_17partition_subalgoE9EllbEEZZNS1_14partition_implILS5_9ELb0ES3_jPKlN6thrust23THRUST_200600_302600_NS17counting_iteratorIlNSB_11use_defaultESD_SD_EEPNS0_10empty_typeENS0_5tupleIJPlSF_EEENSH_IJSI_SG_EEENS0_18inequality_wrapperIN6hipcub16HIPCUB_304000_NS8EqualityEEESI_JSF_EEE10hipError_tPvRmT3_T4_T5_T6_T7_T9_mT8_P12ihipStream_tbDpT10_ENKUlT_T0_E_clISt17integral_constantIbLb1EES18_IbLb0EEEEDaS14_S15_EUlS14_E_NS1_11comp_targetILNS1_3genE9ELNS1_11target_archE1100ELNS1_3gpuE3ELNS1_3repE0EEENS1_30default_config_static_selectorELNS0_4arch9wavefront6targetE0EEEvT1_,@function
_ZN7rocprim17ROCPRIM_400000_NS6detail17trampoline_kernelINS0_14default_configENS1_25partition_config_selectorILNS1_17partition_subalgoE9EllbEEZZNS1_14partition_implILS5_9ELb0ES3_jPKlN6thrust23THRUST_200600_302600_NS17counting_iteratorIlNSB_11use_defaultESD_SD_EEPNS0_10empty_typeENS0_5tupleIJPlSF_EEENSH_IJSI_SG_EEENS0_18inequality_wrapperIN6hipcub16HIPCUB_304000_NS8EqualityEEESI_JSF_EEE10hipError_tPvRmT3_T4_T5_T6_T7_T9_mT8_P12ihipStream_tbDpT10_ENKUlT_T0_E_clISt17integral_constantIbLb1EES18_IbLb0EEEEDaS14_S15_EUlS14_E_NS1_11comp_targetILNS1_3genE9ELNS1_11target_archE1100ELNS1_3gpuE3ELNS1_3repE0EEENS1_30default_config_static_selectorELNS0_4arch9wavefront6targetE0EEEvT1_: ; @_ZN7rocprim17ROCPRIM_400000_NS6detail17trampoline_kernelINS0_14default_configENS1_25partition_config_selectorILNS1_17partition_subalgoE9EllbEEZZNS1_14partition_implILS5_9ELb0ES3_jPKlN6thrust23THRUST_200600_302600_NS17counting_iteratorIlNSB_11use_defaultESD_SD_EEPNS0_10empty_typeENS0_5tupleIJPlSF_EEENSH_IJSI_SG_EEENS0_18inequality_wrapperIN6hipcub16HIPCUB_304000_NS8EqualityEEESI_JSF_EEE10hipError_tPvRmT3_T4_T5_T6_T7_T9_mT8_P12ihipStream_tbDpT10_ENKUlT_T0_E_clISt17integral_constantIbLb1EES18_IbLb0EEEEDaS14_S15_EUlS14_E_NS1_11comp_targetILNS1_3genE9ELNS1_11target_archE1100ELNS1_3gpuE3ELNS1_3repE0EEENS1_30default_config_static_selectorELNS0_4arch9wavefront6targetE0EEEvT1_
; %bb.0:
	.section	.rodata,"a",@progbits
	.p2align	6, 0x0
	.amdhsa_kernel _ZN7rocprim17ROCPRIM_400000_NS6detail17trampoline_kernelINS0_14default_configENS1_25partition_config_selectorILNS1_17partition_subalgoE9EllbEEZZNS1_14partition_implILS5_9ELb0ES3_jPKlN6thrust23THRUST_200600_302600_NS17counting_iteratorIlNSB_11use_defaultESD_SD_EEPNS0_10empty_typeENS0_5tupleIJPlSF_EEENSH_IJSI_SG_EEENS0_18inequality_wrapperIN6hipcub16HIPCUB_304000_NS8EqualityEEESI_JSF_EEE10hipError_tPvRmT3_T4_T5_T6_T7_T9_mT8_P12ihipStream_tbDpT10_ENKUlT_T0_E_clISt17integral_constantIbLb1EES18_IbLb0EEEEDaS14_S15_EUlS14_E_NS1_11comp_targetILNS1_3genE9ELNS1_11target_archE1100ELNS1_3gpuE3ELNS1_3repE0EEENS1_30default_config_static_selectorELNS0_4arch9wavefront6targetE0EEEvT1_
		.amdhsa_group_segment_fixed_size 0
		.amdhsa_private_segment_fixed_size 0
		.amdhsa_kernarg_size 112
		.amdhsa_user_sgpr_count 2
		.amdhsa_user_sgpr_dispatch_ptr 0
		.amdhsa_user_sgpr_queue_ptr 0
		.amdhsa_user_sgpr_kernarg_segment_ptr 1
		.amdhsa_user_sgpr_dispatch_id 0
		.amdhsa_user_sgpr_private_segment_size 0
		.amdhsa_wavefront_size32 1
		.amdhsa_uses_dynamic_stack 0
		.amdhsa_enable_private_segment 0
		.amdhsa_system_sgpr_workgroup_id_x 1
		.amdhsa_system_sgpr_workgroup_id_y 0
		.amdhsa_system_sgpr_workgroup_id_z 0
		.amdhsa_system_sgpr_workgroup_info 0
		.amdhsa_system_vgpr_workitem_id 0
		.amdhsa_next_free_vgpr 1
		.amdhsa_next_free_sgpr 1
		.amdhsa_reserve_vcc 0
		.amdhsa_float_round_mode_32 0
		.amdhsa_float_round_mode_16_64 0
		.amdhsa_float_denorm_mode_32 3
		.amdhsa_float_denorm_mode_16_64 3
		.amdhsa_fp16_overflow 0
		.amdhsa_workgroup_processor_mode 1
		.amdhsa_memory_ordered 1
		.amdhsa_forward_progress 1
		.amdhsa_inst_pref_size 0
		.amdhsa_round_robin_scheduling 0
		.amdhsa_exception_fp_ieee_invalid_op 0
		.amdhsa_exception_fp_denorm_src 0
		.amdhsa_exception_fp_ieee_div_zero 0
		.amdhsa_exception_fp_ieee_overflow 0
		.amdhsa_exception_fp_ieee_underflow 0
		.amdhsa_exception_fp_ieee_inexact 0
		.amdhsa_exception_int_div_zero 0
	.end_amdhsa_kernel
	.section	.text._ZN7rocprim17ROCPRIM_400000_NS6detail17trampoline_kernelINS0_14default_configENS1_25partition_config_selectorILNS1_17partition_subalgoE9EllbEEZZNS1_14partition_implILS5_9ELb0ES3_jPKlN6thrust23THRUST_200600_302600_NS17counting_iteratorIlNSB_11use_defaultESD_SD_EEPNS0_10empty_typeENS0_5tupleIJPlSF_EEENSH_IJSI_SG_EEENS0_18inequality_wrapperIN6hipcub16HIPCUB_304000_NS8EqualityEEESI_JSF_EEE10hipError_tPvRmT3_T4_T5_T6_T7_T9_mT8_P12ihipStream_tbDpT10_ENKUlT_T0_E_clISt17integral_constantIbLb1EES18_IbLb0EEEEDaS14_S15_EUlS14_E_NS1_11comp_targetILNS1_3genE9ELNS1_11target_archE1100ELNS1_3gpuE3ELNS1_3repE0EEENS1_30default_config_static_selectorELNS0_4arch9wavefront6targetE0EEEvT1_,"axG",@progbits,_ZN7rocprim17ROCPRIM_400000_NS6detail17trampoline_kernelINS0_14default_configENS1_25partition_config_selectorILNS1_17partition_subalgoE9EllbEEZZNS1_14partition_implILS5_9ELb0ES3_jPKlN6thrust23THRUST_200600_302600_NS17counting_iteratorIlNSB_11use_defaultESD_SD_EEPNS0_10empty_typeENS0_5tupleIJPlSF_EEENSH_IJSI_SG_EEENS0_18inequality_wrapperIN6hipcub16HIPCUB_304000_NS8EqualityEEESI_JSF_EEE10hipError_tPvRmT3_T4_T5_T6_T7_T9_mT8_P12ihipStream_tbDpT10_ENKUlT_T0_E_clISt17integral_constantIbLb1EES18_IbLb0EEEEDaS14_S15_EUlS14_E_NS1_11comp_targetILNS1_3genE9ELNS1_11target_archE1100ELNS1_3gpuE3ELNS1_3repE0EEENS1_30default_config_static_selectorELNS0_4arch9wavefront6targetE0EEEvT1_,comdat
.Lfunc_end66:
	.size	_ZN7rocprim17ROCPRIM_400000_NS6detail17trampoline_kernelINS0_14default_configENS1_25partition_config_selectorILNS1_17partition_subalgoE9EllbEEZZNS1_14partition_implILS5_9ELb0ES3_jPKlN6thrust23THRUST_200600_302600_NS17counting_iteratorIlNSB_11use_defaultESD_SD_EEPNS0_10empty_typeENS0_5tupleIJPlSF_EEENSH_IJSI_SG_EEENS0_18inequality_wrapperIN6hipcub16HIPCUB_304000_NS8EqualityEEESI_JSF_EEE10hipError_tPvRmT3_T4_T5_T6_T7_T9_mT8_P12ihipStream_tbDpT10_ENKUlT_T0_E_clISt17integral_constantIbLb1EES18_IbLb0EEEEDaS14_S15_EUlS14_E_NS1_11comp_targetILNS1_3genE9ELNS1_11target_archE1100ELNS1_3gpuE3ELNS1_3repE0EEENS1_30default_config_static_selectorELNS0_4arch9wavefront6targetE0EEEvT1_, .Lfunc_end66-_ZN7rocprim17ROCPRIM_400000_NS6detail17trampoline_kernelINS0_14default_configENS1_25partition_config_selectorILNS1_17partition_subalgoE9EllbEEZZNS1_14partition_implILS5_9ELb0ES3_jPKlN6thrust23THRUST_200600_302600_NS17counting_iteratorIlNSB_11use_defaultESD_SD_EEPNS0_10empty_typeENS0_5tupleIJPlSF_EEENSH_IJSI_SG_EEENS0_18inequality_wrapperIN6hipcub16HIPCUB_304000_NS8EqualityEEESI_JSF_EEE10hipError_tPvRmT3_T4_T5_T6_T7_T9_mT8_P12ihipStream_tbDpT10_ENKUlT_T0_E_clISt17integral_constantIbLb1EES18_IbLb0EEEEDaS14_S15_EUlS14_E_NS1_11comp_targetILNS1_3genE9ELNS1_11target_archE1100ELNS1_3gpuE3ELNS1_3repE0EEENS1_30default_config_static_selectorELNS0_4arch9wavefront6targetE0EEEvT1_
                                        ; -- End function
	.set _ZN7rocprim17ROCPRIM_400000_NS6detail17trampoline_kernelINS0_14default_configENS1_25partition_config_selectorILNS1_17partition_subalgoE9EllbEEZZNS1_14partition_implILS5_9ELb0ES3_jPKlN6thrust23THRUST_200600_302600_NS17counting_iteratorIlNSB_11use_defaultESD_SD_EEPNS0_10empty_typeENS0_5tupleIJPlSF_EEENSH_IJSI_SG_EEENS0_18inequality_wrapperIN6hipcub16HIPCUB_304000_NS8EqualityEEESI_JSF_EEE10hipError_tPvRmT3_T4_T5_T6_T7_T9_mT8_P12ihipStream_tbDpT10_ENKUlT_T0_E_clISt17integral_constantIbLb1EES18_IbLb0EEEEDaS14_S15_EUlS14_E_NS1_11comp_targetILNS1_3genE9ELNS1_11target_archE1100ELNS1_3gpuE3ELNS1_3repE0EEENS1_30default_config_static_selectorELNS0_4arch9wavefront6targetE0EEEvT1_.num_vgpr, 0
	.set _ZN7rocprim17ROCPRIM_400000_NS6detail17trampoline_kernelINS0_14default_configENS1_25partition_config_selectorILNS1_17partition_subalgoE9EllbEEZZNS1_14partition_implILS5_9ELb0ES3_jPKlN6thrust23THRUST_200600_302600_NS17counting_iteratorIlNSB_11use_defaultESD_SD_EEPNS0_10empty_typeENS0_5tupleIJPlSF_EEENSH_IJSI_SG_EEENS0_18inequality_wrapperIN6hipcub16HIPCUB_304000_NS8EqualityEEESI_JSF_EEE10hipError_tPvRmT3_T4_T5_T6_T7_T9_mT8_P12ihipStream_tbDpT10_ENKUlT_T0_E_clISt17integral_constantIbLb1EES18_IbLb0EEEEDaS14_S15_EUlS14_E_NS1_11comp_targetILNS1_3genE9ELNS1_11target_archE1100ELNS1_3gpuE3ELNS1_3repE0EEENS1_30default_config_static_selectorELNS0_4arch9wavefront6targetE0EEEvT1_.num_agpr, 0
	.set _ZN7rocprim17ROCPRIM_400000_NS6detail17trampoline_kernelINS0_14default_configENS1_25partition_config_selectorILNS1_17partition_subalgoE9EllbEEZZNS1_14partition_implILS5_9ELb0ES3_jPKlN6thrust23THRUST_200600_302600_NS17counting_iteratorIlNSB_11use_defaultESD_SD_EEPNS0_10empty_typeENS0_5tupleIJPlSF_EEENSH_IJSI_SG_EEENS0_18inequality_wrapperIN6hipcub16HIPCUB_304000_NS8EqualityEEESI_JSF_EEE10hipError_tPvRmT3_T4_T5_T6_T7_T9_mT8_P12ihipStream_tbDpT10_ENKUlT_T0_E_clISt17integral_constantIbLb1EES18_IbLb0EEEEDaS14_S15_EUlS14_E_NS1_11comp_targetILNS1_3genE9ELNS1_11target_archE1100ELNS1_3gpuE3ELNS1_3repE0EEENS1_30default_config_static_selectorELNS0_4arch9wavefront6targetE0EEEvT1_.numbered_sgpr, 0
	.set _ZN7rocprim17ROCPRIM_400000_NS6detail17trampoline_kernelINS0_14default_configENS1_25partition_config_selectorILNS1_17partition_subalgoE9EllbEEZZNS1_14partition_implILS5_9ELb0ES3_jPKlN6thrust23THRUST_200600_302600_NS17counting_iteratorIlNSB_11use_defaultESD_SD_EEPNS0_10empty_typeENS0_5tupleIJPlSF_EEENSH_IJSI_SG_EEENS0_18inequality_wrapperIN6hipcub16HIPCUB_304000_NS8EqualityEEESI_JSF_EEE10hipError_tPvRmT3_T4_T5_T6_T7_T9_mT8_P12ihipStream_tbDpT10_ENKUlT_T0_E_clISt17integral_constantIbLb1EES18_IbLb0EEEEDaS14_S15_EUlS14_E_NS1_11comp_targetILNS1_3genE9ELNS1_11target_archE1100ELNS1_3gpuE3ELNS1_3repE0EEENS1_30default_config_static_selectorELNS0_4arch9wavefront6targetE0EEEvT1_.num_named_barrier, 0
	.set _ZN7rocprim17ROCPRIM_400000_NS6detail17trampoline_kernelINS0_14default_configENS1_25partition_config_selectorILNS1_17partition_subalgoE9EllbEEZZNS1_14partition_implILS5_9ELb0ES3_jPKlN6thrust23THRUST_200600_302600_NS17counting_iteratorIlNSB_11use_defaultESD_SD_EEPNS0_10empty_typeENS0_5tupleIJPlSF_EEENSH_IJSI_SG_EEENS0_18inequality_wrapperIN6hipcub16HIPCUB_304000_NS8EqualityEEESI_JSF_EEE10hipError_tPvRmT3_T4_T5_T6_T7_T9_mT8_P12ihipStream_tbDpT10_ENKUlT_T0_E_clISt17integral_constantIbLb1EES18_IbLb0EEEEDaS14_S15_EUlS14_E_NS1_11comp_targetILNS1_3genE9ELNS1_11target_archE1100ELNS1_3gpuE3ELNS1_3repE0EEENS1_30default_config_static_selectorELNS0_4arch9wavefront6targetE0EEEvT1_.private_seg_size, 0
	.set _ZN7rocprim17ROCPRIM_400000_NS6detail17trampoline_kernelINS0_14default_configENS1_25partition_config_selectorILNS1_17partition_subalgoE9EllbEEZZNS1_14partition_implILS5_9ELb0ES3_jPKlN6thrust23THRUST_200600_302600_NS17counting_iteratorIlNSB_11use_defaultESD_SD_EEPNS0_10empty_typeENS0_5tupleIJPlSF_EEENSH_IJSI_SG_EEENS0_18inequality_wrapperIN6hipcub16HIPCUB_304000_NS8EqualityEEESI_JSF_EEE10hipError_tPvRmT3_T4_T5_T6_T7_T9_mT8_P12ihipStream_tbDpT10_ENKUlT_T0_E_clISt17integral_constantIbLb1EES18_IbLb0EEEEDaS14_S15_EUlS14_E_NS1_11comp_targetILNS1_3genE9ELNS1_11target_archE1100ELNS1_3gpuE3ELNS1_3repE0EEENS1_30default_config_static_selectorELNS0_4arch9wavefront6targetE0EEEvT1_.uses_vcc, 0
	.set _ZN7rocprim17ROCPRIM_400000_NS6detail17trampoline_kernelINS0_14default_configENS1_25partition_config_selectorILNS1_17partition_subalgoE9EllbEEZZNS1_14partition_implILS5_9ELb0ES3_jPKlN6thrust23THRUST_200600_302600_NS17counting_iteratorIlNSB_11use_defaultESD_SD_EEPNS0_10empty_typeENS0_5tupleIJPlSF_EEENSH_IJSI_SG_EEENS0_18inequality_wrapperIN6hipcub16HIPCUB_304000_NS8EqualityEEESI_JSF_EEE10hipError_tPvRmT3_T4_T5_T6_T7_T9_mT8_P12ihipStream_tbDpT10_ENKUlT_T0_E_clISt17integral_constantIbLb1EES18_IbLb0EEEEDaS14_S15_EUlS14_E_NS1_11comp_targetILNS1_3genE9ELNS1_11target_archE1100ELNS1_3gpuE3ELNS1_3repE0EEENS1_30default_config_static_selectorELNS0_4arch9wavefront6targetE0EEEvT1_.uses_flat_scratch, 0
	.set _ZN7rocprim17ROCPRIM_400000_NS6detail17trampoline_kernelINS0_14default_configENS1_25partition_config_selectorILNS1_17partition_subalgoE9EllbEEZZNS1_14partition_implILS5_9ELb0ES3_jPKlN6thrust23THRUST_200600_302600_NS17counting_iteratorIlNSB_11use_defaultESD_SD_EEPNS0_10empty_typeENS0_5tupleIJPlSF_EEENSH_IJSI_SG_EEENS0_18inequality_wrapperIN6hipcub16HIPCUB_304000_NS8EqualityEEESI_JSF_EEE10hipError_tPvRmT3_T4_T5_T6_T7_T9_mT8_P12ihipStream_tbDpT10_ENKUlT_T0_E_clISt17integral_constantIbLb1EES18_IbLb0EEEEDaS14_S15_EUlS14_E_NS1_11comp_targetILNS1_3genE9ELNS1_11target_archE1100ELNS1_3gpuE3ELNS1_3repE0EEENS1_30default_config_static_selectorELNS0_4arch9wavefront6targetE0EEEvT1_.has_dyn_sized_stack, 0
	.set _ZN7rocprim17ROCPRIM_400000_NS6detail17trampoline_kernelINS0_14default_configENS1_25partition_config_selectorILNS1_17partition_subalgoE9EllbEEZZNS1_14partition_implILS5_9ELb0ES3_jPKlN6thrust23THRUST_200600_302600_NS17counting_iteratorIlNSB_11use_defaultESD_SD_EEPNS0_10empty_typeENS0_5tupleIJPlSF_EEENSH_IJSI_SG_EEENS0_18inequality_wrapperIN6hipcub16HIPCUB_304000_NS8EqualityEEESI_JSF_EEE10hipError_tPvRmT3_T4_T5_T6_T7_T9_mT8_P12ihipStream_tbDpT10_ENKUlT_T0_E_clISt17integral_constantIbLb1EES18_IbLb0EEEEDaS14_S15_EUlS14_E_NS1_11comp_targetILNS1_3genE9ELNS1_11target_archE1100ELNS1_3gpuE3ELNS1_3repE0EEENS1_30default_config_static_selectorELNS0_4arch9wavefront6targetE0EEEvT1_.has_recursion, 0
	.set _ZN7rocprim17ROCPRIM_400000_NS6detail17trampoline_kernelINS0_14default_configENS1_25partition_config_selectorILNS1_17partition_subalgoE9EllbEEZZNS1_14partition_implILS5_9ELb0ES3_jPKlN6thrust23THRUST_200600_302600_NS17counting_iteratorIlNSB_11use_defaultESD_SD_EEPNS0_10empty_typeENS0_5tupleIJPlSF_EEENSH_IJSI_SG_EEENS0_18inequality_wrapperIN6hipcub16HIPCUB_304000_NS8EqualityEEESI_JSF_EEE10hipError_tPvRmT3_T4_T5_T6_T7_T9_mT8_P12ihipStream_tbDpT10_ENKUlT_T0_E_clISt17integral_constantIbLb1EES18_IbLb0EEEEDaS14_S15_EUlS14_E_NS1_11comp_targetILNS1_3genE9ELNS1_11target_archE1100ELNS1_3gpuE3ELNS1_3repE0EEENS1_30default_config_static_selectorELNS0_4arch9wavefront6targetE0EEEvT1_.has_indirect_call, 0
	.section	.AMDGPU.csdata,"",@progbits
; Kernel info:
; codeLenInByte = 0
; TotalNumSgprs: 0
; NumVgprs: 0
; ScratchSize: 0
; MemoryBound: 0
; FloatMode: 240
; IeeeMode: 1
; LDSByteSize: 0 bytes/workgroup (compile time only)
; SGPRBlocks: 0
; VGPRBlocks: 0
; NumSGPRsForWavesPerEU: 1
; NumVGPRsForWavesPerEU: 1
; Occupancy: 16
; WaveLimiterHint : 0
; COMPUTE_PGM_RSRC2:SCRATCH_EN: 0
; COMPUTE_PGM_RSRC2:USER_SGPR: 2
; COMPUTE_PGM_RSRC2:TRAP_HANDLER: 0
; COMPUTE_PGM_RSRC2:TGID_X_EN: 1
; COMPUTE_PGM_RSRC2:TGID_Y_EN: 0
; COMPUTE_PGM_RSRC2:TGID_Z_EN: 0
; COMPUTE_PGM_RSRC2:TIDIG_COMP_CNT: 0
	.section	.text._ZN7rocprim17ROCPRIM_400000_NS6detail17trampoline_kernelINS0_14default_configENS1_25partition_config_selectorILNS1_17partition_subalgoE9EllbEEZZNS1_14partition_implILS5_9ELb0ES3_jPKlN6thrust23THRUST_200600_302600_NS17counting_iteratorIlNSB_11use_defaultESD_SD_EEPNS0_10empty_typeENS0_5tupleIJPlSF_EEENSH_IJSI_SG_EEENS0_18inequality_wrapperIN6hipcub16HIPCUB_304000_NS8EqualityEEESI_JSF_EEE10hipError_tPvRmT3_T4_T5_T6_T7_T9_mT8_P12ihipStream_tbDpT10_ENKUlT_T0_E_clISt17integral_constantIbLb1EES18_IbLb0EEEEDaS14_S15_EUlS14_E_NS1_11comp_targetILNS1_3genE8ELNS1_11target_archE1030ELNS1_3gpuE2ELNS1_3repE0EEENS1_30default_config_static_selectorELNS0_4arch9wavefront6targetE0EEEvT1_,"axG",@progbits,_ZN7rocprim17ROCPRIM_400000_NS6detail17trampoline_kernelINS0_14default_configENS1_25partition_config_selectorILNS1_17partition_subalgoE9EllbEEZZNS1_14partition_implILS5_9ELb0ES3_jPKlN6thrust23THRUST_200600_302600_NS17counting_iteratorIlNSB_11use_defaultESD_SD_EEPNS0_10empty_typeENS0_5tupleIJPlSF_EEENSH_IJSI_SG_EEENS0_18inequality_wrapperIN6hipcub16HIPCUB_304000_NS8EqualityEEESI_JSF_EEE10hipError_tPvRmT3_T4_T5_T6_T7_T9_mT8_P12ihipStream_tbDpT10_ENKUlT_T0_E_clISt17integral_constantIbLb1EES18_IbLb0EEEEDaS14_S15_EUlS14_E_NS1_11comp_targetILNS1_3genE8ELNS1_11target_archE1030ELNS1_3gpuE2ELNS1_3repE0EEENS1_30default_config_static_selectorELNS0_4arch9wavefront6targetE0EEEvT1_,comdat
	.protected	_ZN7rocprim17ROCPRIM_400000_NS6detail17trampoline_kernelINS0_14default_configENS1_25partition_config_selectorILNS1_17partition_subalgoE9EllbEEZZNS1_14partition_implILS5_9ELb0ES3_jPKlN6thrust23THRUST_200600_302600_NS17counting_iteratorIlNSB_11use_defaultESD_SD_EEPNS0_10empty_typeENS0_5tupleIJPlSF_EEENSH_IJSI_SG_EEENS0_18inequality_wrapperIN6hipcub16HIPCUB_304000_NS8EqualityEEESI_JSF_EEE10hipError_tPvRmT3_T4_T5_T6_T7_T9_mT8_P12ihipStream_tbDpT10_ENKUlT_T0_E_clISt17integral_constantIbLb1EES18_IbLb0EEEEDaS14_S15_EUlS14_E_NS1_11comp_targetILNS1_3genE8ELNS1_11target_archE1030ELNS1_3gpuE2ELNS1_3repE0EEENS1_30default_config_static_selectorELNS0_4arch9wavefront6targetE0EEEvT1_ ; -- Begin function _ZN7rocprim17ROCPRIM_400000_NS6detail17trampoline_kernelINS0_14default_configENS1_25partition_config_selectorILNS1_17partition_subalgoE9EllbEEZZNS1_14partition_implILS5_9ELb0ES3_jPKlN6thrust23THRUST_200600_302600_NS17counting_iteratorIlNSB_11use_defaultESD_SD_EEPNS0_10empty_typeENS0_5tupleIJPlSF_EEENSH_IJSI_SG_EEENS0_18inequality_wrapperIN6hipcub16HIPCUB_304000_NS8EqualityEEESI_JSF_EEE10hipError_tPvRmT3_T4_T5_T6_T7_T9_mT8_P12ihipStream_tbDpT10_ENKUlT_T0_E_clISt17integral_constantIbLb1EES18_IbLb0EEEEDaS14_S15_EUlS14_E_NS1_11comp_targetILNS1_3genE8ELNS1_11target_archE1030ELNS1_3gpuE2ELNS1_3repE0EEENS1_30default_config_static_selectorELNS0_4arch9wavefront6targetE0EEEvT1_
	.globl	_ZN7rocprim17ROCPRIM_400000_NS6detail17trampoline_kernelINS0_14default_configENS1_25partition_config_selectorILNS1_17partition_subalgoE9EllbEEZZNS1_14partition_implILS5_9ELb0ES3_jPKlN6thrust23THRUST_200600_302600_NS17counting_iteratorIlNSB_11use_defaultESD_SD_EEPNS0_10empty_typeENS0_5tupleIJPlSF_EEENSH_IJSI_SG_EEENS0_18inequality_wrapperIN6hipcub16HIPCUB_304000_NS8EqualityEEESI_JSF_EEE10hipError_tPvRmT3_T4_T5_T6_T7_T9_mT8_P12ihipStream_tbDpT10_ENKUlT_T0_E_clISt17integral_constantIbLb1EES18_IbLb0EEEEDaS14_S15_EUlS14_E_NS1_11comp_targetILNS1_3genE8ELNS1_11target_archE1030ELNS1_3gpuE2ELNS1_3repE0EEENS1_30default_config_static_selectorELNS0_4arch9wavefront6targetE0EEEvT1_
	.p2align	8
	.type	_ZN7rocprim17ROCPRIM_400000_NS6detail17trampoline_kernelINS0_14default_configENS1_25partition_config_selectorILNS1_17partition_subalgoE9EllbEEZZNS1_14partition_implILS5_9ELb0ES3_jPKlN6thrust23THRUST_200600_302600_NS17counting_iteratorIlNSB_11use_defaultESD_SD_EEPNS0_10empty_typeENS0_5tupleIJPlSF_EEENSH_IJSI_SG_EEENS0_18inequality_wrapperIN6hipcub16HIPCUB_304000_NS8EqualityEEESI_JSF_EEE10hipError_tPvRmT3_T4_T5_T6_T7_T9_mT8_P12ihipStream_tbDpT10_ENKUlT_T0_E_clISt17integral_constantIbLb1EES18_IbLb0EEEEDaS14_S15_EUlS14_E_NS1_11comp_targetILNS1_3genE8ELNS1_11target_archE1030ELNS1_3gpuE2ELNS1_3repE0EEENS1_30default_config_static_selectorELNS0_4arch9wavefront6targetE0EEEvT1_,@function
_ZN7rocprim17ROCPRIM_400000_NS6detail17trampoline_kernelINS0_14default_configENS1_25partition_config_selectorILNS1_17partition_subalgoE9EllbEEZZNS1_14partition_implILS5_9ELb0ES3_jPKlN6thrust23THRUST_200600_302600_NS17counting_iteratorIlNSB_11use_defaultESD_SD_EEPNS0_10empty_typeENS0_5tupleIJPlSF_EEENSH_IJSI_SG_EEENS0_18inequality_wrapperIN6hipcub16HIPCUB_304000_NS8EqualityEEESI_JSF_EEE10hipError_tPvRmT3_T4_T5_T6_T7_T9_mT8_P12ihipStream_tbDpT10_ENKUlT_T0_E_clISt17integral_constantIbLb1EES18_IbLb0EEEEDaS14_S15_EUlS14_E_NS1_11comp_targetILNS1_3genE8ELNS1_11target_archE1030ELNS1_3gpuE2ELNS1_3repE0EEENS1_30default_config_static_selectorELNS0_4arch9wavefront6targetE0EEEvT1_: ; @_ZN7rocprim17ROCPRIM_400000_NS6detail17trampoline_kernelINS0_14default_configENS1_25partition_config_selectorILNS1_17partition_subalgoE9EllbEEZZNS1_14partition_implILS5_9ELb0ES3_jPKlN6thrust23THRUST_200600_302600_NS17counting_iteratorIlNSB_11use_defaultESD_SD_EEPNS0_10empty_typeENS0_5tupleIJPlSF_EEENSH_IJSI_SG_EEENS0_18inequality_wrapperIN6hipcub16HIPCUB_304000_NS8EqualityEEESI_JSF_EEE10hipError_tPvRmT3_T4_T5_T6_T7_T9_mT8_P12ihipStream_tbDpT10_ENKUlT_T0_E_clISt17integral_constantIbLb1EES18_IbLb0EEEEDaS14_S15_EUlS14_E_NS1_11comp_targetILNS1_3genE8ELNS1_11target_archE1030ELNS1_3gpuE2ELNS1_3repE0EEENS1_30default_config_static_selectorELNS0_4arch9wavefront6targetE0EEEvT1_
; %bb.0:
	.section	.rodata,"a",@progbits
	.p2align	6, 0x0
	.amdhsa_kernel _ZN7rocprim17ROCPRIM_400000_NS6detail17trampoline_kernelINS0_14default_configENS1_25partition_config_selectorILNS1_17partition_subalgoE9EllbEEZZNS1_14partition_implILS5_9ELb0ES3_jPKlN6thrust23THRUST_200600_302600_NS17counting_iteratorIlNSB_11use_defaultESD_SD_EEPNS0_10empty_typeENS0_5tupleIJPlSF_EEENSH_IJSI_SG_EEENS0_18inequality_wrapperIN6hipcub16HIPCUB_304000_NS8EqualityEEESI_JSF_EEE10hipError_tPvRmT3_T4_T5_T6_T7_T9_mT8_P12ihipStream_tbDpT10_ENKUlT_T0_E_clISt17integral_constantIbLb1EES18_IbLb0EEEEDaS14_S15_EUlS14_E_NS1_11comp_targetILNS1_3genE8ELNS1_11target_archE1030ELNS1_3gpuE2ELNS1_3repE0EEENS1_30default_config_static_selectorELNS0_4arch9wavefront6targetE0EEEvT1_
		.amdhsa_group_segment_fixed_size 0
		.amdhsa_private_segment_fixed_size 0
		.amdhsa_kernarg_size 112
		.amdhsa_user_sgpr_count 2
		.amdhsa_user_sgpr_dispatch_ptr 0
		.amdhsa_user_sgpr_queue_ptr 0
		.amdhsa_user_sgpr_kernarg_segment_ptr 1
		.amdhsa_user_sgpr_dispatch_id 0
		.amdhsa_user_sgpr_private_segment_size 0
		.amdhsa_wavefront_size32 1
		.amdhsa_uses_dynamic_stack 0
		.amdhsa_enable_private_segment 0
		.amdhsa_system_sgpr_workgroup_id_x 1
		.amdhsa_system_sgpr_workgroup_id_y 0
		.amdhsa_system_sgpr_workgroup_id_z 0
		.amdhsa_system_sgpr_workgroup_info 0
		.amdhsa_system_vgpr_workitem_id 0
		.amdhsa_next_free_vgpr 1
		.amdhsa_next_free_sgpr 1
		.amdhsa_reserve_vcc 0
		.amdhsa_float_round_mode_32 0
		.amdhsa_float_round_mode_16_64 0
		.amdhsa_float_denorm_mode_32 3
		.amdhsa_float_denorm_mode_16_64 3
		.amdhsa_fp16_overflow 0
		.amdhsa_workgroup_processor_mode 1
		.amdhsa_memory_ordered 1
		.amdhsa_forward_progress 1
		.amdhsa_inst_pref_size 0
		.amdhsa_round_robin_scheduling 0
		.amdhsa_exception_fp_ieee_invalid_op 0
		.amdhsa_exception_fp_denorm_src 0
		.amdhsa_exception_fp_ieee_div_zero 0
		.amdhsa_exception_fp_ieee_overflow 0
		.amdhsa_exception_fp_ieee_underflow 0
		.amdhsa_exception_fp_ieee_inexact 0
		.amdhsa_exception_int_div_zero 0
	.end_amdhsa_kernel
	.section	.text._ZN7rocprim17ROCPRIM_400000_NS6detail17trampoline_kernelINS0_14default_configENS1_25partition_config_selectorILNS1_17partition_subalgoE9EllbEEZZNS1_14partition_implILS5_9ELb0ES3_jPKlN6thrust23THRUST_200600_302600_NS17counting_iteratorIlNSB_11use_defaultESD_SD_EEPNS0_10empty_typeENS0_5tupleIJPlSF_EEENSH_IJSI_SG_EEENS0_18inequality_wrapperIN6hipcub16HIPCUB_304000_NS8EqualityEEESI_JSF_EEE10hipError_tPvRmT3_T4_T5_T6_T7_T9_mT8_P12ihipStream_tbDpT10_ENKUlT_T0_E_clISt17integral_constantIbLb1EES18_IbLb0EEEEDaS14_S15_EUlS14_E_NS1_11comp_targetILNS1_3genE8ELNS1_11target_archE1030ELNS1_3gpuE2ELNS1_3repE0EEENS1_30default_config_static_selectorELNS0_4arch9wavefront6targetE0EEEvT1_,"axG",@progbits,_ZN7rocprim17ROCPRIM_400000_NS6detail17trampoline_kernelINS0_14default_configENS1_25partition_config_selectorILNS1_17partition_subalgoE9EllbEEZZNS1_14partition_implILS5_9ELb0ES3_jPKlN6thrust23THRUST_200600_302600_NS17counting_iteratorIlNSB_11use_defaultESD_SD_EEPNS0_10empty_typeENS0_5tupleIJPlSF_EEENSH_IJSI_SG_EEENS0_18inequality_wrapperIN6hipcub16HIPCUB_304000_NS8EqualityEEESI_JSF_EEE10hipError_tPvRmT3_T4_T5_T6_T7_T9_mT8_P12ihipStream_tbDpT10_ENKUlT_T0_E_clISt17integral_constantIbLb1EES18_IbLb0EEEEDaS14_S15_EUlS14_E_NS1_11comp_targetILNS1_3genE8ELNS1_11target_archE1030ELNS1_3gpuE2ELNS1_3repE0EEENS1_30default_config_static_selectorELNS0_4arch9wavefront6targetE0EEEvT1_,comdat
.Lfunc_end67:
	.size	_ZN7rocprim17ROCPRIM_400000_NS6detail17trampoline_kernelINS0_14default_configENS1_25partition_config_selectorILNS1_17partition_subalgoE9EllbEEZZNS1_14partition_implILS5_9ELb0ES3_jPKlN6thrust23THRUST_200600_302600_NS17counting_iteratorIlNSB_11use_defaultESD_SD_EEPNS0_10empty_typeENS0_5tupleIJPlSF_EEENSH_IJSI_SG_EEENS0_18inequality_wrapperIN6hipcub16HIPCUB_304000_NS8EqualityEEESI_JSF_EEE10hipError_tPvRmT3_T4_T5_T6_T7_T9_mT8_P12ihipStream_tbDpT10_ENKUlT_T0_E_clISt17integral_constantIbLb1EES18_IbLb0EEEEDaS14_S15_EUlS14_E_NS1_11comp_targetILNS1_3genE8ELNS1_11target_archE1030ELNS1_3gpuE2ELNS1_3repE0EEENS1_30default_config_static_selectorELNS0_4arch9wavefront6targetE0EEEvT1_, .Lfunc_end67-_ZN7rocprim17ROCPRIM_400000_NS6detail17trampoline_kernelINS0_14default_configENS1_25partition_config_selectorILNS1_17partition_subalgoE9EllbEEZZNS1_14partition_implILS5_9ELb0ES3_jPKlN6thrust23THRUST_200600_302600_NS17counting_iteratorIlNSB_11use_defaultESD_SD_EEPNS0_10empty_typeENS0_5tupleIJPlSF_EEENSH_IJSI_SG_EEENS0_18inequality_wrapperIN6hipcub16HIPCUB_304000_NS8EqualityEEESI_JSF_EEE10hipError_tPvRmT3_T4_T5_T6_T7_T9_mT8_P12ihipStream_tbDpT10_ENKUlT_T0_E_clISt17integral_constantIbLb1EES18_IbLb0EEEEDaS14_S15_EUlS14_E_NS1_11comp_targetILNS1_3genE8ELNS1_11target_archE1030ELNS1_3gpuE2ELNS1_3repE0EEENS1_30default_config_static_selectorELNS0_4arch9wavefront6targetE0EEEvT1_
                                        ; -- End function
	.set _ZN7rocprim17ROCPRIM_400000_NS6detail17trampoline_kernelINS0_14default_configENS1_25partition_config_selectorILNS1_17partition_subalgoE9EllbEEZZNS1_14partition_implILS5_9ELb0ES3_jPKlN6thrust23THRUST_200600_302600_NS17counting_iteratorIlNSB_11use_defaultESD_SD_EEPNS0_10empty_typeENS0_5tupleIJPlSF_EEENSH_IJSI_SG_EEENS0_18inequality_wrapperIN6hipcub16HIPCUB_304000_NS8EqualityEEESI_JSF_EEE10hipError_tPvRmT3_T4_T5_T6_T7_T9_mT8_P12ihipStream_tbDpT10_ENKUlT_T0_E_clISt17integral_constantIbLb1EES18_IbLb0EEEEDaS14_S15_EUlS14_E_NS1_11comp_targetILNS1_3genE8ELNS1_11target_archE1030ELNS1_3gpuE2ELNS1_3repE0EEENS1_30default_config_static_selectorELNS0_4arch9wavefront6targetE0EEEvT1_.num_vgpr, 0
	.set _ZN7rocprim17ROCPRIM_400000_NS6detail17trampoline_kernelINS0_14default_configENS1_25partition_config_selectorILNS1_17partition_subalgoE9EllbEEZZNS1_14partition_implILS5_9ELb0ES3_jPKlN6thrust23THRUST_200600_302600_NS17counting_iteratorIlNSB_11use_defaultESD_SD_EEPNS0_10empty_typeENS0_5tupleIJPlSF_EEENSH_IJSI_SG_EEENS0_18inequality_wrapperIN6hipcub16HIPCUB_304000_NS8EqualityEEESI_JSF_EEE10hipError_tPvRmT3_T4_T5_T6_T7_T9_mT8_P12ihipStream_tbDpT10_ENKUlT_T0_E_clISt17integral_constantIbLb1EES18_IbLb0EEEEDaS14_S15_EUlS14_E_NS1_11comp_targetILNS1_3genE8ELNS1_11target_archE1030ELNS1_3gpuE2ELNS1_3repE0EEENS1_30default_config_static_selectorELNS0_4arch9wavefront6targetE0EEEvT1_.num_agpr, 0
	.set _ZN7rocprim17ROCPRIM_400000_NS6detail17trampoline_kernelINS0_14default_configENS1_25partition_config_selectorILNS1_17partition_subalgoE9EllbEEZZNS1_14partition_implILS5_9ELb0ES3_jPKlN6thrust23THRUST_200600_302600_NS17counting_iteratorIlNSB_11use_defaultESD_SD_EEPNS0_10empty_typeENS0_5tupleIJPlSF_EEENSH_IJSI_SG_EEENS0_18inequality_wrapperIN6hipcub16HIPCUB_304000_NS8EqualityEEESI_JSF_EEE10hipError_tPvRmT3_T4_T5_T6_T7_T9_mT8_P12ihipStream_tbDpT10_ENKUlT_T0_E_clISt17integral_constantIbLb1EES18_IbLb0EEEEDaS14_S15_EUlS14_E_NS1_11comp_targetILNS1_3genE8ELNS1_11target_archE1030ELNS1_3gpuE2ELNS1_3repE0EEENS1_30default_config_static_selectorELNS0_4arch9wavefront6targetE0EEEvT1_.numbered_sgpr, 0
	.set _ZN7rocprim17ROCPRIM_400000_NS6detail17trampoline_kernelINS0_14default_configENS1_25partition_config_selectorILNS1_17partition_subalgoE9EllbEEZZNS1_14partition_implILS5_9ELb0ES3_jPKlN6thrust23THRUST_200600_302600_NS17counting_iteratorIlNSB_11use_defaultESD_SD_EEPNS0_10empty_typeENS0_5tupleIJPlSF_EEENSH_IJSI_SG_EEENS0_18inequality_wrapperIN6hipcub16HIPCUB_304000_NS8EqualityEEESI_JSF_EEE10hipError_tPvRmT3_T4_T5_T6_T7_T9_mT8_P12ihipStream_tbDpT10_ENKUlT_T0_E_clISt17integral_constantIbLb1EES18_IbLb0EEEEDaS14_S15_EUlS14_E_NS1_11comp_targetILNS1_3genE8ELNS1_11target_archE1030ELNS1_3gpuE2ELNS1_3repE0EEENS1_30default_config_static_selectorELNS0_4arch9wavefront6targetE0EEEvT1_.num_named_barrier, 0
	.set _ZN7rocprim17ROCPRIM_400000_NS6detail17trampoline_kernelINS0_14default_configENS1_25partition_config_selectorILNS1_17partition_subalgoE9EllbEEZZNS1_14partition_implILS5_9ELb0ES3_jPKlN6thrust23THRUST_200600_302600_NS17counting_iteratorIlNSB_11use_defaultESD_SD_EEPNS0_10empty_typeENS0_5tupleIJPlSF_EEENSH_IJSI_SG_EEENS0_18inequality_wrapperIN6hipcub16HIPCUB_304000_NS8EqualityEEESI_JSF_EEE10hipError_tPvRmT3_T4_T5_T6_T7_T9_mT8_P12ihipStream_tbDpT10_ENKUlT_T0_E_clISt17integral_constantIbLb1EES18_IbLb0EEEEDaS14_S15_EUlS14_E_NS1_11comp_targetILNS1_3genE8ELNS1_11target_archE1030ELNS1_3gpuE2ELNS1_3repE0EEENS1_30default_config_static_selectorELNS0_4arch9wavefront6targetE0EEEvT1_.private_seg_size, 0
	.set _ZN7rocprim17ROCPRIM_400000_NS6detail17trampoline_kernelINS0_14default_configENS1_25partition_config_selectorILNS1_17partition_subalgoE9EllbEEZZNS1_14partition_implILS5_9ELb0ES3_jPKlN6thrust23THRUST_200600_302600_NS17counting_iteratorIlNSB_11use_defaultESD_SD_EEPNS0_10empty_typeENS0_5tupleIJPlSF_EEENSH_IJSI_SG_EEENS0_18inequality_wrapperIN6hipcub16HIPCUB_304000_NS8EqualityEEESI_JSF_EEE10hipError_tPvRmT3_T4_T5_T6_T7_T9_mT8_P12ihipStream_tbDpT10_ENKUlT_T0_E_clISt17integral_constantIbLb1EES18_IbLb0EEEEDaS14_S15_EUlS14_E_NS1_11comp_targetILNS1_3genE8ELNS1_11target_archE1030ELNS1_3gpuE2ELNS1_3repE0EEENS1_30default_config_static_selectorELNS0_4arch9wavefront6targetE0EEEvT1_.uses_vcc, 0
	.set _ZN7rocprim17ROCPRIM_400000_NS6detail17trampoline_kernelINS0_14default_configENS1_25partition_config_selectorILNS1_17partition_subalgoE9EllbEEZZNS1_14partition_implILS5_9ELb0ES3_jPKlN6thrust23THRUST_200600_302600_NS17counting_iteratorIlNSB_11use_defaultESD_SD_EEPNS0_10empty_typeENS0_5tupleIJPlSF_EEENSH_IJSI_SG_EEENS0_18inequality_wrapperIN6hipcub16HIPCUB_304000_NS8EqualityEEESI_JSF_EEE10hipError_tPvRmT3_T4_T5_T6_T7_T9_mT8_P12ihipStream_tbDpT10_ENKUlT_T0_E_clISt17integral_constantIbLb1EES18_IbLb0EEEEDaS14_S15_EUlS14_E_NS1_11comp_targetILNS1_3genE8ELNS1_11target_archE1030ELNS1_3gpuE2ELNS1_3repE0EEENS1_30default_config_static_selectorELNS0_4arch9wavefront6targetE0EEEvT1_.uses_flat_scratch, 0
	.set _ZN7rocprim17ROCPRIM_400000_NS6detail17trampoline_kernelINS0_14default_configENS1_25partition_config_selectorILNS1_17partition_subalgoE9EllbEEZZNS1_14partition_implILS5_9ELb0ES3_jPKlN6thrust23THRUST_200600_302600_NS17counting_iteratorIlNSB_11use_defaultESD_SD_EEPNS0_10empty_typeENS0_5tupleIJPlSF_EEENSH_IJSI_SG_EEENS0_18inequality_wrapperIN6hipcub16HIPCUB_304000_NS8EqualityEEESI_JSF_EEE10hipError_tPvRmT3_T4_T5_T6_T7_T9_mT8_P12ihipStream_tbDpT10_ENKUlT_T0_E_clISt17integral_constantIbLb1EES18_IbLb0EEEEDaS14_S15_EUlS14_E_NS1_11comp_targetILNS1_3genE8ELNS1_11target_archE1030ELNS1_3gpuE2ELNS1_3repE0EEENS1_30default_config_static_selectorELNS0_4arch9wavefront6targetE0EEEvT1_.has_dyn_sized_stack, 0
	.set _ZN7rocprim17ROCPRIM_400000_NS6detail17trampoline_kernelINS0_14default_configENS1_25partition_config_selectorILNS1_17partition_subalgoE9EllbEEZZNS1_14partition_implILS5_9ELb0ES3_jPKlN6thrust23THRUST_200600_302600_NS17counting_iteratorIlNSB_11use_defaultESD_SD_EEPNS0_10empty_typeENS0_5tupleIJPlSF_EEENSH_IJSI_SG_EEENS0_18inequality_wrapperIN6hipcub16HIPCUB_304000_NS8EqualityEEESI_JSF_EEE10hipError_tPvRmT3_T4_T5_T6_T7_T9_mT8_P12ihipStream_tbDpT10_ENKUlT_T0_E_clISt17integral_constantIbLb1EES18_IbLb0EEEEDaS14_S15_EUlS14_E_NS1_11comp_targetILNS1_3genE8ELNS1_11target_archE1030ELNS1_3gpuE2ELNS1_3repE0EEENS1_30default_config_static_selectorELNS0_4arch9wavefront6targetE0EEEvT1_.has_recursion, 0
	.set _ZN7rocprim17ROCPRIM_400000_NS6detail17trampoline_kernelINS0_14default_configENS1_25partition_config_selectorILNS1_17partition_subalgoE9EllbEEZZNS1_14partition_implILS5_9ELb0ES3_jPKlN6thrust23THRUST_200600_302600_NS17counting_iteratorIlNSB_11use_defaultESD_SD_EEPNS0_10empty_typeENS0_5tupleIJPlSF_EEENSH_IJSI_SG_EEENS0_18inequality_wrapperIN6hipcub16HIPCUB_304000_NS8EqualityEEESI_JSF_EEE10hipError_tPvRmT3_T4_T5_T6_T7_T9_mT8_P12ihipStream_tbDpT10_ENKUlT_T0_E_clISt17integral_constantIbLb1EES18_IbLb0EEEEDaS14_S15_EUlS14_E_NS1_11comp_targetILNS1_3genE8ELNS1_11target_archE1030ELNS1_3gpuE2ELNS1_3repE0EEENS1_30default_config_static_selectorELNS0_4arch9wavefront6targetE0EEEvT1_.has_indirect_call, 0
	.section	.AMDGPU.csdata,"",@progbits
; Kernel info:
; codeLenInByte = 0
; TotalNumSgprs: 0
; NumVgprs: 0
; ScratchSize: 0
; MemoryBound: 0
; FloatMode: 240
; IeeeMode: 1
; LDSByteSize: 0 bytes/workgroup (compile time only)
; SGPRBlocks: 0
; VGPRBlocks: 0
; NumSGPRsForWavesPerEU: 1
; NumVGPRsForWavesPerEU: 1
; Occupancy: 16
; WaveLimiterHint : 0
; COMPUTE_PGM_RSRC2:SCRATCH_EN: 0
; COMPUTE_PGM_RSRC2:USER_SGPR: 2
; COMPUTE_PGM_RSRC2:TRAP_HANDLER: 0
; COMPUTE_PGM_RSRC2:TGID_X_EN: 1
; COMPUTE_PGM_RSRC2:TGID_Y_EN: 0
; COMPUTE_PGM_RSRC2:TGID_Z_EN: 0
; COMPUTE_PGM_RSRC2:TIDIG_COMP_CNT: 0
	.section	.text._ZN7rocprim17ROCPRIM_400000_NS6detail17trampoline_kernelINS0_14default_configENS1_25partition_config_selectorILNS1_17partition_subalgoE9EllbEEZZNS1_14partition_implILS5_9ELb0ES3_jPKlN6thrust23THRUST_200600_302600_NS17counting_iteratorIlNSB_11use_defaultESD_SD_EEPNS0_10empty_typeENS0_5tupleIJPlSF_EEENSH_IJSI_SG_EEENS0_18inequality_wrapperIN6hipcub16HIPCUB_304000_NS8EqualityEEESI_JSF_EEE10hipError_tPvRmT3_T4_T5_T6_T7_T9_mT8_P12ihipStream_tbDpT10_ENKUlT_T0_E_clISt17integral_constantIbLb0EES18_IbLb1EEEEDaS14_S15_EUlS14_E_NS1_11comp_targetILNS1_3genE0ELNS1_11target_archE4294967295ELNS1_3gpuE0ELNS1_3repE0EEENS1_30default_config_static_selectorELNS0_4arch9wavefront6targetE0EEEvT1_,"axG",@progbits,_ZN7rocprim17ROCPRIM_400000_NS6detail17trampoline_kernelINS0_14default_configENS1_25partition_config_selectorILNS1_17partition_subalgoE9EllbEEZZNS1_14partition_implILS5_9ELb0ES3_jPKlN6thrust23THRUST_200600_302600_NS17counting_iteratorIlNSB_11use_defaultESD_SD_EEPNS0_10empty_typeENS0_5tupleIJPlSF_EEENSH_IJSI_SG_EEENS0_18inequality_wrapperIN6hipcub16HIPCUB_304000_NS8EqualityEEESI_JSF_EEE10hipError_tPvRmT3_T4_T5_T6_T7_T9_mT8_P12ihipStream_tbDpT10_ENKUlT_T0_E_clISt17integral_constantIbLb0EES18_IbLb1EEEEDaS14_S15_EUlS14_E_NS1_11comp_targetILNS1_3genE0ELNS1_11target_archE4294967295ELNS1_3gpuE0ELNS1_3repE0EEENS1_30default_config_static_selectorELNS0_4arch9wavefront6targetE0EEEvT1_,comdat
	.protected	_ZN7rocprim17ROCPRIM_400000_NS6detail17trampoline_kernelINS0_14default_configENS1_25partition_config_selectorILNS1_17partition_subalgoE9EllbEEZZNS1_14partition_implILS5_9ELb0ES3_jPKlN6thrust23THRUST_200600_302600_NS17counting_iteratorIlNSB_11use_defaultESD_SD_EEPNS0_10empty_typeENS0_5tupleIJPlSF_EEENSH_IJSI_SG_EEENS0_18inequality_wrapperIN6hipcub16HIPCUB_304000_NS8EqualityEEESI_JSF_EEE10hipError_tPvRmT3_T4_T5_T6_T7_T9_mT8_P12ihipStream_tbDpT10_ENKUlT_T0_E_clISt17integral_constantIbLb0EES18_IbLb1EEEEDaS14_S15_EUlS14_E_NS1_11comp_targetILNS1_3genE0ELNS1_11target_archE4294967295ELNS1_3gpuE0ELNS1_3repE0EEENS1_30default_config_static_selectorELNS0_4arch9wavefront6targetE0EEEvT1_ ; -- Begin function _ZN7rocprim17ROCPRIM_400000_NS6detail17trampoline_kernelINS0_14default_configENS1_25partition_config_selectorILNS1_17partition_subalgoE9EllbEEZZNS1_14partition_implILS5_9ELb0ES3_jPKlN6thrust23THRUST_200600_302600_NS17counting_iteratorIlNSB_11use_defaultESD_SD_EEPNS0_10empty_typeENS0_5tupleIJPlSF_EEENSH_IJSI_SG_EEENS0_18inequality_wrapperIN6hipcub16HIPCUB_304000_NS8EqualityEEESI_JSF_EEE10hipError_tPvRmT3_T4_T5_T6_T7_T9_mT8_P12ihipStream_tbDpT10_ENKUlT_T0_E_clISt17integral_constantIbLb0EES18_IbLb1EEEEDaS14_S15_EUlS14_E_NS1_11comp_targetILNS1_3genE0ELNS1_11target_archE4294967295ELNS1_3gpuE0ELNS1_3repE0EEENS1_30default_config_static_selectorELNS0_4arch9wavefront6targetE0EEEvT1_
	.globl	_ZN7rocprim17ROCPRIM_400000_NS6detail17trampoline_kernelINS0_14default_configENS1_25partition_config_selectorILNS1_17partition_subalgoE9EllbEEZZNS1_14partition_implILS5_9ELb0ES3_jPKlN6thrust23THRUST_200600_302600_NS17counting_iteratorIlNSB_11use_defaultESD_SD_EEPNS0_10empty_typeENS0_5tupleIJPlSF_EEENSH_IJSI_SG_EEENS0_18inequality_wrapperIN6hipcub16HIPCUB_304000_NS8EqualityEEESI_JSF_EEE10hipError_tPvRmT3_T4_T5_T6_T7_T9_mT8_P12ihipStream_tbDpT10_ENKUlT_T0_E_clISt17integral_constantIbLb0EES18_IbLb1EEEEDaS14_S15_EUlS14_E_NS1_11comp_targetILNS1_3genE0ELNS1_11target_archE4294967295ELNS1_3gpuE0ELNS1_3repE0EEENS1_30default_config_static_selectorELNS0_4arch9wavefront6targetE0EEEvT1_
	.p2align	8
	.type	_ZN7rocprim17ROCPRIM_400000_NS6detail17trampoline_kernelINS0_14default_configENS1_25partition_config_selectorILNS1_17partition_subalgoE9EllbEEZZNS1_14partition_implILS5_9ELb0ES3_jPKlN6thrust23THRUST_200600_302600_NS17counting_iteratorIlNSB_11use_defaultESD_SD_EEPNS0_10empty_typeENS0_5tupleIJPlSF_EEENSH_IJSI_SG_EEENS0_18inequality_wrapperIN6hipcub16HIPCUB_304000_NS8EqualityEEESI_JSF_EEE10hipError_tPvRmT3_T4_T5_T6_T7_T9_mT8_P12ihipStream_tbDpT10_ENKUlT_T0_E_clISt17integral_constantIbLb0EES18_IbLb1EEEEDaS14_S15_EUlS14_E_NS1_11comp_targetILNS1_3genE0ELNS1_11target_archE4294967295ELNS1_3gpuE0ELNS1_3repE0EEENS1_30default_config_static_selectorELNS0_4arch9wavefront6targetE0EEEvT1_,@function
_ZN7rocprim17ROCPRIM_400000_NS6detail17trampoline_kernelINS0_14default_configENS1_25partition_config_selectorILNS1_17partition_subalgoE9EllbEEZZNS1_14partition_implILS5_9ELb0ES3_jPKlN6thrust23THRUST_200600_302600_NS17counting_iteratorIlNSB_11use_defaultESD_SD_EEPNS0_10empty_typeENS0_5tupleIJPlSF_EEENSH_IJSI_SG_EEENS0_18inequality_wrapperIN6hipcub16HIPCUB_304000_NS8EqualityEEESI_JSF_EEE10hipError_tPvRmT3_T4_T5_T6_T7_T9_mT8_P12ihipStream_tbDpT10_ENKUlT_T0_E_clISt17integral_constantIbLb0EES18_IbLb1EEEEDaS14_S15_EUlS14_E_NS1_11comp_targetILNS1_3genE0ELNS1_11target_archE4294967295ELNS1_3gpuE0ELNS1_3repE0EEENS1_30default_config_static_selectorELNS0_4arch9wavefront6targetE0EEEvT1_: ; @_ZN7rocprim17ROCPRIM_400000_NS6detail17trampoline_kernelINS0_14default_configENS1_25partition_config_selectorILNS1_17partition_subalgoE9EllbEEZZNS1_14partition_implILS5_9ELb0ES3_jPKlN6thrust23THRUST_200600_302600_NS17counting_iteratorIlNSB_11use_defaultESD_SD_EEPNS0_10empty_typeENS0_5tupleIJPlSF_EEENSH_IJSI_SG_EEENS0_18inequality_wrapperIN6hipcub16HIPCUB_304000_NS8EqualityEEESI_JSF_EEE10hipError_tPvRmT3_T4_T5_T6_T7_T9_mT8_P12ihipStream_tbDpT10_ENKUlT_T0_E_clISt17integral_constantIbLb0EES18_IbLb1EEEEDaS14_S15_EUlS14_E_NS1_11comp_targetILNS1_3genE0ELNS1_11target_archE4294967295ELNS1_3gpuE0ELNS1_3repE0EEENS1_30default_config_static_selectorELNS0_4arch9wavefront6targetE0EEEvT1_
; %bb.0:
	.section	.rodata,"a",@progbits
	.p2align	6, 0x0
	.amdhsa_kernel _ZN7rocprim17ROCPRIM_400000_NS6detail17trampoline_kernelINS0_14default_configENS1_25partition_config_selectorILNS1_17partition_subalgoE9EllbEEZZNS1_14partition_implILS5_9ELb0ES3_jPKlN6thrust23THRUST_200600_302600_NS17counting_iteratorIlNSB_11use_defaultESD_SD_EEPNS0_10empty_typeENS0_5tupleIJPlSF_EEENSH_IJSI_SG_EEENS0_18inequality_wrapperIN6hipcub16HIPCUB_304000_NS8EqualityEEESI_JSF_EEE10hipError_tPvRmT3_T4_T5_T6_T7_T9_mT8_P12ihipStream_tbDpT10_ENKUlT_T0_E_clISt17integral_constantIbLb0EES18_IbLb1EEEEDaS14_S15_EUlS14_E_NS1_11comp_targetILNS1_3genE0ELNS1_11target_archE4294967295ELNS1_3gpuE0ELNS1_3repE0EEENS1_30default_config_static_selectorELNS0_4arch9wavefront6targetE0EEEvT1_
		.amdhsa_group_segment_fixed_size 0
		.amdhsa_private_segment_fixed_size 0
		.amdhsa_kernarg_size 128
		.amdhsa_user_sgpr_count 2
		.amdhsa_user_sgpr_dispatch_ptr 0
		.amdhsa_user_sgpr_queue_ptr 0
		.amdhsa_user_sgpr_kernarg_segment_ptr 1
		.amdhsa_user_sgpr_dispatch_id 0
		.amdhsa_user_sgpr_private_segment_size 0
		.amdhsa_wavefront_size32 1
		.amdhsa_uses_dynamic_stack 0
		.amdhsa_enable_private_segment 0
		.amdhsa_system_sgpr_workgroup_id_x 1
		.amdhsa_system_sgpr_workgroup_id_y 0
		.amdhsa_system_sgpr_workgroup_id_z 0
		.amdhsa_system_sgpr_workgroup_info 0
		.amdhsa_system_vgpr_workitem_id 0
		.amdhsa_next_free_vgpr 1
		.amdhsa_next_free_sgpr 1
		.amdhsa_reserve_vcc 0
		.amdhsa_float_round_mode_32 0
		.amdhsa_float_round_mode_16_64 0
		.amdhsa_float_denorm_mode_32 3
		.amdhsa_float_denorm_mode_16_64 3
		.amdhsa_fp16_overflow 0
		.amdhsa_workgroup_processor_mode 1
		.amdhsa_memory_ordered 1
		.amdhsa_forward_progress 1
		.amdhsa_inst_pref_size 0
		.amdhsa_round_robin_scheduling 0
		.amdhsa_exception_fp_ieee_invalid_op 0
		.amdhsa_exception_fp_denorm_src 0
		.amdhsa_exception_fp_ieee_div_zero 0
		.amdhsa_exception_fp_ieee_overflow 0
		.amdhsa_exception_fp_ieee_underflow 0
		.amdhsa_exception_fp_ieee_inexact 0
		.amdhsa_exception_int_div_zero 0
	.end_amdhsa_kernel
	.section	.text._ZN7rocprim17ROCPRIM_400000_NS6detail17trampoline_kernelINS0_14default_configENS1_25partition_config_selectorILNS1_17partition_subalgoE9EllbEEZZNS1_14partition_implILS5_9ELb0ES3_jPKlN6thrust23THRUST_200600_302600_NS17counting_iteratorIlNSB_11use_defaultESD_SD_EEPNS0_10empty_typeENS0_5tupleIJPlSF_EEENSH_IJSI_SG_EEENS0_18inequality_wrapperIN6hipcub16HIPCUB_304000_NS8EqualityEEESI_JSF_EEE10hipError_tPvRmT3_T4_T5_T6_T7_T9_mT8_P12ihipStream_tbDpT10_ENKUlT_T0_E_clISt17integral_constantIbLb0EES18_IbLb1EEEEDaS14_S15_EUlS14_E_NS1_11comp_targetILNS1_3genE0ELNS1_11target_archE4294967295ELNS1_3gpuE0ELNS1_3repE0EEENS1_30default_config_static_selectorELNS0_4arch9wavefront6targetE0EEEvT1_,"axG",@progbits,_ZN7rocprim17ROCPRIM_400000_NS6detail17trampoline_kernelINS0_14default_configENS1_25partition_config_selectorILNS1_17partition_subalgoE9EllbEEZZNS1_14partition_implILS5_9ELb0ES3_jPKlN6thrust23THRUST_200600_302600_NS17counting_iteratorIlNSB_11use_defaultESD_SD_EEPNS0_10empty_typeENS0_5tupleIJPlSF_EEENSH_IJSI_SG_EEENS0_18inequality_wrapperIN6hipcub16HIPCUB_304000_NS8EqualityEEESI_JSF_EEE10hipError_tPvRmT3_T4_T5_T6_T7_T9_mT8_P12ihipStream_tbDpT10_ENKUlT_T0_E_clISt17integral_constantIbLb0EES18_IbLb1EEEEDaS14_S15_EUlS14_E_NS1_11comp_targetILNS1_3genE0ELNS1_11target_archE4294967295ELNS1_3gpuE0ELNS1_3repE0EEENS1_30default_config_static_selectorELNS0_4arch9wavefront6targetE0EEEvT1_,comdat
.Lfunc_end68:
	.size	_ZN7rocprim17ROCPRIM_400000_NS6detail17trampoline_kernelINS0_14default_configENS1_25partition_config_selectorILNS1_17partition_subalgoE9EllbEEZZNS1_14partition_implILS5_9ELb0ES3_jPKlN6thrust23THRUST_200600_302600_NS17counting_iteratorIlNSB_11use_defaultESD_SD_EEPNS0_10empty_typeENS0_5tupleIJPlSF_EEENSH_IJSI_SG_EEENS0_18inequality_wrapperIN6hipcub16HIPCUB_304000_NS8EqualityEEESI_JSF_EEE10hipError_tPvRmT3_T4_T5_T6_T7_T9_mT8_P12ihipStream_tbDpT10_ENKUlT_T0_E_clISt17integral_constantIbLb0EES18_IbLb1EEEEDaS14_S15_EUlS14_E_NS1_11comp_targetILNS1_3genE0ELNS1_11target_archE4294967295ELNS1_3gpuE0ELNS1_3repE0EEENS1_30default_config_static_selectorELNS0_4arch9wavefront6targetE0EEEvT1_, .Lfunc_end68-_ZN7rocprim17ROCPRIM_400000_NS6detail17trampoline_kernelINS0_14default_configENS1_25partition_config_selectorILNS1_17partition_subalgoE9EllbEEZZNS1_14partition_implILS5_9ELb0ES3_jPKlN6thrust23THRUST_200600_302600_NS17counting_iteratorIlNSB_11use_defaultESD_SD_EEPNS0_10empty_typeENS0_5tupleIJPlSF_EEENSH_IJSI_SG_EEENS0_18inequality_wrapperIN6hipcub16HIPCUB_304000_NS8EqualityEEESI_JSF_EEE10hipError_tPvRmT3_T4_T5_T6_T7_T9_mT8_P12ihipStream_tbDpT10_ENKUlT_T0_E_clISt17integral_constantIbLb0EES18_IbLb1EEEEDaS14_S15_EUlS14_E_NS1_11comp_targetILNS1_3genE0ELNS1_11target_archE4294967295ELNS1_3gpuE0ELNS1_3repE0EEENS1_30default_config_static_selectorELNS0_4arch9wavefront6targetE0EEEvT1_
                                        ; -- End function
	.set _ZN7rocprim17ROCPRIM_400000_NS6detail17trampoline_kernelINS0_14default_configENS1_25partition_config_selectorILNS1_17partition_subalgoE9EllbEEZZNS1_14partition_implILS5_9ELb0ES3_jPKlN6thrust23THRUST_200600_302600_NS17counting_iteratorIlNSB_11use_defaultESD_SD_EEPNS0_10empty_typeENS0_5tupleIJPlSF_EEENSH_IJSI_SG_EEENS0_18inequality_wrapperIN6hipcub16HIPCUB_304000_NS8EqualityEEESI_JSF_EEE10hipError_tPvRmT3_T4_T5_T6_T7_T9_mT8_P12ihipStream_tbDpT10_ENKUlT_T0_E_clISt17integral_constantIbLb0EES18_IbLb1EEEEDaS14_S15_EUlS14_E_NS1_11comp_targetILNS1_3genE0ELNS1_11target_archE4294967295ELNS1_3gpuE0ELNS1_3repE0EEENS1_30default_config_static_selectorELNS0_4arch9wavefront6targetE0EEEvT1_.num_vgpr, 0
	.set _ZN7rocprim17ROCPRIM_400000_NS6detail17trampoline_kernelINS0_14default_configENS1_25partition_config_selectorILNS1_17partition_subalgoE9EllbEEZZNS1_14partition_implILS5_9ELb0ES3_jPKlN6thrust23THRUST_200600_302600_NS17counting_iteratorIlNSB_11use_defaultESD_SD_EEPNS0_10empty_typeENS0_5tupleIJPlSF_EEENSH_IJSI_SG_EEENS0_18inequality_wrapperIN6hipcub16HIPCUB_304000_NS8EqualityEEESI_JSF_EEE10hipError_tPvRmT3_T4_T5_T6_T7_T9_mT8_P12ihipStream_tbDpT10_ENKUlT_T0_E_clISt17integral_constantIbLb0EES18_IbLb1EEEEDaS14_S15_EUlS14_E_NS1_11comp_targetILNS1_3genE0ELNS1_11target_archE4294967295ELNS1_3gpuE0ELNS1_3repE0EEENS1_30default_config_static_selectorELNS0_4arch9wavefront6targetE0EEEvT1_.num_agpr, 0
	.set _ZN7rocprim17ROCPRIM_400000_NS6detail17trampoline_kernelINS0_14default_configENS1_25partition_config_selectorILNS1_17partition_subalgoE9EllbEEZZNS1_14partition_implILS5_9ELb0ES3_jPKlN6thrust23THRUST_200600_302600_NS17counting_iteratorIlNSB_11use_defaultESD_SD_EEPNS0_10empty_typeENS0_5tupleIJPlSF_EEENSH_IJSI_SG_EEENS0_18inequality_wrapperIN6hipcub16HIPCUB_304000_NS8EqualityEEESI_JSF_EEE10hipError_tPvRmT3_T4_T5_T6_T7_T9_mT8_P12ihipStream_tbDpT10_ENKUlT_T0_E_clISt17integral_constantIbLb0EES18_IbLb1EEEEDaS14_S15_EUlS14_E_NS1_11comp_targetILNS1_3genE0ELNS1_11target_archE4294967295ELNS1_3gpuE0ELNS1_3repE0EEENS1_30default_config_static_selectorELNS0_4arch9wavefront6targetE0EEEvT1_.numbered_sgpr, 0
	.set _ZN7rocprim17ROCPRIM_400000_NS6detail17trampoline_kernelINS0_14default_configENS1_25partition_config_selectorILNS1_17partition_subalgoE9EllbEEZZNS1_14partition_implILS5_9ELb0ES3_jPKlN6thrust23THRUST_200600_302600_NS17counting_iteratorIlNSB_11use_defaultESD_SD_EEPNS0_10empty_typeENS0_5tupleIJPlSF_EEENSH_IJSI_SG_EEENS0_18inequality_wrapperIN6hipcub16HIPCUB_304000_NS8EqualityEEESI_JSF_EEE10hipError_tPvRmT3_T4_T5_T6_T7_T9_mT8_P12ihipStream_tbDpT10_ENKUlT_T0_E_clISt17integral_constantIbLb0EES18_IbLb1EEEEDaS14_S15_EUlS14_E_NS1_11comp_targetILNS1_3genE0ELNS1_11target_archE4294967295ELNS1_3gpuE0ELNS1_3repE0EEENS1_30default_config_static_selectorELNS0_4arch9wavefront6targetE0EEEvT1_.num_named_barrier, 0
	.set _ZN7rocprim17ROCPRIM_400000_NS6detail17trampoline_kernelINS0_14default_configENS1_25partition_config_selectorILNS1_17partition_subalgoE9EllbEEZZNS1_14partition_implILS5_9ELb0ES3_jPKlN6thrust23THRUST_200600_302600_NS17counting_iteratorIlNSB_11use_defaultESD_SD_EEPNS0_10empty_typeENS0_5tupleIJPlSF_EEENSH_IJSI_SG_EEENS0_18inequality_wrapperIN6hipcub16HIPCUB_304000_NS8EqualityEEESI_JSF_EEE10hipError_tPvRmT3_T4_T5_T6_T7_T9_mT8_P12ihipStream_tbDpT10_ENKUlT_T0_E_clISt17integral_constantIbLb0EES18_IbLb1EEEEDaS14_S15_EUlS14_E_NS1_11comp_targetILNS1_3genE0ELNS1_11target_archE4294967295ELNS1_3gpuE0ELNS1_3repE0EEENS1_30default_config_static_selectorELNS0_4arch9wavefront6targetE0EEEvT1_.private_seg_size, 0
	.set _ZN7rocprim17ROCPRIM_400000_NS6detail17trampoline_kernelINS0_14default_configENS1_25partition_config_selectorILNS1_17partition_subalgoE9EllbEEZZNS1_14partition_implILS5_9ELb0ES3_jPKlN6thrust23THRUST_200600_302600_NS17counting_iteratorIlNSB_11use_defaultESD_SD_EEPNS0_10empty_typeENS0_5tupleIJPlSF_EEENSH_IJSI_SG_EEENS0_18inequality_wrapperIN6hipcub16HIPCUB_304000_NS8EqualityEEESI_JSF_EEE10hipError_tPvRmT3_T4_T5_T6_T7_T9_mT8_P12ihipStream_tbDpT10_ENKUlT_T0_E_clISt17integral_constantIbLb0EES18_IbLb1EEEEDaS14_S15_EUlS14_E_NS1_11comp_targetILNS1_3genE0ELNS1_11target_archE4294967295ELNS1_3gpuE0ELNS1_3repE0EEENS1_30default_config_static_selectorELNS0_4arch9wavefront6targetE0EEEvT1_.uses_vcc, 0
	.set _ZN7rocprim17ROCPRIM_400000_NS6detail17trampoline_kernelINS0_14default_configENS1_25partition_config_selectorILNS1_17partition_subalgoE9EllbEEZZNS1_14partition_implILS5_9ELb0ES3_jPKlN6thrust23THRUST_200600_302600_NS17counting_iteratorIlNSB_11use_defaultESD_SD_EEPNS0_10empty_typeENS0_5tupleIJPlSF_EEENSH_IJSI_SG_EEENS0_18inequality_wrapperIN6hipcub16HIPCUB_304000_NS8EqualityEEESI_JSF_EEE10hipError_tPvRmT3_T4_T5_T6_T7_T9_mT8_P12ihipStream_tbDpT10_ENKUlT_T0_E_clISt17integral_constantIbLb0EES18_IbLb1EEEEDaS14_S15_EUlS14_E_NS1_11comp_targetILNS1_3genE0ELNS1_11target_archE4294967295ELNS1_3gpuE0ELNS1_3repE0EEENS1_30default_config_static_selectorELNS0_4arch9wavefront6targetE0EEEvT1_.uses_flat_scratch, 0
	.set _ZN7rocprim17ROCPRIM_400000_NS6detail17trampoline_kernelINS0_14default_configENS1_25partition_config_selectorILNS1_17partition_subalgoE9EllbEEZZNS1_14partition_implILS5_9ELb0ES3_jPKlN6thrust23THRUST_200600_302600_NS17counting_iteratorIlNSB_11use_defaultESD_SD_EEPNS0_10empty_typeENS0_5tupleIJPlSF_EEENSH_IJSI_SG_EEENS0_18inequality_wrapperIN6hipcub16HIPCUB_304000_NS8EqualityEEESI_JSF_EEE10hipError_tPvRmT3_T4_T5_T6_T7_T9_mT8_P12ihipStream_tbDpT10_ENKUlT_T0_E_clISt17integral_constantIbLb0EES18_IbLb1EEEEDaS14_S15_EUlS14_E_NS1_11comp_targetILNS1_3genE0ELNS1_11target_archE4294967295ELNS1_3gpuE0ELNS1_3repE0EEENS1_30default_config_static_selectorELNS0_4arch9wavefront6targetE0EEEvT1_.has_dyn_sized_stack, 0
	.set _ZN7rocprim17ROCPRIM_400000_NS6detail17trampoline_kernelINS0_14default_configENS1_25partition_config_selectorILNS1_17partition_subalgoE9EllbEEZZNS1_14partition_implILS5_9ELb0ES3_jPKlN6thrust23THRUST_200600_302600_NS17counting_iteratorIlNSB_11use_defaultESD_SD_EEPNS0_10empty_typeENS0_5tupleIJPlSF_EEENSH_IJSI_SG_EEENS0_18inequality_wrapperIN6hipcub16HIPCUB_304000_NS8EqualityEEESI_JSF_EEE10hipError_tPvRmT3_T4_T5_T6_T7_T9_mT8_P12ihipStream_tbDpT10_ENKUlT_T0_E_clISt17integral_constantIbLb0EES18_IbLb1EEEEDaS14_S15_EUlS14_E_NS1_11comp_targetILNS1_3genE0ELNS1_11target_archE4294967295ELNS1_3gpuE0ELNS1_3repE0EEENS1_30default_config_static_selectorELNS0_4arch9wavefront6targetE0EEEvT1_.has_recursion, 0
	.set _ZN7rocprim17ROCPRIM_400000_NS6detail17trampoline_kernelINS0_14default_configENS1_25partition_config_selectorILNS1_17partition_subalgoE9EllbEEZZNS1_14partition_implILS5_9ELb0ES3_jPKlN6thrust23THRUST_200600_302600_NS17counting_iteratorIlNSB_11use_defaultESD_SD_EEPNS0_10empty_typeENS0_5tupleIJPlSF_EEENSH_IJSI_SG_EEENS0_18inequality_wrapperIN6hipcub16HIPCUB_304000_NS8EqualityEEESI_JSF_EEE10hipError_tPvRmT3_T4_T5_T6_T7_T9_mT8_P12ihipStream_tbDpT10_ENKUlT_T0_E_clISt17integral_constantIbLb0EES18_IbLb1EEEEDaS14_S15_EUlS14_E_NS1_11comp_targetILNS1_3genE0ELNS1_11target_archE4294967295ELNS1_3gpuE0ELNS1_3repE0EEENS1_30default_config_static_selectorELNS0_4arch9wavefront6targetE0EEEvT1_.has_indirect_call, 0
	.section	.AMDGPU.csdata,"",@progbits
; Kernel info:
; codeLenInByte = 0
; TotalNumSgprs: 0
; NumVgprs: 0
; ScratchSize: 0
; MemoryBound: 0
; FloatMode: 240
; IeeeMode: 1
; LDSByteSize: 0 bytes/workgroup (compile time only)
; SGPRBlocks: 0
; VGPRBlocks: 0
; NumSGPRsForWavesPerEU: 1
; NumVGPRsForWavesPerEU: 1
; Occupancy: 16
; WaveLimiterHint : 0
; COMPUTE_PGM_RSRC2:SCRATCH_EN: 0
; COMPUTE_PGM_RSRC2:USER_SGPR: 2
; COMPUTE_PGM_RSRC2:TRAP_HANDLER: 0
; COMPUTE_PGM_RSRC2:TGID_X_EN: 1
; COMPUTE_PGM_RSRC2:TGID_Y_EN: 0
; COMPUTE_PGM_RSRC2:TGID_Z_EN: 0
; COMPUTE_PGM_RSRC2:TIDIG_COMP_CNT: 0
	.section	.text._ZN7rocprim17ROCPRIM_400000_NS6detail17trampoline_kernelINS0_14default_configENS1_25partition_config_selectorILNS1_17partition_subalgoE9EllbEEZZNS1_14partition_implILS5_9ELb0ES3_jPKlN6thrust23THRUST_200600_302600_NS17counting_iteratorIlNSB_11use_defaultESD_SD_EEPNS0_10empty_typeENS0_5tupleIJPlSF_EEENSH_IJSI_SG_EEENS0_18inequality_wrapperIN6hipcub16HIPCUB_304000_NS8EqualityEEESI_JSF_EEE10hipError_tPvRmT3_T4_T5_T6_T7_T9_mT8_P12ihipStream_tbDpT10_ENKUlT_T0_E_clISt17integral_constantIbLb0EES18_IbLb1EEEEDaS14_S15_EUlS14_E_NS1_11comp_targetILNS1_3genE5ELNS1_11target_archE942ELNS1_3gpuE9ELNS1_3repE0EEENS1_30default_config_static_selectorELNS0_4arch9wavefront6targetE0EEEvT1_,"axG",@progbits,_ZN7rocprim17ROCPRIM_400000_NS6detail17trampoline_kernelINS0_14default_configENS1_25partition_config_selectorILNS1_17partition_subalgoE9EllbEEZZNS1_14partition_implILS5_9ELb0ES3_jPKlN6thrust23THRUST_200600_302600_NS17counting_iteratorIlNSB_11use_defaultESD_SD_EEPNS0_10empty_typeENS0_5tupleIJPlSF_EEENSH_IJSI_SG_EEENS0_18inequality_wrapperIN6hipcub16HIPCUB_304000_NS8EqualityEEESI_JSF_EEE10hipError_tPvRmT3_T4_T5_T6_T7_T9_mT8_P12ihipStream_tbDpT10_ENKUlT_T0_E_clISt17integral_constantIbLb0EES18_IbLb1EEEEDaS14_S15_EUlS14_E_NS1_11comp_targetILNS1_3genE5ELNS1_11target_archE942ELNS1_3gpuE9ELNS1_3repE0EEENS1_30default_config_static_selectorELNS0_4arch9wavefront6targetE0EEEvT1_,comdat
	.protected	_ZN7rocprim17ROCPRIM_400000_NS6detail17trampoline_kernelINS0_14default_configENS1_25partition_config_selectorILNS1_17partition_subalgoE9EllbEEZZNS1_14partition_implILS5_9ELb0ES3_jPKlN6thrust23THRUST_200600_302600_NS17counting_iteratorIlNSB_11use_defaultESD_SD_EEPNS0_10empty_typeENS0_5tupleIJPlSF_EEENSH_IJSI_SG_EEENS0_18inequality_wrapperIN6hipcub16HIPCUB_304000_NS8EqualityEEESI_JSF_EEE10hipError_tPvRmT3_T4_T5_T6_T7_T9_mT8_P12ihipStream_tbDpT10_ENKUlT_T0_E_clISt17integral_constantIbLb0EES18_IbLb1EEEEDaS14_S15_EUlS14_E_NS1_11comp_targetILNS1_3genE5ELNS1_11target_archE942ELNS1_3gpuE9ELNS1_3repE0EEENS1_30default_config_static_selectorELNS0_4arch9wavefront6targetE0EEEvT1_ ; -- Begin function _ZN7rocprim17ROCPRIM_400000_NS6detail17trampoline_kernelINS0_14default_configENS1_25partition_config_selectorILNS1_17partition_subalgoE9EllbEEZZNS1_14partition_implILS5_9ELb0ES3_jPKlN6thrust23THRUST_200600_302600_NS17counting_iteratorIlNSB_11use_defaultESD_SD_EEPNS0_10empty_typeENS0_5tupleIJPlSF_EEENSH_IJSI_SG_EEENS0_18inequality_wrapperIN6hipcub16HIPCUB_304000_NS8EqualityEEESI_JSF_EEE10hipError_tPvRmT3_T4_T5_T6_T7_T9_mT8_P12ihipStream_tbDpT10_ENKUlT_T0_E_clISt17integral_constantIbLb0EES18_IbLb1EEEEDaS14_S15_EUlS14_E_NS1_11comp_targetILNS1_3genE5ELNS1_11target_archE942ELNS1_3gpuE9ELNS1_3repE0EEENS1_30default_config_static_selectorELNS0_4arch9wavefront6targetE0EEEvT1_
	.globl	_ZN7rocprim17ROCPRIM_400000_NS6detail17trampoline_kernelINS0_14default_configENS1_25partition_config_selectorILNS1_17partition_subalgoE9EllbEEZZNS1_14partition_implILS5_9ELb0ES3_jPKlN6thrust23THRUST_200600_302600_NS17counting_iteratorIlNSB_11use_defaultESD_SD_EEPNS0_10empty_typeENS0_5tupleIJPlSF_EEENSH_IJSI_SG_EEENS0_18inequality_wrapperIN6hipcub16HIPCUB_304000_NS8EqualityEEESI_JSF_EEE10hipError_tPvRmT3_T4_T5_T6_T7_T9_mT8_P12ihipStream_tbDpT10_ENKUlT_T0_E_clISt17integral_constantIbLb0EES18_IbLb1EEEEDaS14_S15_EUlS14_E_NS1_11comp_targetILNS1_3genE5ELNS1_11target_archE942ELNS1_3gpuE9ELNS1_3repE0EEENS1_30default_config_static_selectorELNS0_4arch9wavefront6targetE0EEEvT1_
	.p2align	8
	.type	_ZN7rocprim17ROCPRIM_400000_NS6detail17trampoline_kernelINS0_14default_configENS1_25partition_config_selectorILNS1_17partition_subalgoE9EllbEEZZNS1_14partition_implILS5_9ELb0ES3_jPKlN6thrust23THRUST_200600_302600_NS17counting_iteratorIlNSB_11use_defaultESD_SD_EEPNS0_10empty_typeENS0_5tupleIJPlSF_EEENSH_IJSI_SG_EEENS0_18inequality_wrapperIN6hipcub16HIPCUB_304000_NS8EqualityEEESI_JSF_EEE10hipError_tPvRmT3_T4_T5_T6_T7_T9_mT8_P12ihipStream_tbDpT10_ENKUlT_T0_E_clISt17integral_constantIbLb0EES18_IbLb1EEEEDaS14_S15_EUlS14_E_NS1_11comp_targetILNS1_3genE5ELNS1_11target_archE942ELNS1_3gpuE9ELNS1_3repE0EEENS1_30default_config_static_selectorELNS0_4arch9wavefront6targetE0EEEvT1_,@function
_ZN7rocprim17ROCPRIM_400000_NS6detail17trampoline_kernelINS0_14default_configENS1_25partition_config_selectorILNS1_17partition_subalgoE9EllbEEZZNS1_14partition_implILS5_9ELb0ES3_jPKlN6thrust23THRUST_200600_302600_NS17counting_iteratorIlNSB_11use_defaultESD_SD_EEPNS0_10empty_typeENS0_5tupleIJPlSF_EEENSH_IJSI_SG_EEENS0_18inequality_wrapperIN6hipcub16HIPCUB_304000_NS8EqualityEEESI_JSF_EEE10hipError_tPvRmT3_T4_T5_T6_T7_T9_mT8_P12ihipStream_tbDpT10_ENKUlT_T0_E_clISt17integral_constantIbLb0EES18_IbLb1EEEEDaS14_S15_EUlS14_E_NS1_11comp_targetILNS1_3genE5ELNS1_11target_archE942ELNS1_3gpuE9ELNS1_3repE0EEENS1_30default_config_static_selectorELNS0_4arch9wavefront6targetE0EEEvT1_: ; @_ZN7rocprim17ROCPRIM_400000_NS6detail17trampoline_kernelINS0_14default_configENS1_25partition_config_selectorILNS1_17partition_subalgoE9EllbEEZZNS1_14partition_implILS5_9ELb0ES3_jPKlN6thrust23THRUST_200600_302600_NS17counting_iteratorIlNSB_11use_defaultESD_SD_EEPNS0_10empty_typeENS0_5tupleIJPlSF_EEENSH_IJSI_SG_EEENS0_18inequality_wrapperIN6hipcub16HIPCUB_304000_NS8EqualityEEESI_JSF_EEE10hipError_tPvRmT3_T4_T5_T6_T7_T9_mT8_P12ihipStream_tbDpT10_ENKUlT_T0_E_clISt17integral_constantIbLb0EES18_IbLb1EEEEDaS14_S15_EUlS14_E_NS1_11comp_targetILNS1_3genE5ELNS1_11target_archE942ELNS1_3gpuE9ELNS1_3repE0EEENS1_30default_config_static_selectorELNS0_4arch9wavefront6targetE0EEEvT1_
; %bb.0:
	.section	.rodata,"a",@progbits
	.p2align	6, 0x0
	.amdhsa_kernel _ZN7rocprim17ROCPRIM_400000_NS6detail17trampoline_kernelINS0_14default_configENS1_25partition_config_selectorILNS1_17partition_subalgoE9EllbEEZZNS1_14partition_implILS5_9ELb0ES3_jPKlN6thrust23THRUST_200600_302600_NS17counting_iteratorIlNSB_11use_defaultESD_SD_EEPNS0_10empty_typeENS0_5tupleIJPlSF_EEENSH_IJSI_SG_EEENS0_18inequality_wrapperIN6hipcub16HIPCUB_304000_NS8EqualityEEESI_JSF_EEE10hipError_tPvRmT3_T4_T5_T6_T7_T9_mT8_P12ihipStream_tbDpT10_ENKUlT_T0_E_clISt17integral_constantIbLb0EES18_IbLb1EEEEDaS14_S15_EUlS14_E_NS1_11comp_targetILNS1_3genE5ELNS1_11target_archE942ELNS1_3gpuE9ELNS1_3repE0EEENS1_30default_config_static_selectorELNS0_4arch9wavefront6targetE0EEEvT1_
		.amdhsa_group_segment_fixed_size 0
		.amdhsa_private_segment_fixed_size 0
		.amdhsa_kernarg_size 128
		.amdhsa_user_sgpr_count 2
		.amdhsa_user_sgpr_dispatch_ptr 0
		.amdhsa_user_sgpr_queue_ptr 0
		.amdhsa_user_sgpr_kernarg_segment_ptr 1
		.amdhsa_user_sgpr_dispatch_id 0
		.amdhsa_user_sgpr_private_segment_size 0
		.amdhsa_wavefront_size32 1
		.amdhsa_uses_dynamic_stack 0
		.amdhsa_enable_private_segment 0
		.amdhsa_system_sgpr_workgroup_id_x 1
		.amdhsa_system_sgpr_workgroup_id_y 0
		.amdhsa_system_sgpr_workgroup_id_z 0
		.amdhsa_system_sgpr_workgroup_info 0
		.amdhsa_system_vgpr_workitem_id 0
		.amdhsa_next_free_vgpr 1
		.amdhsa_next_free_sgpr 1
		.amdhsa_reserve_vcc 0
		.amdhsa_float_round_mode_32 0
		.amdhsa_float_round_mode_16_64 0
		.amdhsa_float_denorm_mode_32 3
		.amdhsa_float_denorm_mode_16_64 3
		.amdhsa_fp16_overflow 0
		.amdhsa_workgroup_processor_mode 1
		.amdhsa_memory_ordered 1
		.amdhsa_forward_progress 1
		.amdhsa_inst_pref_size 0
		.amdhsa_round_robin_scheduling 0
		.amdhsa_exception_fp_ieee_invalid_op 0
		.amdhsa_exception_fp_denorm_src 0
		.amdhsa_exception_fp_ieee_div_zero 0
		.amdhsa_exception_fp_ieee_overflow 0
		.amdhsa_exception_fp_ieee_underflow 0
		.amdhsa_exception_fp_ieee_inexact 0
		.amdhsa_exception_int_div_zero 0
	.end_amdhsa_kernel
	.section	.text._ZN7rocprim17ROCPRIM_400000_NS6detail17trampoline_kernelINS0_14default_configENS1_25partition_config_selectorILNS1_17partition_subalgoE9EllbEEZZNS1_14partition_implILS5_9ELb0ES3_jPKlN6thrust23THRUST_200600_302600_NS17counting_iteratorIlNSB_11use_defaultESD_SD_EEPNS0_10empty_typeENS0_5tupleIJPlSF_EEENSH_IJSI_SG_EEENS0_18inequality_wrapperIN6hipcub16HIPCUB_304000_NS8EqualityEEESI_JSF_EEE10hipError_tPvRmT3_T4_T5_T6_T7_T9_mT8_P12ihipStream_tbDpT10_ENKUlT_T0_E_clISt17integral_constantIbLb0EES18_IbLb1EEEEDaS14_S15_EUlS14_E_NS1_11comp_targetILNS1_3genE5ELNS1_11target_archE942ELNS1_3gpuE9ELNS1_3repE0EEENS1_30default_config_static_selectorELNS0_4arch9wavefront6targetE0EEEvT1_,"axG",@progbits,_ZN7rocprim17ROCPRIM_400000_NS6detail17trampoline_kernelINS0_14default_configENS1_25partition_config_selectorILNS1_17partition_subalgoE9EllbEEZZNS1_14partition_implILS5_9ELb0ES3_jPKlN6thrust23THRUST_200600_302600_NS17counting_iteratorIlNSB_11use_defaultESD_SD_EEPNS0_10empty_typeENS0_5tupleIJPlSF_EEENSH_IJSI_SG_EEENS0_18inequality_wrapperIN6hipcub16HIPCUB_304000_NS8EqualityEEESI_JSF_EEE10hipError_tPvRmT3_T4_T5_T6_T7_T9_mT8_P12ihipStream_tbDpT10_ENKUlT_T0_E_clISt17integral_constantIbLb0EES18_IbLb1EEEEDaS14_S15_EUlS14_E_NS1_11comp_targetILNS1_3genE5ELNS1_11target_archE942ELNS1_3gpuE9ELNS1_3repE0EEENS1_30default_config_static_selectorELNS0_4arch9wavefront6targetE0EEEvT1_,comdat
.Lfunc_end69:
	.size	_ZN7rocprim17ROCPRIM_400000_NS6detail17trampoline_kernelINS0_14default_configENS1_25partition_config_selectorILNS1_17partition_subalgoE9EllbEEZZNS1_14partition_implILS5_9ELb0ES3_jPKlN6thrust23THRUST_200600_302600_NS17counting_iteratorIlNSB_11use_defaultESD_SD_EEPNS0_10empty_typeENS0_5tupleIJPlSF_EEENSH_IJSI_SG_EEENS0_18inequality_wrapperIN6hipcub16HIPCUB_304000_NS8EqualityEEESI_JSF_EEE10hipError_tPvRmT3_T4_T5_T6_T7_T9_mT8_P12ihipStream_tbDpT10_ENKUlT_T0_E_clISt17integral_constantIbLb0EES18_IbLb1EEEEDaS14_S15_EUlS14_E_NS1_11comp_targetILNS1_3genE5ELNS1_11target_archE942ELNS1_3gpuE9ELNS1_3repE0EEENS1_30default_config_static_selectorELNS0_4arch9wavefront6targetE0EEEvT1_, .Lfunc_end69-_ZN7rocprim17ROCPRIM_400000_NS6detail17trampoline_kernelINS0_14default_configENS1_25partition_config_selectorILNS1_17partition_subalgoE9EllbEEZZNS1_14partition_implILS5_9ELb0ES3_jPKlN6thrust23THRUST_200600_302600_NS17counting_iteratorIlNSB_11use_defaultESD_SD_EEPNS0_10empty_typeENS0_5tupleIJPlSF_EEENSH_IJSI_SG_EEENS0_18inequality_wrapperIN6hipcub16HIPCUB_304000_NS8EqualityEEESI_JSF_EEE10hipError_tPvRmT3_T4_T5_T6_T7_T9_mT8_P12ihipStream_tbDpT10_ENKUlT_T0_E_clISt17integral_constantIbLb0EES18_IbLb1EEEEDaS14_S15_EUlS14_E_NS1_11comp_targetILNS1_3genE5ELNS1_11target_archE942ELNS1_3gpuE9ELNS1_3repE0EEENS1_30default_config_static_selectorELNS0_4arch9wavefront6targetE0EEEvT1_
                                        ; -- End function
	.set _ZN7rocprim17ROCPRIM_400000_NS6detail17trampoline_kernelINS0_14default_configENS1_25partition_config_selectorILNS1_17partition_subalgoE9EllbEEZZNS1_14partition_implILS5_9ELb0ES3_jPKlN6thrust23THRUST_200600_302600_NS17counting_iteratorIlNSB_11use_defaultESD_SD_EEPNS0_10empty_typeENS0_5tupleIJPlSF_EEENSH_IJSI_SG_EEENS0_18inequality_wrapperIN6hipcub16HIPCUB_304000_NS8EqualityEEESI_JSF_EEE10hipError_tPvRmT3_T4_T5_T6_T7_T9_mT8_P12ihipStream_tbDpT10_ENKUlT_T0_E_clISt17integral_constantIbLb0EES18_IbLb1EEEEDaS14_S15_EUlS14_E_NS1_11comp_targetILNS1_3genE5ELNS1_11target_archE942ELNS1_3gpuE9ELNS1_3repE0EEENS1_30default_config_static_selectorELNS0_4arch9wavefront6targetE0EEEvT1_.num_vgpr, 0
	.set _ZN7rocprim17ROCPRIM_400000_NS6detail17trampoline_kernelINS0_14default_configENS1_25partition_config_selectorILNS1_17partition_subalgoE9EllbEEZZNS1_14partition_implILS5_9ELb0ES3_jPKlN6thrust23THRUST_200600_302600_NS17counting_iteratorIlNSB_11use_defaultESD_SD_EEPNS0_10empty_typeENS0_5tupleIJPlSF_EEENSH_IJSI_SG_EEENS0_18inequality_wrapperIN6hipcub16HIPCUB_304000_NS8EqualityEEESI_JSF_EEE10hipError_tPvRmT3_T4_T5_T6_T7_T9_mT8_P12ihipStream_tbDpT10_ENKUlT_T0_E_clISt17integral_constantIbLb0EES18_IbLb1EEEEDaS14_S15_EUlS14_E_NS1_11comp_targetILNS1_3genE5ELNS1_11target_archE942ELNS1_3gpuE9ELNS1_3repE0EEENS1_30default_config_static_selectorELNS0_4arch9wavefront6targetE0EEEvT1_.num_agpr, 0
	.set _ZN7rocprim17ROCPRIM_400000_NS6detail17trampoline_kernelINS0_14default_configENS1_25partition_config_selectorILNS1_17partition_subalgoE9EllbEEZZNS1_14partition_implILS5_9ELb0ES3_jPKlN6thrust23THRUST_200600_302600_NS17counting_iteratorIlNSB_11use_defaultESD_SD_EEPNS0_10empty_typeENS0_5tupleIJPlSF_EEENSH_IJSI_SG_EEENS0_18inequality_wrapperIN6hipcub16HIPCUB_304000_NS8EqualityEEESI_JSF_EEE10hipError_tPvRmT3_T4_T5_T6_T7_T9_mT8_P12ihipStream_tbDpT10_ENKUlT_T0_E_clISt17integral_constantIbLb0EES18_IbLb1EEEEDaS14_S15_EUlS14_E_NS1_11comp_targetILNS1_3genE5ELNS1_11target_archE942ELNS1_3gpuE9ELNS1_3repE0EEENS1_30default_config_static_selectorELNS0_4arch9wavefront6targetE0EEEvT1_.numbered_sgpr, 0
	.set _ZN7rocprim17ROCPRIM_400000_NS6detail17trampoline_kernelINS0_14default_configENS1_25partition_config_selectorILNS1_17partition_subalgoE9EllbEEZZNS1_14partition_implILS5_9ELb0ES3_jPKlN6thrust23THRUST_200600_302600_NS17counting_iteratorIlNSB_11use_defaultESD_SD_EEPNS0_10empty_typeENS0_5tupleIJPlSF_EEENSH_IJSI_SG_EEENS0_18inequality_wrapperIN6hipcub16HIPCUB_304000_NS8EqualityEEESI_JSF_EEE10hipError_tPvRmT3_T4_T5_T6_T7_T9_mT8_P12ihipStream_tbDpT10_ENKUlT_T0_E_clISt17integral_constantIbLb0EES18_IbLb1EEEEDaS14_S15_EUlS14_E_NS1_11comp_targetILNS1_3genE5ELNS1_11target_archE942ELNS1_3gpuE9ELNS1_3repE0EEENS1_30default_config_static_selectorELNS0_4arch9wavefront6targetE0EEEvT1_.num_named_barrier, 0
	.set _ZN7rocprim17ROCPRIM_400000_NS6detail17trampoline_kernelINS0_14default_configENS1_25partition_config_selectorILNS1_17partition_subalgoE9EllbEEZZNS1_14partition_implILS5_9ELb0ES3_jPKlN6thrust23THRUST_200600_302600_NS17counting_iteratorIlNSB_11use_defaultESD_SD_EEPNS0_10empty_typeENS0_5tupleIJPlSF_EEENSH_IJSI_SG_EEENS0_18inequality_wrapperIN6hipcub16HIPCUB_304000_NS8EqualityEEESI_JSF_EEE10hipError_tPvRmT3_T4_T5_T6_T7_T9_mT8_P12ihipStream_tbDpT10_ENKUlT_T0_E_clISt17integral_constantIbLb0EES18_IbLb1EEEEDaS14_S15_EUlS14_E_NS1_11comp_targetILNS1_3genE5ELNS1_11target_archE942ELNS1_3gpuE9ELNS1_3repE0EEENS1_30default_config_static_selectorELNS0_4arch9wavefront6targetE0EEEvT1_.private_seg_size, 0
	.set _ZN7rocprim17ROCPRIM_400000_NS6detail17trampoline_kernelINS0_14default_configENS1_25partition_config_selectorILNS1_17partition_subalgoE9EllbEEZZNS1_14partition_implILS5_9ELb0ES3_jPKlN6thrust23THRUST_200600_302600_NS17counting_iteratorIlNSB_11use_defaultESD_SD_EEPNS0_10empty_typeENS0_5tupleIJPlSF_EEENSH_IJSI_SG_EEENS0_18inequality_wrapperIN6hipcub16HIPCUB_304000_NS8EqualityEEESI_JSF_EEE10hipError_tPvRmT3_T4_T5_T6_T7_T9_mT8_P12ihipStream_tbDpT10_ENKUlT_T0_E_clISt17integral_constantIbLb0EES18_IbLb1EEEEDaS14_S15_EUlS14_E_NS1_11comp_targetILNS1_3genE5ELNS1_11target_archE942ELNS1_3gpuE9ELNS1_3repE0EEENS1_30default_config_static_selectorELNS0_4arch9wavefront6targetE0EEEvT1_.uses_vcc, 0
	.set _ZN7rocprim17ROCPRIM_400000_NS6detail17trampoline_kernelINS0_14default_configENS1_25partition_config_selectorILNS1_17partition_subalgoE9EllbEEZZNS1_14partition_implILS5_9ELb0ES3_jPKlN6thrust23THRUST_200600_302600_NS17counting_iteratorIlNSB_11use_defaultESD_SD_EEPNS0_10empty_typeENS0_5tupleIJPlSF_EEENSH_IJSI_SG_EEENS0_18inequality_wrapperIN6hipcub16HIPCUB_304000_NS8EqualityEEESI_JSF_EEE10hipError_tPvRmT3_T4_T5_T6_T7_T9_mT8_P12ihipStream_tbDpT10_ENKUlT_T0_E_clISt17integral_constantIbLb0EES18_IbLb1EEEEDaS14_S15_EUlS14_E_NS1_11comp_targetILNS1_3genE5ELNS1_11target_archE942ELNS1_3gpuE9ELNS1_3repE0EEENS1_30default_config_static_selectorELNS0_4arch9wavefront6targetE0EEEvT1_.uses_flat_scratch, 0
	.set _ZN7rocprim17ROCPRIM_400000_NS6detail17trampoline_kernelINS0_14default_configENS1_25partition_config_selectorILNS1_17partition_subalgoE9EllbEEZZNS1_14partition_implILS5_9ELb0ES3_jPKlN6thrust23THRUST_200600_302600_NS17counting_iteratorIlNSB_11use_defaultESD_SD_EEPNS0_10empty_typeENS0_5tupleIJPlSF_EEENSH_IJSI_SG_EEENS0_18inequality_wrapperIN6hipcub16HIPCUB_304000_NS8EqualityEEESI_JSF_EEE10hipError_tPvRmT3_T4_T5_T6_T7_T9_mT8_P12ihipStream_tbDpT10_ENKUlT_T0_E_clISt17integral_constantIbLb0EES18_IbLb1EEEEDaS14_S15_EUlS14_E_NS1_11comp_targetILNS1_3genE5ELNS1_11target_archE942ELNS1_3gpuE9ELNS1_3repE0EEENS1_30default_config_static_selectorELNS0_4arch9wavefront6targetE0EEEvT1_.has_dyn_sized_stack, 0
	.set _ZN7rocprim17ROCPRIM_400000_NS6detail17trampoline_kernelINS0_14default_configENS1_25partition_config_selectorILNS1_17partition_subalgoE9EllbEEZZNS1_14partition_implILS5_9ELb0ES3_jPKlN6thrust23THRUST_200600_302600_NS17counting_iteratorIlNSB_11use_defaultESD_SD_EEPNS0_10empty_typeENS0_5tupleIJPlSF_EEENSH_IJSI_SG_EEENS0_18inequality_wrapperIN6hipcub16HIPCUB_304000_NS8EqualityEEESI_JSF_EEE10hipError_tPvRmT3_T4_T5_T6_T7_T9_mT8_P12ihipStream_tbDpT10_ENKUlT_T0_E_clISt17integral_constantIbLb0EES18_IbLb1EEEEDaS14_S15_EUlS14_E_NS1_11comp_targetILNS1_3genE5ELNS1_11target_archE942ELNS1_3gpuE9ELNS1_3repE0EEENS1_30default_config_static_selectorELNS0_4arch9wavefront6targetE0EEEvT1_.has_recursion, 0
	.set _ZN7rocprim17ROCPRIM_400000_NS6detail17trampoline_kernelINS0_14default_configENS1_25partition_config_selectorILNS1_17partition_subalgoE9EllbEEZZNS1_14partition_implILS5_9ELb0ES3_jPKlN6thrust23THRUST_200600_302600_NS17counting_iteratorIlNSB_11use_defaultESD_SD_EEPNS0_10empty_typeENS0_5tupleIJPlSF_EEENSH_IJSI_SG_EEENS0_18inequality_wrapperIN6hipcub16HIPCUB_304000_NS8EqualityEEESI_JSF_EEE10hipError_tPvRmT3_T4_T5_T6_T7_T9_mT8_P12ihipStream_tbDpT10_ENKUlT_T0_E_clISt17integral_constantIbLb0EES18_IbLb1EEEEDaS14_S15_EUlS14_E_NS1_11comp_targetILNS1_3genE5ELNS1_11target_archE942ELNS1_3gpuE9ELNS1_3repE0EEENS1_30default_config_static_selectorELNS0_4arch9wavefront6targetE0EEEvT1_.has_indirect_call, 0
	.section	.AMDGPU.csdata,"",@progbits
; Kernel info:
; codeLenInByte = 0
; TotalNumSgprs: 0
; NumVgprs: 0
; ScratchSize: 0
; MemoryBound: 0
; FloatMode: 240
; IeeeMode: 1
; LDSByteSize: 0 bytes/workgroup (compile time only)
; SGPRBlocks: 0
; VGPRBlocks: 0
; NumSGPRsForWavesPerEU: 1
; NumVGPRsForWavesPerEU: 1
; Occupancy: 16
; WaveLimiterHint : 0
; COMPUTE_PGM_RSRC2:SCRATCH_EN: 0
; COMPUTE_PGM_RSRC2:USER_SGPR: 2
; COMPUTE_PGM_RSRC2:TRAP_HANDLER: 0
; COMPUTE_PGM_RSRC2:TGID_X_EN: 1
; COMPUTE_PGM_RSRC2:TGID_Y_EN: 0
; COMPUTE_PGM_RSRC2:TGID_Z_EN: 0
; COMPUTE_PGM_RSRC2:TIDIG_COMP_CNT: 0
	.section	.text._ZN7rocprim17ROCPRIM_400000_NS6detail17trampoline_kernelINS0_14default_configENS1_25partition_config_selectorILNS1_17partition_subalgoE9EllbEEZZNS1_14partition_implILS5_9ELb0ES3_jPKlN6thrust23THRUST_200600_302600_NS17counting_iteratorIlNSB_11use_defaultESD_SD_EEPNS0_10empty_typeENS0_5tupleIJPlSF_EEENSH_IJSI_SG_EEENS0_18inequality_wrapperIN6hipcub16HIPCUB_304000_NS8EqualityEEESI_JSF_EEE10hipError_tPvRmT3_T4_T5_T6_T7_T9_mT8_P12ihipStream_tbDpT10_ENKUlT_T0_E_clISt17integral_constantIbLb0EES18_IbLb1EEEEDaS14_S15_EUlS14_E_NS1_11comp_targetILNS1_3genE4ELNS1_11target_archE910ELNS1_3gpuE8ELNS1_3repE0EEENS1_30default_config_static_selectorELNS0_4arch9wavefront6targetE0EEEvT1_,"axG",@progbits,_ZN7rocprim17ROCPRIM_400000_NS6detail17trampoline_kernelINS0_14default_configENS1_25partition_config_selectorILNS1_17partition_subalgoE9EllbEEZZNS1_14partition_implILS5_9ELb0ES3_jPKlN6thrust23THRUST_200600_302600_NS17counting_iteratorIlNSB_11use_defaultESD_SD_EEPNS0_10empty_typeENS0_5tupleIJPlSF_EEENSH_IJSI_SG_EEENS0_18inequality_wrapperIN6hipcub16HIPCUB_304000_NS8EqualityEEESI_JSF_EEE10hipError_tPvRmT3_T4_T5_T6_T7_T9_mT8_P12ihipStream_tbDpT10_ENKUlT_T0_E_clISt17integral_constantIbLb0EES18_IbLb1EEEEDaS14_S15_EUlS14_E_NS1_11comp_targetILNS1_3genE4ELNS1_11target_archE910ELNS1_3gpuE8ELNS1_3repE0EEENS1_30default_config_static_selectorELNS0_4arch9wavefront6targetE0EEEvT1_,comdat
	.protected	_ZN7rocprim17ROCPRIM_400000_NS6detail17trampoline_kernelINS0_14default_configENS1_25partition_config_selectorILNS1_17partition_subalgoE9EllbEEZZNS1_14partition_implILS5_9ELb0ES3_jPKlN6thrust23THRUST_200600_302600_NS17counting_iteratorIlNSB_11use_defaultESD_SD_EEPNS0_10empty_typeENS0_5tupleIJPlSF_EEENSH_IJSI_SG_EEENS0_18inequality_wrapperIN6hipcub16HIPCUB_304000_NS8EqualityEEESI_JSF_EEE10hipError_tPvRmT3_T4_T5_T6_T7_T9_mT8_P12ihipStream_tbDpT10_ENKUlT_T0_E_clISt17integral_constantIbLb0EES18_IbLb1EEEEDaS14_S15_EUlS14_E_NS1_11comp_targetILNS1_3genE4ELNS1_11target_archE910ELNS1_3gpuE8ELNS1_3repE0EEENS1_30default_config_static_selectorELNS0_4arch9wavefront6targetE0EEEvT1_ ; -- Begin function _ZN7rocprim17ROCPRIM_400000_NS6detail17trampoline_kernelINS0_14default_configENS1_25partition_config_selectorILNS1_17partition_subalgoE9EllbEEZZNS1_14partition_implILS5_9ELb0ES3_jPKlN6thrust23THRUST_200600_302600_NS17counting_iteratorIlNSB_11use_defaultESD_SD_EEPNS0_10empty_typeENS0_5tupleIJPlSF_EEENSH_IJSI_SG_EEENS0_18inequality_wrapperIN6hipcub16HIPCUB_304000_NS8EqualityEEESI_JSF_EEE10hipError_tPvRmT3_T4_T5_T6_T7_T9_mT8_P12ihipStream_tbDpT10_ENKUlT_T0_E_clISt17integral_constantIbLb0EES18_IbLb1EEEEDaS14_S15_EUlS14_E_NS1_11comp_targetILNS1_3genE4ELNS1_11target_archE910ELNS1_3gpuE8ELNS1_3repE0EEENS1_30default_config_static_selectorELNS0_4arch9wavefront6targetE0EEEvT1_
	.globl	_ZN7rocprim17ROCPRIM_400000_NS6detail17trampoline_kernelINS0_14default_configENS1_25partition_config_selectorILNS1_17partition_subalgoE9EllbEEZZNS1_14partition_implILS5_9ELb0ES3_jPKlN6thrust23THRUST_200600_302600_NS17counting_iteratorIlNSB_11use_defaultESD_SD_EEPNS0_10empty_typeENS0_5tupleIJPlSF_EEENSH_IJSI_SG_EEENS0_18inequality_wrapperIN6hipcub16HIPCUB_304000_NS8EqualityEEESI_JSF_EEE10hipError_tPvRmT3_T4_T5_T6_T7_T9_mT8_P12ihipStream_tbDpT10_ENKUlT_T0_E_clISt17integral_constantIbLb0EES18_IbLb1EEEEDaS14_S15_EUlS14_E_NS1_11comp_targetILNS1_3genE4ELNS1_11target_archE910ELNS1_3gpuE8ELNS1_3repE0EEENS1_30default_config_static_selectorELNS0_4arch9wavefront6targetE0EEEvT1_
	.p2align	8
	.type	_ZN7rocprim17ROCPRIM_400000_NS6detail17trampoline_kernelINS0_14default_configENS1_25partition_config_selectorILNS1_17partition_subalgoE9EllbEEZZNS1_14partition_implILS5_9ELb0ES3_jPKlN6thrust23THRUST_200600_302600_NS17counting_iteratorIlNSB_11use_defaultESD_SD_EEPNS0_10empty_typeENS0_5tupleIJPlSF_EEENSH_IJSI_SG_EEENS0_18inequality_wrapperIN6hipcub16HIPCUB_304000_NS8EqualityEEESI_JSF_EEE10hipError_tPvRmT3_T4_T5_T6_T7_T9_mT8_P12ihipStream_tbDpT10_ENKUlT_T0_E_clISt17integral_constantIbLb0EES18_IbLb1EEEEDaS14_S15_EUlS14_E_NS1_11comp_targetILNS1_3genE4ELNS1_11target_archE910ELNS1_3gpuE8ELNS1_3repE0EEENS1_30default_config_static_selectorELNS0_4arch9wavefront6targetE0EEEvT1_,@function
_ZN7rocprim17ROCPRIM_400000_NS6detail17trampoline_kernelINS0_14default_configENS1_25partition_config_selectorILNS1_17partition_subalgoE9EllbEEZZNS1_14partition_implILS5_9ELb0ES3_jPKlN6thrust23THRUST_200600_302600_NS17counting_iteratorIlNSB_11use_defaultESD_SD_EEPNS0_10empty_typeENS0_5tupleIJPlSF_EEENSH_IJSI_SG_EEENS0_18inequality_wrapperIN6hipcub16HIPCUB_304000_NS8EqualityEEESI_JSF_EEE10hipError_tPvRmT3_T4_T5_T6_T7_T9_mT8_P12ihipStream_tbDpT10_ENKUlT_T0_E_clISt17integral_constantIbLb0EES18_IbLb1EEEEDaS14_S15_EUlS14_E_NS1_11comp_targetILNS1_3genE4ELNS1_11target_archE910ELNS1_3gpuE8ELNS1_3repE0EEENS1_30default_config_static_selectorELNS0_4arch9wavefront6targetE0EEEvT1_: ; @_ZN7rocprim17ROCPRIM_400000_NS6detail17trampoline_kernelINS0_14default_configENS1_25partition_config_selectorILNS1_17partition_subalgoE9EllbEEZZNS1_14partition_implILS5_9ELb0ES3_jPKlN6thrust23THRUST_200600_302600_NS17counting_iteratorIlNSB_11use_defaultESD_SD_EEPNS0_10empty_typeENS0_5tupleIJPlSF_EEENSH_IJSI_SG_EEENS0_18inequality_wrapperIN6hipcub16HIPCUB_304000_NS8EqualityEEESI_JSF_EEE10hipError_tPvRmT3_T4_T5_T6_T7_T9_mT8_P12ihipStream_tbDpT10_ENKUlT_T0_E_clISt17integral_constantIbLb0EES18_IbLb1EEEEDaS14_S15_EUlS14_E_NS1_11comp_targetILNS1_3genE4ELNS1_11target_archE910ELNS1_3gpuE8ELNS1_3repE0EEENS1_30default_config_static_selectorELNS0_4arch9wavefront6targetE0EEEvT1_
; %bb.0:
	.section	.rodata,"a",@progbits
	.p2align	6, 0x0
	.amdhsa_kernel _ZN7rocprim17ROCPRIM_400000_NS6detail17trampoline_kernelINS0_14default_configENS1_25partition_config_selectorILNS1_17partition_subalgoE9EllbEEZZNS1_14partition_implILS5_9ELb0ES3_jPKlN6thrust23THRUST_200600_302600_NS17counting_iteratorIlNSB_11use_defaultESD_SD_EEPNS0_10empty_typeENS0_5tupleIJPlSF_EEENSH_IJSI_SG_EEENS0_18inequality_wrapperIN6hipcub16HIPCUB_304000_NS8EqualityEEESI_JSF_EEE10hipError_tPvRmT3_T4_T5_T6_T7_T9_mT8_P12ihipStream_tbDpT10_ENKUlT_T0_E_clISt17integral_constantIbLb0EES18_IbLb1EEEEDaS14_S15_EUlS14_E_NS1_11comp_targetILNS1_3genE4ELNS1_11target_archE910ELNS1_3gpuE8ELNS1_3repE0EEENS1_30default_config_static_selectorELNS0_4arch9wavefront6targetE0EEEvT1_
		.amdhsa_group_segment_fixed_size 0
		.amdhsa_private_segment_fixed_size 0
		.amdhsa_kernarg_size 128
		.amdhsa_user_sgpr_count 2
		.amdhsa_user_sgpr_dispatch_ptr 0
		.amdhsa_user_sgpr_queue_ptr 0
		.amdhsa_user_sgpr_kernarg_segment_ptr 1
		.amdhsa_user_sgpr_dispatch_id 0
		.amdhsa_user_sgpr_private_segment_size 0
		.amdhsa_wavefront_size32 1
		.amdhsa_uses_dynamic_stack 0
		.amdhsa_enable_private_segment 0
		.amdhsa_system_sgpr_workgroup_id_x 1
		.amdhsa_system_sgpr_workgroup_id_y 0
		.amdhsa_system_sgpr_workgroup_id_z 0
		.amdhsa_system_sgpr_workgroup_info 0
		.amdhsa_system_vgpr_workitem_id 0
		.amdhsa_next_free_vgpr 1
		.amdhsa_next_free_sgpr 1
		.amdhsa_reserve_vcc 0
		.amdhsa_float_round_mode_32 0
		.amdhsa_float_round_mode_16_64 0
		.amdhsa_float_denorm_mode_32 3
		.amdhsa_float_denorm_mode_16_64 3
		.amdhsa_fp16_overflow 0
		.amdhsa_workgroup_processor_mode 1
		.amdhsa_memory_ordered 1
		.amdhsa_forward_progress 1
		.amdhsa_inst_pref_size 0
		.amdhsa_round_robin_scheduling 0
		.amdhsa_exception_fp_ieee_invalid_op 0
		.amdhsa_exception_fp_denorm_src 0
		.amdhsa_exception_fp_ieee_div_zero 0
		.amdhsa_exception_fp_ieee_overflow 0
		.amdhsa_exception_fp_ieee_underflow 0
		.amdhsa_exception_fp_ieee_inexact 0
		.amdhsa_exception_int_div_zero 0
	.end_amdhsa_kernel
	.section	.text._ZN7rocprim17ROCPRIM_400000_NS6detail17trampoline_kernelINS0_14default_configENS1_25partition_config_selectorILNS1_17partition_subalgoE9EllbEEZZNS1_14partition_implILS5_9ELb0ES3_jPKlN6thrust23THRUST_200600_302600_NS17counting_iteratorIlNSB_11use_defaultESD_SD_EEPNS0_10empty_typeENS0_5tupleIJPlSF_EEENSH_IJSI_SG_EEENS0_18inequality_wrapperIN6hipcub16HIPCUB_304000_NS8EqualityEEESI_JSF_EEE10hipError_tPvRmT3_T4_T5_T6_T7_T9_mT8_P12ihipStream_tbDpT10_ENKUlT_T0_E_clISt17integral_constantIbLb0EES18_IbLb1EEEEDaS14_S15_EUlS14_E_NS1_11comp_targetILNS1_3genE4ELNS1_11target_archE910ELNS1_3gpuE8ELNS1_3repE0EEENS1_30default_config_static_selectorELNS0_4arch9wavefront6targetE0EEEvT1_,"axG",@progbits,_ZN7rocprim17ROCPRIM_400000_NS6detail17trampoline_kernelINS0_14default_configENS1_25partition_config_selectorILNS1_17partition_subalgoE9EllbEEZZNS1_14partition_implILS5_9ELb0ES3_jPKlN6thrust23THRUST_200600_302600_NS17counting_iteratorIlNSB_11use_defaultESD_SD_EEPNS0_10empty_typeENS0_5tupleIJPlSF_EEENSH_IJSI_SG_EEENS0_18inequality_wrapperIN6hipcub16HIPCUB_304000_NS8EqualityEEESI_JSF_EEE10hipError_tPvRmT3_T4_T5_T6_T7_T9_mT8_P12ihipStream_tbDpT10_ENKUlT_T0_E_clISt17integral_constantIbLb0EES18_IbLb1EEEEDaS14_S15_EUlS14_E_NS1_11comp_targetILNS1_3genE4ELNS1_11target_archE910ELNS1_3gpuE8ELNS1_3repE0EEENS1_30default_config_static_selectorELNS0_4arch9wavefront6targetE0EEEvT1_,comdat
.Lfunc_end70:
	.size	_ZN7rocprim17ROCPRIM_400000_NS6detail17trampoline_kernelINS0_14default_configENS1_25partition_config_selectorILNS1_17partition_subalgoE9EllbEEZZNS1_14partition_implILS5_9ELb0ES3_jPKlN6thrust23THRUST_200600_302600_NS17counting_iteratorIlNSB_11use_defaultESD_SD_EEPNS0_10empty_typeENS0_5tupleIJPlSF_EEENSH_IJSI_SG_EEENS0_18inequality_wrapperIN6hipcub16HIPCUB_304000_NS8EqualityEEESI_JSF_EEE10hipError_tPvRmT3_T4_T5_T6_T7_T9_mT8_P12ihipStream_tbDpT10_ENKUlT_T0_E_clISt17integral_constantIbLb0EES18_IbLb1EEEEDaS14_S15_EUlS14_E_NS1_11comp_targetILNS1_3genE4ELNS1_11target_archE910ELNS1_3gpuE8ELNS1_3repE0EEENS1_30default_config_static_selectorELNS0_4arch9wavefront6targetE0EEEvT1_, .Lfunc_end70-_ZN7rocprim17ROCPRIM_400000_NS6detail17trampoline_kernelINS0_14default_configENS1_25partition_config_selectorILNS1_17partition_subalgoE9EllbEEZZNS1_14partition_implILS5_9ELb0ES3_jPKlN6thrust23THRUST_200600_302600_NS17counting_iteratorIlNSB_11use_defaultESD_SD_EEPNS0_10empty_typeENS0_5tupleIJPlSF_EEENSH_IJSI_SG_EEENS0_18inequality_wrapperIN6hipcub16HIPCUB_304000_NS8EqualityEEESI_JSF_EEE10hipError_tPvRmT3_T4_T5_T6_T7_T9_mT8_P12ihipStream_tbDpT10_ENKUlT_T0_E_clISt17integral_constantIbLb0EES18_IbLb1EEEEDaS14_S15_EUlS14_E_NS1_11comp_targetILNS1_3genE4ELNS1_11target_archE910ELNS1_3gpuE8ELNS1_3repE0EEENS1_30default_config_static_selectorELNS0_4arch9wavefront6targetE0EEEvT1_
                                        ; -- End function
	.set _ZN7rocprim17ROCPRIM_400000_NS6detail17trampoline_kernelINS0_14default_configENS1_25partition_config_selectorILNS1_17partition_subalgoE9EllbEEZZNS1_14partition_implILS5_9ELb0ES3_jPKlN6thrust23THRUST_200600_302600_NS17counting_iteratorIlNSB_11use_defaultESD_SD_EEPNS0_10empty_typeENS0_5tupleIJPlSF_EEENSH_IJSI_SG_EEENS0_18inequality_wrapperIN6hipcub16HIPCUB_304000_NS8EqualityEEESI_JSF_EEE10hipError_tPvRmT3_T4_T5_T6_T7_T9_mT8_P12ihipStream_tbDpT10_ENKUlT_T0_E_clISt17integral_constantIbLb0EES18_IbLb1EEEEDaS14_S15_EUlS14_E_NS1_11comp_targetILNS1_3genE4ELNS1_11target_archE910ELNS1_3gpuE8ELNS1_3repE0EEENS1_30default_config_static_selectorELNS0_4arch9wavefront6targetE0EEEvT1_.num_vgpr, 0
	.set _ZN7rocprim17ROCPRIM_400000_NS6detail17trampoline_kernelINS0_14default_configENS1_25partition_config_selectorILNS1_17partition_subalgoE9EllbEEZZNS1_14partition_implILS5_9ELb0ES3_jPKlN6thrust23THRUST_200600_302600_NS17counting_iteratorIlNSB_11use_defaultESD_SD_EEPNS0_10empty_typeENS0_5tupleIJPlSF_EEENSH_IJSI_SG_EEENS0_18inequality_wrapperIN6hipcub16HIPCUB_304000_NS8EqualityEEESI_JSF_EEE10hipError_tPvRmT3_T4_T5_T6_T7_T9_mT8_P12ihipStream_tbDpT10_ENKUlT_T0_E_clISt17integral_constantIbLb0EES18_IbLb1EEEEDaS14_S15_EUlS14_E_NS1_11comp_targetILNS1_3genE4ELNS1_11target_archE910ELNS1_3gpuE8ELNS1_3repE0EEENS1_30default_config_static_selectorELNS0_4arch9wavefront6targetE0EEEvT1_.num_agpr, 0
	.set _ZN7rocprim17ROCPRIM_400000_NS6detail17trampoline_kernelINS0_14default_configENS1_25partition_config_selectorILNS1_17partition_subalgoE9EllbEEZZNS1_14partition_implILS5_9ELb0ES3_jPKlN6thrust23THRUST_200600_302600_NS17counting_iteratorIlNSB_11use_defaultESD_SD_EEPNS0_10empty_typeENS0_5tupleIJPlSF_EEENSH_IJSI_SG_EEENS0_18inequality_wrapperIN6hipcub16HIPCUB_304000_NS8EqualityEEESI_JSF_EEE10hipError_tPvRmT3_T4_T5_T6_T7_T9_mT8_P12ihipStream_tbDpT10_ENKUlT_T0_E_clISt17integral_constantIbLb0EES18_IbLb1EEEEDaS14_S15_EUlS14_E_NS1_11comp_targetILNS1_3genE4ELNS1_11target_archE910ELNS1_3gpuE8ELNS1_3repE0EEENS1_30default_config_static_selectorELNS0_4arch9wavefront6targetE0EEEvT1_.numbered_sgpr, 0
	.set _ZN7rocprim17ROCPRIM_400000_NS6detail17trampoline_kernelINS0_14default_configENS1_25partition_config_selectorILNS1_17partition_subalgoE9EllbEEZZNS1_14partition_implILS5_9ELb0ES3_jPKlN6thrust23THRUST_200600_302600_NS17counting_iteratorIlNSB_11use_defaultESD_SD_EEPNS0_10empty_typeENS0_5tupleIJPlSF_EEENSH_IJSI_SG_EEENS0_18inequality_wrapperIN6hipcub16HIPCUB_304000_NS8EqualityEEESI_JSF_EEE10hipError_tPvRmT3_T4_T5_T6_T7_T9_mT8_P12ihipStream_tbDpT10_ENKUlT_T0_E_clISt17integral_constantIbLb0EES18_IbLb1EEEEDaS14_S15_EUlS14_E_NS1_11comp_targetILNS1_3genE4ELNS1_11target_archE910ELNS1_3gpuE8ELNS1_3repE0EEENS1_30default_config_static_selectorELNS0_4arch9wavefront6targetE0EEEvT1_.num_named_barrier, 0
	.set _ZN7rocprim17ROCPRIM_400000_NS6detail17trampoline_kernelINS0_14default_configENS1_25partition_config_selectorILNS1_17partition_subalgoE9EllbEEZZNS1_14partition_implILS5_9ELb0ES3_jPKlN6thrust23THRUST_200600_302600_NS17counting_iteratorIlNSB_11use_defaultESD_SD_EEPNS0_10empty_typeENS0_5tupleIJPlSF_EEENSH_IJSI_SG_EEENS0_18inequality_wrapperIN6hipcub16HIPCUB_304000_NS8EqualityEEESI_JSF_EEE10hipError_tPvRmT3_T4_T5_T6_T7_T9_mT8_P12ihipStream_tbDpT10_ENKUlT_T0_E_clISt17integral_constantIbLb0EES18_IbLb1EEEEDaS14_S15_EUlS14_E_NS1_11comp_targetILNS1_3genE4ELNS1_11target_archE910ELNS1_3gpuE8ELNS1_3repE0EEENS1_30default_config_static_selectorELNS0_4arch9wavefront6targetE0EEEvT1_.private_seg_size, 0
	.set _ZN7rocprim17ROCPRIM_400000_NS6detail17trampoline_kernelINS0_14default_configENS1_25partition_config_selectorILNS1_17partition_subalgoE9EllbEEZZNS1_14partition_implILS5_9ELb0ES3_jPKlN6thrust23THRUST_200600_302600_NS17counting_iteratorIlNSB_11use_defaultESD_SD_EEPNS0_10empty_typeENS0_5tupleIJPlSF_EEENSH_IJSI_SG_EEENS0_18inequality_wrapperIN6hipcub16HIPCUB_304000_NS8EqualityEEESI_JSF_EEE10hipError_tPvRmT3_T4_T5_T6_T7_T9_mT8_P12ihipStream_tbDpT10_ENKUlT_T0_E_clISt17integral_constantIbLb0EES18_IbLb1EEEEDaS14_S15_EUlS14_E_NS1_11comp_targetILNS1_3genE4ELNS1_11target_archE910ELNS1_3gpuE8ELNS1_3repE0EEENS1_30default_config_static_selectorELNS0_4arch9wavefront6targetE0EEEvT1_.uses_vcc, 0
	.set _ZN7rocprim17ROCPRIM_400000_NS6detail17trampoline_kernelINS0_14default_configENS1_25partition_config_selectorILNS1_17partition_subalgoE9EllbEEZZNS1_14partition_implILS5_9ELb0ES3_jPKlN6thrust23THRUST_200600_302600_NS17counting_iteratorIlNSB_11use_defaultESD_SD_EEPNS0_10empty_typeENS0_5tupleIJPlSF_EEENSH_IJSI_SG_EEENS0_18inequality_wrapperIN6hipcub16HIPCUB_304000_NS8EqualityEEESI_JSF_EEE10hipError_tPvRmT3_T4_T5_T6_T7_T9_mT8_P12ihipStream_tbDpT10_ENKUlT_T0_E_clISt17integral_constantIbLb0EES18_IbLb1EEEEDaS14_S15_EUlS14_E_NS1_11comp_targetILNS1_3genE4ELNS1_11target_archE910ELNS1_3gpuE8ELNS1_3repE0EEENS1_30default_config_static_selectorELNS0_4arch9wavefront6targetE0EEEvT1_.uses_flat_scratch, 0
	.set _ZN7rocprim17ROCPRIM_400000_NS6detail17trampoline_kernelINS0_14default_configENS1_25partition_config_selectorILNS1_17partition_subalgoE9EllbEEZZNS1_14partition_implILS5_9ELb0ES3_jPKlN6thrust23THRUST_200600_302600_NS17counting_iteratorIlNSB_11use_defaultESD_SD_EEPNS0_10empty_typeENS0_5tupleIJPlSF_EEENSH_IJSI_SG_EEENS0_18inequality_wrapperIN6hipcub16HIPCUB_304000_NS8EqualityEEESI_JSF_EEE10hipError_tPvRmT3_T4_T5_T6_T7_T9_mT8_P12ihipStream_tbDpT10_ENKUlT_T0_E_clISt17integral_constantIbLb0EES18_IbLb1EEEEDaS14_S15_EUlS14_E_NS1_11comp_targetILNS1_3genE4ELNS1_11target_archE910ELNS1_3gpuE8ELNS1_3repE0EEENS1_30default_config_static_selectorELNS0_4arch9wavefront6targetE0EEEvT1_.has_dyn_sized_stack, 0
	.set _ZN7rocprim17ROCPRIM_400000_NS6detail17trampoline_kernelINS0_14default_configENS1_25partition_config_selectorILNS1_17partition_subalgoE9EllbEEZZNS1_14partition_implILS5_9ELb0ES3_jPKlN6thrust23THRUST_200600_302600_NS17counting_iteratorIlNSB_11use_defaultESD_SD_EEPNS0_10empty_typeENS0_5tupleIJPlSF_EEENSH_IJSI_SG_EEENS0_18inequality_wrapperIN6hipcub16HIPCUB_304000_NS8EqualityEEESI_JSF_EEE10hipError_tPvRmT3_T4_T5_T6_T7_T9_mT8_P12ihipStream_tbDpT10_ENKUlT_T0_E_clISt17integral_constantIbLb0EES18_IbLb1EEEEDaS14_S15_EUlS14_E_NS1_11comp_targetILNS1_3genE4ELNS1_11target_archE910ELNS1_3gpuE8ELNS1_3repE0EEENS1_30default_config_static_selectorELNS0_4arch9wavefront6targetE0EEEvT1_.has_recursion, 0
	.set _ZN7rocprim17ROCPRIM_400000_NS6detail17trampoline_kernelINS0_14default_configENS1_25partition_config_selectorILNS1_17partition_subalgoE9EllbEEZZNS1_14partition_implILS5_9ELb0ES3_jPKlN6thrust23THRUST_200600_302600_NS17counting_iteratorIlNSB_11use_defaultESD_SD_EEPNS0_10empty_typeENS0_5tupleIJPlSF_EEENSH_IJSI_SG_EEENS0_18inequality_wrapperIN6hipcub16HIPCUB_304000_NS8EqualityEEESI_JSF_EEE10hipError_tPvRmT3_T4_T5_T6_T7_T9_mT8_P12ihipStream_tbDpT10_ENKUlT_T0_E_clISt17integral_constantIbLb0EES18_IbLb1EEEEDaS14_S15_EUlS14_E_NS1_11comp_targetILNS1_3genE4ELNS1_11target_archE910ELNS1_3gpuE8ELNS1_3repE0EEENS1_30default_config_static_selectorELNS0_4arch9wavefront6targetE0EEEvT1_.has_indirect_call, 0
	.section	.AMDGPU.csdata,"",@progbits
; Kernel info:
; codeLenInByte = 0
; TotalNumSgprs: 0
; NumVgprs: 0
; ScratchSize: 0
; MemoryBound: 0
; FloatMode: 240
; IeeeMode: 1
; LDSByteSize: 0 bytes/workgroup (compile time only)
; SGPRBlocks: 0
; VGPRBlocks: 0
; NumSGPRsForWavesPerEU: 1
; NumVGPRsForWavesPerEU: 1
; Occupancy: 16
; WaveLimiterHint : 0
; COMPUTE_PGM_RSRC2:SCRATCH_EN: 0
; COMPUTE_PGM_RSRC2:USER_SGPR: 2
; COMPUTE_PGM_RSRC2:TRAP_HANDLER: 0
; COMPUTE_PGM_RSRC2:TGID_X_EN: 1
; COMPUTE_PGM_RSRC2:TGID_Y_EN: 0
; COMPUTE_PGM_RSRC2:TGID_Z_EN: 0
; COMPUTE_PGM_RSRC2:TIDIG_COMP_CNT: 0
	.section	.text._ZN7rocprim17ROCPRIM_400000_NS6detail17trampoline_kernelINS0_14default_configENS1_25partition_config_selectorILNS1_17partition_subalgoE9EllbEEZZNS1_14partition_implILS5_9ELb0ES3_jPKlN6thrust23THRUST_200600_302600_NS17counting_iteratorIlNSB_11use_defaultESD_SD_EEPNS0_10empty_typeENS0_5tupleIJPlSF_EEENSH_IJSI_SG_EEENS0_18inequality_wrapperIN6hipcub16HIPCUB_304000_NS8EqualityEEESI_JSF_EEE10hipError_tPvRmT3_T4_T5_T6_T7_T9_mT8_P12ihipStream_tbDpT10_ENKUlT_T0_E_clISt17integral_constantIbLb0EES18_IbLb1EEEEDaS14_S15_EUlS14_E_NS1_11comp_targetILNS1_3genE3ELNS1_11target_archE908ELNS1_3gpuE7ELNS1_3repE0EEENS1_30default_config_static_selectorELNS0_4arch9wavefront6targetE0EEEvT1_,"axG",@progbits,_ZN7rocprim17ROCPRIM_400000_NS6detail17trampoline_kernelINS0_14default_configENS1_25partition_config_selectorILNS1_17partition_subalgoE9EllbEEZZNS1_14partition_implILS5_9ELb0ES3_jPKlN6thrust23THRUST_200600_302600_NS17counting_iteratorIlNSB_11use_defaultESD_SD_EEPNS0_10empty_typeENS0_5tupleIJPlSF_EEENSH_IJSI_SG_EEENS0_18inequality_wrapperIN6hipcub16HIPCUB_304000_NS8EqualityEEESI_JSF_EEE10hipError_tPvRmT3_T4_T5_T6_T7_T9_mT8_P12ihipStream_tbDpT10_ENKUlT_T0_E_clISt17integral_constantIbLb0EES18_IbLb1EEEEDaS14_S15_EUlS14_E_NS1_11comp_targetILNS1_3genE3ELNS1_11target_archE908ELNS1_3gpuE7ELNS1_3repE0EEENS1_30default_config_static_selectorELNS0_4arch9wavefront6targetE0EEEvT1_,comdat
	.protected	_ZN7rocprim17ROCPRIM_400000_NS6detail17trampoline_kernelINS0_14default_configENS1_25partition_config_selectorILNS1_17partition_subalgoE9EllbEEZZNS1_14partition_implILS5_9ELb0ES3_jPKlN6thrust23THRUST_200600_302600_NS17counting_iteratorIlNSB_11use_defaultESD_SD_EEPNS0_10empty_typeENS0_5tupleIJPlSF_EEENSH_IJSI_SG_EEENS0_18inequality_wrapperIN6hipcub16HIPCUB_304000_NS8EqualityEEESI_JSF_EEE10hipError_tPvRmT3_T4_T5_T6_T7_T9_mT8_P12ihipStream_tbDpT10_ENKUlT_T0_E_clISt17integral_constantIbLb0EES18_IbLb1EEEEDaS14_S15_EUlS14_E_NS1_11comp_targetILNS1_3genE3ELNS1_11target_archE908ELNS1_3gpuE7ELNS1_3repE0EEENS1_30default_config_static_selectorELNS0_4arch9wavefront6targetE0EEEvT1_ ; -- Begin function _ZN7rocprim17ROCPRIM_400000_NS6detail17trampoline_kernelINS0_14default_configENS1_25partition_config_selectorILNS1_17partition_subalgoE9EllbEEZZNS1_14partition_implILS5_9ELb0ES3_jPKlN6thrust23THRUST_200600_302600_NS17counting_iteratorIlNSB_11use_defaultESD_SD_EEPNS0_10empty_typeENS0_5tupleIJPlSF_EEENSH_IJSI_SG_EEENS0_18inequality_wrapperIN6hipcub16HIPCUB_304000_NS8EqualityEEESI_JSF_EEE10hipError_tPvRmT3_T4_T5_T6_T7_T9_mT8_P12ihipStream_tbDpT10_ENKUlT_T0_E_clISt17integral_constantIbLb0EES18_IbLb1EEEEDaS14_S15_EUlS14_E_NS1_11comp_targetILNS1_3genE3ELNS1_11target_archE908ELNS1_3gpuE7ELNS1_3repE0EEENS1_30default_config_static_selectorELNS0_4arch9wavefront6targetE0EEEvT1_
	.globl	_ZN7rocprim17ROCPRIM_400000_NS6detail17trampoline_kernelINS0_14default_configENS1_25partition_config_selectorILNS1_17partition_subalgoE9EllbEEZZNS1_14partition_implILS5_9ELb0ES3_jPKlN6thrust23THRUST_200600_302600_NS17counting_iteratorIlNSB_11use_defaultESD_SD_EEPNS0_10empty_typeENS0_5tupleIJPlSF_EEENSH_IJSI_SG_EEENS0_18inequality_wrapperIN6hipcub16HIPCUB_304000_NS8EqualityEEESI_JSF_EEE10hipError_tPvRmT3_T4_T5_T6_T7_T9_mT8_P12ihipStream_tbDpT10_ENKUlT_T0_E_clISt17integral_constantIbLb0EES18_IbLb1EEEEDaS14_S15_EUlS14_E_NS1_11comp_targetILNS1_3genE3ELNS1_11target_archE908ELNS1_3gpuE7ELNS1_3repE0EEENS1_30default_config_static_selectorELNS0_4arch9wavefront6targetE0EEEvT1_
	.p2align	8
	.type	_ZN7rocprim17ROCPRIM_400000_NS6detail17trampoline_kernelINS0_14default_configENS1_25partition_config_selectorILNS1_17partition_subalgoE9EllbEEZZNS1_14partition_implILS5_9ELb0ES3_jPKlN6thrust23THRUST_200600_302600_NS17counting_iteratorIlNSB_11use_defaultESD_SD_EEPNS0_10empty_typeENS0_5tupleIJPlSF_EEENSH_IJSI_SG_EEENS0_18inequality_wrapperIN6hipcub16HIPCUB_304000_NS8EqualityEEESI_JSF_EEE10hipError_tPvRmT3_T4_T5_T6_T7_T9_mT8_P12ihipStream_tbDpT10_ENKUlT_T0_E_clISt17integral_constantIbLb0EES18_IbLb1EEEEDaS14_S15_EUlS14_E_NS1_11comp_targetILNS1_3genE3ELNS1_11target_archE908ELNS1_3gpuE7ELNS1_3repE0EEENS1_30default_config_static_selectorELNS0_4arch9wavefront6targetE0EEEvT1_,@function
_ZN7rocprim17ROCPRIM_400000_NS6detail17trampoline_kernelINS0_14default_configENS1_25partition_config_selectorILNS1_17partition_subalgoE9EllbEEZZNS1_14partition_implILS5_9ELb0ES3_jPKlN6thrust23THRUST_200600_302600_NS17counting_iteratorIlNSB_11use_defaultESD_SD_EEPNS0_10empty_typeENS0_5tupleIJPlSF_EEENSH_IJSI_SG_EEENS0_18inequality_wrapperIN6hipcub16HIPCUB_304000_NS8EqualityEEESI_JSF_EEE10hipError_tPvRmT3_T4_T5_T6_T7_T9_mT8_P12ihipStream_tbDpT10_ENKUlT_T0_E_clISt17integral_constantIbLb0EES18_IbLb1EEEEDaS14_S15_EUlS14_E_NS1_11comp_targetILNS1_3genE3ELNS1_11target_archE908ELNS1_3gpuE7ELNS1_3repE0EEENS1_30default_config_static_selectorELNS0_4arch9wavefront6targetE0EEEvT1_: ; @_ZN7rocprim17ROCPRIM_400000_NS6detail17trampoline_kernelINS0_14default_configENS1_25partition_config_selectorILNS1_17partition_subalgoE9EllbEEZZNS1_14partition_implILS5_9ELb0ES3_jPKlN6thrust23THRUST_200600_302600_NS17counting_iteratorIlNSB_11use_defaultESD_SD_EEPNS0_10empty_typeENS0_5tupleIJPlSF_EEENSH_IJSI_SG_EEENS0_18inequality_wrapperIN6hipcub16HIPCUB_304000_NS8EqualityEEESI_JSF_EEE10hipError_tPvRmT3_T4_T5_T6_T7_T9_mT8_P12ihipStream_tbDpT10_ENKUlT_T0_E_clISt17integral_constantIbLb0EES18_IbLb1EEEEDaS14_S15_EUlS14_E_NS1_11comp_targetILNS1_3genE3ELNS1_11target_archE908ELNS1_3gpuE7ELNS1_3repE0EEENS1_30default_config_static_selectorELNS0_4arch9wavefront6targetE0EEEvT1_
; %bb.0:
	.section	.rodata,"a",@progbits
	.p2align	6, 0x0
	.amdhsa_kernel _ZN7rocprim17ROCPRIM_400000_NS6detail17trampoline_kernelINS0_14default_configENS1_25partition_config_selectorILNS1_17partition_subalgoE9EllbEEZZNS1_14partition_implILS5_9ELb0ES3_jPKlN6thrust23THRUST_200600_302600_NS17counting_iteratorIlNSB_11use_defaultESD_SD_EEPNS0_10empty_typeENS0_5tupleIJPlSF_EEENSH_IJSI_SG_EEENS0_18inequality_wrapperIN6hipcub16HIPCUB_304000_NS8EqualityEEESI_JSF_EEE10hipError_tPvRmT3_T4_T5_T6_T7_T9_mT8_P12ihipStream_tbDpT10_ENKUlT_T0_E_clISt17integral_constantIbLb0EES18_IbLb1EEEEDaS14_S15_EUlS14_E_NS1_11comp_targetILNS1_3genE3ELNS1_11target_archE908ELNS1_3gpuE7ELNS1_3repE0EEENS1_30default_config_static_selectorELNS0_4arch9wavefront6targetE0EEEvT1_
		.amdhsa_group_segment_fixed_size 0
		.amdhsa_private_segment_fixed_size 0
		.amdhsa_kernarg_size 128
		.amdhsa_user_sgpr_count 2
		.amdhsa_user_sgpr_dispatch_ptr 0
		.amdhsa_user_sgpr_queue_ptr 0
		.amdhsa_user_sgpr_kernarg_segment_ptr 1
		.amdhsa_user_sgpr_dispatch_id 0
		.amdhsa_user_sgpr_private_segment_size 0
		.amdhsa_wavefront_size32 1
		.amdhsa_uses_dynamic_stack 0
		.amdhsa_enable_private_segment 0
		.amdhsa_system_sgpr_workgroup_id_x 1
		.amdhsa_system_sgpr_workgroup_id_y 0
		.amdhsa_system_sgpr_workgroup_id_z 0
		.amdhsa_system_sgpr_workgroup_info 0
		.amdhsa_system_vgpr_workitem_id 0
		.amdhsa_next_free_vgpr 1
		.amdhsa_next_free_sgpr 1
		.amdhsa_reserve_vcc 0
		.amdhsa_float_round_mode_32 0
		.amdhsa_float_round_mode_16_64 0
		.amdhsa_float_denorm_mode_32 3
		.amdhsa_float_denorm_mode_16_64 3
		.amdhsa_fp16_overflow 0
		.amdhsa_workgroup_processor_mode 1
		.amdhsa_memory_ordered 1
		.amdhsa_forward_progress 1
		.amdhsa_inst_pref_size 0
		.amdhsa_round_robin_scheduling 0
		.amdhsa_exception_fp_ieee_invalid_op 0
		.amdhsa_exception_fp_denorm_src 0
		.amdhsa_exception_fp_ieee_div_zero 0
		.amdhsa_exception_fp_ieee_overflow 0
		.amdhsa_exception_fp_ieee_underflow 0
		.amdhsa_exception_fp_ieee_inexact 0
		.amdhsa_exception_int_div_zero 0
	.end_amdhsa_kernel
	.section	.text._ZN7rocprim17ROCPRIM_400000_NS6detail17trampoline_kernelINS0_14default_configENS1_25partition_config_selectorILNS1_17partition_subalgoE9EllbEEZZNS1_14partition_implILS5_9ELb0ES3_jPKlN6thrust23THRUST_200600_302600_NS17counting_iteratorIlNSB_11use_defaultESD_SD_EEPNS0_10empty_typeENS0_5tupleIJPlSF_EEENSH_IJSI_SG_EEENS0_18inequality_wrapperIN6hipcub16HIPCUB_304000_NS8EqualityEEESI_JSF_EEE10hipError_tPvRmT3_T4_T5_T6_T7_T9_mT8_P12ihipStream_tbDpT10_ENKUlT_T0_E_clISt17integral_constantIbLb0EES18_IbLb1EEEEDaS14_S15_EUlS14_E_NS1_11comp_targetILNS1_3genE3ELNS1_11target_archE908ELNS1_3gpuE7ELNS1_3repE0EEENS1_30default_config_static_selectorELNS0_4arch9wavefront6targetE0EEEvT1_,"axG",@progbits,_ZN7rocprim17ROCPRIM_400000_NS6detail17trampoline_kernelINS0_14default_configENS1_25partition_config_selectorILNS1_17partition_subalgoE9EllbEEZZNS1_14partition_implILS5_9ELb0ES3_jPKlN6thrust23THRUST_200600_302600_NS17counting_iteratorIlNSB_11use_defaultESD_SD_EEPNS0_10empty_typeENS0_5tupleIJPlSF_EEENSH_IJSI_SG_EEENS0_18inequality_wrapperIN6hipcub16HIPCUB_304000_NS8EqualityEEESI_JSF_EEE10hipError_tPvRmT3_T4_T5_T6_T7_T9_mT8_P12ihipStream_tbDpT10_ENKUlT_T0_E_clISt17integral_constantIbLb0EES18_IbLb1EEEEDaS14_S15_EUlS14_E_NS1_11comp_targetILNS1_3genE3ELNS1_11target_archE908ELNS1_3gpuE7ELNS1_3repE0EEENS1_30default_config_static_selectorELNS0_4arch9wavefront6targetE0EEEvT1_,comdat
.Lfunc_end71:
	.size	_ZN7rocprim17ROCPRIM_400000_NS6detail17trampoline_kernelINS0_14default_configENS1_25partition_config_selectorILNS1_17partition_subalgoE9EllbEEZZNS1_14partition_implILS5_9ELb0ES3_jPKlN6thrust23THRUST_200600_302600_NS17counting_iteratorIlNSB_11use_defaultESD_SD_EEPNS0_10empty_typeENS0_5tupleIJPlSF_EEENSH_IJSI_SG_EEENS0_18inequality_wrapperIN6hipcub16HIPCUB_304000_NS8EqualityEEESI_JSF_EEE10hipError_tPvRmT3_T4_T5_T6_T7_T9_mT8_P12ihipStream_tbDpT10_ENKUlT_T0_E_clISt17integral_constantIbLb0EES18_IbLb1EEEEDaS14_S15_EUlS14_E_NS1_11comp_targetILNS1_3genE3ELNS1_11target_archE908ELNS1_3gpuE7ELNS1_3repE0EEENS1_30default_config_static_selectorELNS0_4arch9wavefront6targetE0EEEvT1_, .Lfunc_end71-_ZN7rocprim17ROCPRIM_400000_NS6detail17trampoline_kernelINS0_14default_configENS1_25partition_config_selectorILNS1_17partition_subalgoE9EllbEEZZNS1_14partition_implILS5_9ELb0ES3_jPKlN6thrust23THRUST_200600_302600_NS17counting_iteratorIlNSB_11use_defaultESD_SD_EEPNS0_10empty_typeENS0_5tupleIJPlSF_EEENSH_IJSI_SG_EEENS0_18inequality_wrapperIN6hipcub16HIPCUB_304000_NS8EqualityEEESI_JSF_EEE10hipError_tPvRmT3_T4_T5_T6_T7_T9_mT8_P12ihipStream_tbDpT10_ENKUlT_T0_E_clISt17integral_constantIbLb0EES18_IbLb1EEEEDaS14_S15_EUlS14_E_NS1_11comp_targetILNS1_3genE3ELNS1_11target_archE908ELNS1_3gpuE7ELNS1_3repE0EEENS1_30default_config_static_selectorELNS0_4arch9wavefront6targetE0EEEvT1_
                                        ; -- End function
	.set _ZN7rocprim17ROCPRIM_400000_NS6detail17trampoline_kernelINS0_14default_configENS1_25partition_config_selectorILNS1_17partition_subalgoE9EllbEEZZNS1_14partition_implILS5_9ELb0ES3_jPKlN6thrust23THRUST_200600_302600_NS17counting_iteratorIlNSB_11use_defaultESD_SD_EEPNS0_10empty_typeENS0_5tupleIJPlSF_EEENSH_IJSI_SG_EEENS0_18inequality_wrapperIN6hipcub16HIPCUB_304000_NS8EqualityEEESI_JSF_EEE10hipError_tPvRmT3_T4_T5_T6_T7_T9_mT8_P12ihipStream_tbDpT10_ENKUlT_T0_E_clISt17integral_constantIbLb0EES18_IbLb1EEEEDaS14_S15_EUlS14_E_NS1_11comp_targetILNS1_3genE3ELNS1_11target_archE908ELNS1_3gpuE7ELNS1_3repE0EEENS1_30default_config_static_selectorELNS0_4arch9wavefront6targetE0EEEvT1_.num_vgpr, 0
	.set _ZN7rocprim17ROCPRIM_400000_NS6detail17trampoline_kernelINS0_14default_configENS1_25partition_config_selectorILNS1_17partition_subalgoE9EllbEEZZNS1_14partition_implILS5_9ELb0ES3_jPKlN6thrust23THRUST_200600_302600_NS17counting_iteratorIlNSB_11use_defaultESD_SD_EEPNS0_10empty_typeENS0_5tupleIJPlSF_EEENSH_IJSI_SG_EEENS0_18inequality_wrapperIN6hipcub16HIPCUB_304000_NS8EqualityEEESI_JSF_EEE10hipError_tPvRmT3_T4_T5_T6_T7_T9_mT8_P12ihipStream_tbDpT10_ENKUlT_T0_E_clISt17integral_constantIbLb0EES18_IbLb1EEEEDaS14_S15_EUlS14_E_NS1_11comp_targetILNS1_3genE3ELNS1_11target_archE908ELNS1_3gpuE7ELNS1_3repE0EEENS1_30default_config_static_selectorELNS0_4arch9wavefront6targetE0EEEvT1_.num_agpr, 0
	.set _ZN7rocprim17ROCPRIM_400000_NS6detail17trampoline_kernelINS0_14default_configENS1_25partition_config_selectorILNS1_17partition_subalgoE9EllbEEZZNS1_14partition_implILS5_9ELb0ES3_jPKlN6thrust23THRUST_200600_302600_NS17counting_iteratorIlNSB_11use_defaultESD_SD_EEPNS0_10empty_typeENS0_5tupleIJPlSF_EEENSH_IJSI_SG_EEENS0_18inequality_wrapperIN6hipcub16HIPCUB_304000_NS8EqualityEEESI_JSF_EEE10hipError_tPvRmT3_T4_T5_T6_T7_T9_mT8_P12ihipStream_tbDpT10_ENKUlT_T0_E_clISt17integral_constantIbLb0EES18_IbLb1EEEEDaS14_S15_EUlS14_E_NS1_11comp_targetILNS1_3genE3ELNS1_11target_archE908ELNS1_3gpuE7ELNS1_3repE0EEENS1_30default_config_static_selectorELNS0_4arch9wavefront6targetE0EEEvT1_.numbered_sgpr, 0
	.set _ZN7rocprim17ROCPRIM_400000_NS6detail17trampoline_kernelINS0_14default_configENS1_25partition_config_selectorILNS1_17partition_subalgoE9EllbEEZZNS1_14partition_implILS5_9ELb0ES3_jPKlN6thrust23THRUST_200600_302600_NS17counting_iteratorIlNSB_11use_defaultESD_SD_EEPNS0_10empty_typeENS0_5tupleIJPlSF_EEENSH_IJSI_SG_EEENS0_18inequality_wrapperIN6hipcub16HIPCUB_304000_NS8EqualityEEESI_JSF_EEE10hipError_tPvRmT3_T4_T5_T6_T7_T9_mT8_P12ihipStream_tbDpT10_ENKUlT_T0_E_clISt17integral_constantIbLb0EES18_IbLb1EEEEDaS14_S15_EUlS14_E_NS1_11comp_targetILNS1_3genE3ELNS1_11target_archE908ELNS1_3gpuE7ELNS1_3repE0EEENS1_30default_config_static_selectorELNS0_4arch9wavefront6targetE0EEEvT1_.num_named_barrier, 0
	.set _ZN7rocprim17ROCPRIM_400000_NS6detail17trampoline_kernelINS0_14default_configENS1_25partition_config_selectorILNS1_17partition_subalgoE9EllbEEZZNS1_14partition_implILS5_9ELb0ES3_jPKlN6thrust23THRUST_200600_302600_NS17counting_iteratorIlNSB_11use_defaultESD_SD_EEPNS0_10empty_typeENS0_5tupleIJPlSF_EEENSH_IJSI_SG_EEENS0_18inequality_wrapperIN6hipcub16HIPCUB_304000_NS8EqualityEEESI_JSF_EEE10hipError_tPvRmT3_T4_T5_T6_T7_T9_mT8_P12ihipStream_tbDpT10_ENKUlT_T0_E_clISt17integral_constantIbLb0EES18_IbLb1EEEEDaS14_S15_EUlS14_E_NS1_11comp_targetILNS1_3genE3ELNS1_11target_archE908ELNS1_3gpuE7ELNS1_3repE0EEENS1_30default_config_static_selectorELNS0_4arch9wavefront6targetE0EEEvT1_.private_seg_size, 0
	.set _ZN7rocprim17ROCPRIM_400000_NS6detail17trampoline_kernelINS0_14default_configENS1_25partition_config_selectorILNS1_17partition_subalgoE9EllbEEZZNS1_14partition_implILS5_9ELb0ES3_jPKlN6thrust23THRUST_200600_302600_NS17counting_iteratorIlNSB_11use_defaultESD_SD_EEPNS0_10empty_typeENS0_5tupleIJPlSF_EEENSH_IJSI_SG_EEENS0_18inequality_wrapperIN6hipcub16HIPCUB_304000_NS8EqualityEEESI_JSF_EEE10hipError_tPvRmT3_T4_T5_T6_T7_T9_mT8_P12ihipStream_tbDpT10_ENKUlT_T0_E_clISt17integral_constantIbLb0EES18_IbLb1EEEEDaS14_S15_EUlS14_E_NS1_11comp_targetILNS1_3genE3ELNS1_11target_archE908ELNS1_3gpuE7ELNS1_3repE0EEENS1_30default_config_static_selectorELNS0_4arch9wavefront6targetE0EEEvT1_.uses_vcc, 0
	.set _ZN7rocprim17ROCPRIM_400000_NS6detail17trampoline_kernelINS0_14default_configENS1_25partition_config_selectorILNS1_17partition_subalgoE9EllbEEZZNS1_14partition_implILS5_9ELb0ES3_jPKlN6thrust23THRUST_200600_302600_NS17counting_iteratorIlNSB_11use_defaultESD_SD_EEPNS0_10empty_typeENS0_5tupleIJPlSF_EEENSH_IJSI_SG_EEENS0_18inequality_wrapperIN6hipcub16HIPCUB_304000_NS8EqualityEEESI_JSF_EEE10hipError_tPvRmT3_T4_T5_T6_T7_T9_mT8_P12ihipStream_tbDpT10_ENKUlT_T0_E_clISt17integral_constantIbLb0EES18_IbLb1EEEEDaS14_S15_EUlS14_E_NS1_11comp_targetILNS1_3genE3ELNS1_11target_archE908ELNS1_3gpuE7ELNS1_3repE0EEENS1_30default_config_static_selectorELNS0_4arch9wavefront6targetE0EEEvT1_.uses_flat_scratch, 0
	.set _ZN7rocprim17ROCPRIM_400000_NS6detail17trampoline_kernelINS0_14default_configENS1_25partition_config_selectorILNS1_17partition_subalgoE9EllbEEZZNS1_14partition_implILS5_9ELb0ES3_jPKlN6thrust23THRUST_200600_302600_NS17counting_iteratorIlNSB_11use_defaultESD_SD_EEPNS0_10empty_typeENS0_5tupleIJPlSF_EEENSH_IJSI_SG_EEENS0_18inequality_wrapperIN6hipcub16HIPCUB_304000_NS8EqualityEEESI_JSF_EEE10hipError_tPvRmT3_T4_T5_T6_T7_T9_mT8_P12ihipStream_tbDpT10_ENKUlT_T0_E_clISt17integral_constantIbLb0EES18_IbLb1EEEEDaS14_S15_EUlS14_E_NS1_11comp_targetILNS1_3genE3ELNS1_11target_archE908ELNS1_3gpuE7ELNS1_3repE0EEENS1_30default_config_static_selectorELNS0_4arch9wavefront6targetE0EEEvT1_.has_dyn_sized_stack, 0
	.set _ZN7rocprim17ROCPRIM_400000_NS6detail17trampoline_kernelINS0_14default_configENS1_25partition_config_selectorILNS1_17partition_subalgoE9EllbEEZZNS1_14partition_implILS5_9ELb0ES3_jPKlN6thrust23THRUST_200600_302600_NS17counting_iteratorIlNSB_11use_defaultESD_SD_EEPNS0_10empty_typeENS0_5tupleIJPlSF_EEENSH_IJSI_SG_EEENS0_18inequality_wrapperIN6hipcub16HIPCUB_304000_NS8EqualityEEESI_JSF_EEE10hipError_tPvRmT3_T4_T5_T6_T7_T9_mT8_P12ihipStream_tbDpT10_ENKUlT_T0_E_clISt17integral_constantIbLb0EES18_IbLb1EEEEDaS14_S15_EUlS14_E_NS1_11comp_targetILNS1_3genE3ELNS1_11target_archE908ELNS1_3gpuE7ELNS1_3repE0EEENS1_30default_config_static_selectorELNS0_4arch9wavefront6targetE0EEEvT1_.has_recursion, 0
	.set _ZN7rocprim17ROCPRIM_400000_NS6detail17trampoline_kernelINS0_14default_configENS1_25partition_config_selectorILNS1_17partition_subalgoE9EllbEEZZNS1_14partition_implILS5_9ELb0ES3_jPKlN6thrust23THRUST_200600_302600_NS17counting_iteratorIlNSB_11use_defaultESD_SD_EEPNS0_10empty_typeENS0_5tupleIJPlSF_EEENSH_IJSI_SG_EEENS0_18inequality_wrapperIN6hipcub16HIPCUB_304000_NS8EqualityEEESI_JSF_EEE10hipError_tPvRmT3_T4_T5_T6_T7_T9_mT8_P12ihipStream_tbDpT10_ENKUlT_T0_E_clISt17integral_constantIbLb0EES18_IbLb1EEEEDaS14_S15_EUlS14_E_NS1_11comp_targetILNS1_3genE3ELNS1_11target_archE908ELNS1_3gpuE7ELNS1_3repE0EEENS1_30default_config_static_selectorELNS0_4arch9wavefront6targetE0EEEvT1_.has_indirect_call, 0
	.section	.AMDGPU.csdata,"",@progbits
; Kernel info:
; codeLenInByte = 0
; TotalNumSgprs: 0
; NumVgprs: 0
; ScratchSize: 0
; MemoryBound: 0
; FloatMode: 240
; IeeeMode: 1
; LDSByteSize: 0 bytes/workgroup (compile time only)
; SGPRBlocks: 0
; VGPRBlocks: 0
; NumSGPRsForWavesPerEU: 1
; NumVGPRsForWavesPerEU: 1
; Occupancy: 16
; WaveLimiterHint : 0
; COMPUTE_PGM_RSRC2:SCRATCH_EN: 0
; COMPUTE_PGM_RSRC2:USER_SGPR: 2
; COMPUTE_PGM_RSRC2:TRAP_HANDLER: 0
; COMPUTE_PGM_RSRC2:TGID_X_EN: 1
; COMPUTE_PGM_RSRC2:TGID_Y_EN: 0
; COMPUTE_PGM_RSRC2:TGID_Z_EN: 0
; COMPUTE_PGM_RSRC2:TIDIG_COMP_CNT: 0
	.section	.text._ZN7rocprim17ROCPRIM_400000_NS6detail17trampoline_kernelINS0_14default_configENS1_25partition_config_selectorILNS1_17partition_subalgoE9EllbEEZZNS1_14partition_implILS5_9ELb0ES3_jPKlN6thrust23THRUST_200600_302600_NS17counting_iteratorIlNSB_11use_defaultESD_SD_EEPNS0_10empty_typeENS0_5tupleIJPlSF_EEENSH_IJSI_SG_EEENS0_18inequality_wrapperIN6hipcub16HIPCUB_304000_NS8EqualityEEESI_JSF_EEE10hipError_tPvRmT3_T4_T5_T6_T7_T9_mT8_P12ihipStream_tbDpT10_ENKUlT_T0_E_clISt17integral_constantIbLb0EES18_IbLb1EEEEDaS14_S15_EUlS14_E_NS1_11comp_targetILNS1_3genE2ELNS1_11target_archE906ELNS1_3gpuE6ELNS1_3repE0EEENS1_30default_config_static_selectorELNS0_4arch9wavefront6targetE0EEEvT1_,"axG",@progbits,_ZN7rocprim17ROCPRIM_400000_NS6detail17trampoline_kernelINS0_14default_configENS1_25partition_config_selectorILNS1_17partition_subalgoE9EllbEEZZNS1_14partition_implILS5_9ELb0ES3_jPKlN6thrust23THRUST_200600_302600_NS17counting_iteratorIlNSB_11use_defaultESD_SD_EEPNS0_10empty_typeENS0_5tupleIJPlSF_EEENSH_IJSI_SG_EEENS0_18inequality_wrapperIN6hipcub16HIPCUB_304000_NS8EqualityEEESI_JSF_EEE10hipError_tPvRmT3_T4_T5_T6_T7_T9_mT8_P12ihipStream_tbDpT10_ENKUlT_T0_E_clISt17integral_constantIbLb0EES18_IbLb1EEEEDaS14_S15_EUlS14_E_NS1_11comp_targetILNS1_3genE2ELNS1_11target_archE906ELNS1_3gpuE6ELNS1_3repE0EEENS1_30default_config_static_selectorELNS0_4arch9wavefront6targetE0EEEvT1_,comdat
	.protected	_ZN7rocprim17ROCPRIM_400000_NS6detail17trampoline_kernelINS0_14default_configENS1_25partition_config_selectorILNS1_17partition_subalgoE9EllbEEZZNS1_14partition_implILS5_9ELb0ES3_jPKlN6thrust23THRUST_200600_302600_NS17counting_iteratorIlNSB_11use_defaultESD_SD_EEPNS0_10empty_typeENS0_5tupleIJPlSF_EEENSH_IJSI_SG_EEENS0_18inequality_wrapperIN6hipcub16HIPCUB_304000_NS8EqualityEEESI_JSF_EEE10hipError_tPvRmT3_T4_T5_T6_T7_T9_mT8_P12ihipStream_tbDpT10_ENKUlT_T0_E_clISt17integral_constantIbLb0EES18_IbLb1EEEEDaS14_S15_EUlS14_E_NS1_11comp_targetILNS1_3genE2ELNS1_11target_archE906ELNS1_3gpuE6ELNS1_3repE0EEENS1_30default_config_static_selectorELNS0_4arch9wavefront6targetE0EEEvT1_ ; -- Begin function _ZN7rocprim17ROCPRIM_400000_NS6detail17trampoline_kernelINS0_14default_configENS1_25partition_config_selectorILNS1_17partition_subalgoE9EllbEEZZNS1_14partition_implILS5_9ELb0ES3_jPKlN6thrust23THRUST_200600_302600_NS17counting_iteratorIlNSB_11use_defaultESD_SD_EEPNS0_10empty_typeENS0_5tupleIJPlSF_EEENSH_IJSI_SG_EEENS0_18inequality_wrapperIN6hipcub16HIPCUB_304000_NS8EqualityEEESI_JSF_EEE10hipError_tPvRmT3_T4_T5_T6_T7_T9_mT8_P12ihipStream_tbDpT10_ENKUlT_T0_E_clISt17integral_constantIbLb0EES18_IbLb1EEEEDaS14_S15_EUlS14_E_NS1_11comp_targetILNS1_3genE2ELNS1_11target_archE906ELNS1_3gpuE6ELNS1_3repE0EEENS1_30default_config_static_selectorELNS0_4arch9wavefront6targetE0EEEvT1_
	.globl	_ZN7rocprim17ROCPRIM_400000_NS6detail17trampoline_kernelINS0_14default_configENS1_25partition_config_selectorILNS1_17partition_subalgoE9EllbEEZZNS1_14partition_implILS5_9ELb0ES3_jPKlN6thrust23THRUST_200600_302600_NS17counting_iteratorIlNSB_11use_defaultESD_SD_EEPNS0_10empty_typeENS0_5tupleIJPlSF_EEENSH_IJSI_SG_EEENS0_18inequality_wrapperIN6hipcub16HIPCUB_304000_NS8EqualityEEESI_JSF_EEE10hipError_tPvRmT3_T4_T5_T6_T7_T9_mT8_P12ihipStream_tbDpT10_ENKUlT_T0_E_clISt17integral_constantIbLb0EES18_IbLb1EEEEDaS14_S15_EUlS14_E_NS1_11comp_targetILNS1_3genE2ELNS1_11target_archE906ELNS1_3gpuE6ELNS1_3repE0EEENS1_30default_config_static_selectorELNS0_4arch9wavefront6targetE0EEEvT1_
	.p2align	8
	.type	_ZN7rocprim17ROCPRIM_400000_NS6detail17trampoline_kernelINS0_14default_configENS1_25partition_config_selectorILNS1_17partition_subalgoE9EllbEEZZNS1_14partition_implILS5_9ELb0ES3_jPKlN6thrust23THRUST_200600_302600_NS17counting_iteratorIlNSB_11use_defaultESD_SD_EEPNS0_10empty_typeENS0_5tupleIJPlSF_EEENSH_IJSI_SG_EEENS0_18inequality_wrapperIN6hipcub16HIPCUB_304000_NS8EqualityEEESI_JSF_EEE10hipError_tPvRmT3_T4_T5_T6_T7_T9_mT8_P12ihipStream_tbDpT10_ENKUlT_T0_E_clISt17integral_constantIbLb0EES18_IbLb1EEEEDaS14_S15_EUlS14_E_NS1_11comp_targetILNS1_3genE2ELNS1_11target_archE906ELNS1_3gpuE6ELNS1_3repE0EEENS1_30default_config_static_selectorELNS0_4arch9wavefront6targetE0EEEvT1_,@function
_ZN7rocprim17ROCPRIM_400000_NS6detail17trampoline_kernelINS0_14default_configENS1_25partition_config_selectorILNS1_17partition_subalgoE9EllbEEZZNS1_14partition_implILS5_9ELb0ES3_jPKlN6thrust23THRUST_200600_302600_NS17counting_iteratorIlNSB_11use_defaultESD_SD_EEPNS0_10empty_typeENS0_5tupleIJPlSF_EEENSH_IJSI_SG_EEENS0_18inequality_wrapperIN6hipcub16HIPCUB_304000_NS8EqualityEEESI_JSF_EEE10hipError_tPvRmT3_T4_T5_T6_T7_T9_mT8_P12ihipStream_tbDpT10_ENKUlT_T0_E_clISt17integral_constantIbLb0EES18_IbLb1EEEEDaS14_S15_EUlS14_E_NS1_11comp_targetILNS1_3genE2ELNS1_11target_archE906ELNS1_3gpuE6ELNS1_3repE0EEENS1_30default_config_static_selectorELNS0_4arch9wavefront6targetE0EEEvT1_: ; @_ZN7rocprim17ROCPRIM_400000_NS6detail17trampoline_kernelINS0_14default_configENS1_25partition_config_selectorILNS1_17partition_subalgoE9EllbEEZZNS1_14partition_implILS5_9ELb0ES3_jPKlN6thrust23THRUST_200600_302600_NS17counting_iteratorIlNSB_11use_defaultESD_SD_EEPNS0_10empty_typeENS0_5tupleIJPlSF_EEENSH_IJSI_SG_EEENS0_18inequality_wrapperIN6hipcub16HIPCUB_304000_NS8EqualityEEESI_JSF_EEE10hipError_tPvRmT3_T4_T5_T6_T7_T9_mT8_P12ihipStream_tbDpT10_ENKUlT_T0_E_clISt17integral_constantIbLb0EES18_IbLb1EEEEDaS14_S15_EUlS14_E_NS1_11comp_targetILNS1_3genE2ELNS1_11target_archE906ELNS1_3gpuE6ELNS1_3repE0EEENS1_30default_config_static_selectorELNS0_4arch9wavefront6targetE0EEEvT1_
; %bb.0:
	.section	.rodata,"a",@progbits
	.p2align	6, 0x0
	.amdhsa_kernel _ZN7rocprim17ROCPRIM_400000_NS6detail17trampoline_kernelINS0_14default_configENS1_25partition_config_selectorILNS1_17partition_subalgoE9EllbEEZZNS1_14partition_implILS5_9ELb0ES3_jPKlN6thrust23THRUST_200600_302600_NS17counting_iteratorIlNSB_11use_defaultESD_SD_EEPNS0_10empty_typeENS0_5tupleIJPlSF_EEENSH_IJSI_SG_EEENS0_18inequality_wrapperIN6hipcub16HIPCUB_304000_NS8EqualityEEESI_JSF_EEE10hipError_tPvRmT3_T4_T5_T6_T7_T9_mT8_P12ihipStream_tbDpT10_ENKUlT_T0_E_clISt17integral_constantIbLb0EES18_IbLb1EEEEDaS14_S15_EUlS14_E_NS1_11comp_targetILNS1_3genE2ELNS1_11target_archE906ELNS1_3gpuE6ELNS1_3repE0EEENS1_30default_config_static_selectorELNS0_4arch9wavefront6targetE0EEEvT1_
		.amdhsa_group_segment_fixed_size 0
		.amdhsa_private_segment_fixed_size 0
		.amdhsa_kernarg_size 128
		.amdhsa_user_sgpr_count 2
		.amdhsa_user_sgpr_dispatch_ptr 0
		.amdhsa_user_sgpr_queue_ptr 0
		.amdhsa_user_sgpr_kernarg_segment_ptr 1
		.amdhsa_user_sgpr_dispatch_id 0
		.amdhsa_user_sgpr_private_segment_size 0
		.amdhsa_wavefront_size32 1
		.amdhsa_uses_dynamic_stack 0
		.amdhsa_enable_private_segment 0
		.amdhsa_system_sgpr_workgroup_id_x 1
		.amdhsa_system_sgpr_workgroup_id_y 0
		.amdhsa_system_sgpr_workgroup_id_z 0
		.amdhsa_system_sgpr_workgroup_info 0
		.amdhsa_system_vgpr_workitem_id 0
		.amdhsa_next_free_vgpr 1
		.amdhsa_next_free_sgpr 1
		.amdhsa_reserve_vcc 0
		.amdhsa_float_round_mode_32 0
		.amdhsa_float_round_mode_16_64 0
		.amdhsa_float_denorm_mode_32 3
		.amdhsa_float_denorm_mode_16_64 3
		.amdhsa_fp16_overflow 0
		.amdhsa_workgroup_processor_mode 1
		.amdhsa_memory_ordered 1
		.amdhsa_forward_progress 1
		.amdhsa_inst_pref_size 0
		.amdhsa_round_robin_scheduling 0
		.amdhsa_exception_fp_ieee_invalid_op 0
		.amdhsa_exception_fp_denorm_src 0
		.amdhsa_exception_fp_ieee_div_zero 0
		.amdhsa_exception_fp_ieee_overflow 0
		.amdhsa_exception_fp_ieee_underflow 0
		.amdhsa_exception_fp_ieee_inexact 0
		.amdhsa_exception_int_div_zero 0
	.end_amdhsa_kernel
	.section	.text._ZN7rocprim17ROCPRIM_400000_NS6detail17trampoline_kernelINS0_14default_configENS1_25partition_config_selectorILNS1_17partition_subalgoE9EllbEEZZNS1_14partition_implILS5_9ELb0ES3_jPKlN6thrust23THRUST_200600_302600_NS17counting_iteratorIlNSB_11use_defaultESD_SD_EEPNS0_10empty_typeENS0_5tupleIJPlSF_EEENSH_IJSI_SG_EEENS0_18inequality_wrapperIN6hipcub16HIPCUB_304000_NS8EqualityEEESI_JSF_EEE10hipError_tPvRmT3_T4_T5_T6_T7_T9_mT8_P12ihipStream_tbDpT10_ENKUlT_T0_E_clISt17integral_constantIbLb0EES18_IbLb1EEEEDaS14_S15_EUlS14_E_NS1_11comp_targetILNS1_3genE2ELNS1_11target_archE906ELNS1_3gpuE6ELNS1_3repE0EEENS1_30default_config_static_selectorELNS0_4arch9wavefront6targetE0EEEvT1_,"axG",@progbits,_ZN7rocprim17ROCPRIM_400000_NS6detail17trampoline_kernelINS0_14default_configENS1_25partition_config_selectorILNS1_17partition_subalgoE9EllbEEZZNS1_14partition_implILS5_9ELb0ES3_jPKlN6thrust23THRUST_200600_302600_NS17counting_iteratorIlNSB_11use_defaultESD_SD_EEPNS0_10empty_typeENS0_5tupleIJPlSF_EEENSH_IJSI_SG_EEENS0_18inequality_wrapperIN6hipcub16HIPCUB_304000_NS8EqualityEEESI_JSF_EEE10hipError_tPvRmT3_T4_T5_T6_T7_T9_mT8_P12ihipStream_tbDpT10_ENKUlT_T0_E_clISt17integral_constantIbLb0EES18_IbLb1EEEEDaS14_S15_EUlS14_E_NS1_11comp_targetILNS1_3genE2ELNS1_11target_archE906ELNS1_3gpuE6ELNS1_3repE0EEENS1_30default_config_static_selectorELNS0_4arch9wavefront6targetE0EEEvT1_,comdat
.Lfunc_end72:
	.size	_ZN7rocprim17ROCPRIM_400000_NS6detail17trampoline_kernelINS0_14default_configENS1_25partition_config_selectorILNS1_17partition_subalgoE9EllbEEZZNS1_14partition_implILS5_9ELb0ES3_jPKlN6thrust23THRUST_200600_302600_NS17counting_iteratorIlNSB_11use_defaultESD_SD_EEPNS0_10empty_typeENS0_5tupleIJPlSF_EEENSH_IJSI_SG_EEENS0_18inequality_wrapperIN6hipcub16HIPCUB_304000_NS8EqualityEEESI_JSF_EEE10hipError_tPvRmT3_T4_T5_T6_T7_T9_mT8_P12ihipStream_tbDpT10_ENKUlT_T0_E_clISt17integral_constantIbLb0EES18_IbLb1EEEEDaS14_S15_EUlS14_E_NS1_11comp_targetILNS1_3genE2ELNS1_11target_archE906ELNS1_3gpuE6ELNS1_3repE0EEENS1_30default_config_static_selectorELNS0_4arch9wavefront6targetE0EEEvT1_, .Lfunc_end72-_ZN7rocprim17ROCPRIM_400000_NS6detail17trampoline_kernelINS0_14default_configENS1_25partition_config_selectorILNS1_17partition_subalgoE9EllbEEZZNS1_14partition_implILS5_9ELb0ES3_jPKlN6thrust23THRUST_200600_302600_NS17counting_iteratorIlNSB_11use_defaultESD_SD_EEPNS0_10empty_typeENS0_5tupleIJPlSF_EEENSH_IJSI_SG_EEENS0_18inequality_wrapperIN6hipcub16HIPCUB_304000_NS8EqualityEEESI_JSF_EEE10hipError_tPvRmT3_T4_T5_T6_T7_T9_mT8_P12ihipStream_tbDpT10_ENKUlT_T0_E_clISt17integral_constantIbLb0EES18_IbLb1EEEEDaS14_S15_EUlS14_E_NS1_11comp_targetILNS1_3genE2ELNS1_11target_archE906ELNS1_3gpuE6ELNS1_3repE0EEENS1_30default_config_static_selectorELNS0_4arch9wavefront6targetE0EEEvT1_
                                        ; -- End function
	.set _ZN7rocprim17ROCPRIM_400000_NS6detail17trampoline_kernelINS0_14default_configENS1_25partition_config_selectorILNS1_17partition_subalgoE9EllbEEZZNS1_14partition_implILS5_9ELb0ES3_jPKlN6thrust23THRUST_200600_302600_NS17counting_iteratorIlNSB_11use_defaultESD_SD_EEPNS0_10empty_typeENS0_5tupleIJPlSF_EEENSH_IJSI_SG_EEENS0_18inequality_wrapperIN6hipcub16HIPCUB_304000_NS8EqualityEEESI_JSF_EEE10hipError_tPvRmT3_T4_T5_T6_T7_T9_mT8_P12ihipStream_tbDpT10_ENKUlT_T0_E_clISt17integral_constantIbLb0EES18_IbLb1EEEEDaS14_S15_EUlS14_E_NS1_11comp_targetILNS1_3genE2ELNS1_11target_archE906ELNS1_3gpuE6ELNS1_3repE0EEENS1_30default_config_static_selectorELNS0_4arch9wavefront6targetE0EEEvT1_.num_vgpr, 0
	.set _ZN7rocprim17ROCPRIM_400000_NS6detail17trampoline_kernelINS0_14default_configENS1_25partition_config_selectorILNS1_17partition_subalgoE9EllbEEZZNS1_14partition_implILS5_9ELb0ES3_jPKlN6thrust23THRUST_200600_302600_NS17counting_iteratorIlNSB_11use_defaultESD_SD_EEPNS0_10empty_typeENS0_5tupleIJPlSF_EEENSH_IJSI_SG_EEENS0_18inequality_wrapperIN6hipcub16HIPCUB_304000_NS8EqualityEEESI_JSF_EEE10hipError_tPvRmT3_T4_T5_T6_T7_T9_mT8_P12ihipStream_tbDpT10_ENKUlT_T0_E_clISt17integral_constantIbLb0EES18_IbLb1EEEEDaS14_S15_EUlS14_E_NS1_11comp_targetILNS1_3genE2ELNS1_11target_archE906ELNS1_3gpuE6ELNS1_3repE0EEENS1_30default_config_static_selectorELNS0_4arch9wavefront6targetE0EEEvT1_.num_agpr, 0
	.set _ZN7rocprim17ROCPRIM_400000_NS6detail17trampoline_kernelINS0_14default_configENS1_25partition_config_selectorILNS1_17partition_subalgoE9EllbEEZZNS1_14partition_implILS5_9ELb0ES3_jPKlN6thrust23THRUST_200600_302600_NS17counting_iteratorIlNSB_11use_defaultESD_SD_EEPNS0_10empty_typeENS0_5tupleIJPlSF_EEENSH_IJSI_SG_EEENS0_18inequality_wrapperIN6hipcub16HIPCUB_304000_NS8EqualityEEESI_JSF_EEE10hipError_tPvRmT3_T4_T5_T6_T7_T9_mT8_P12ihipStream_tbDpT10_ENKUlT_T0_E_clISt17integral_constantIbLb0EES18_IbLb1EEEEDaS14_S15_EUlS14_E_NS1_11comp_targetILNS1_3genE2ELNS1_11target_archE906ELNS1_3gpuE6ELNS1_3repE0EEENS1_30default_config_static_selectorELNS0_4arch9wavefront6targetE0EEEvT1_.numbered_sgpr, 0
	.set _ZN7rocprim17ROCPRIM_400000_NS6detail17trampoline_kernelINS0_14default_configENS1_25partition_config_selectorILNS1_17partition_subalgoE9EllbEEZZNS1_14partition_implILS5_9ELb0ES3_jPKlN6thrust23THRUST_200600_302600_NS17counting_iteratorIlNSB_11use_defaultESD_SD_EEPNS0_10empty_typeENS0_5tupleIJPlSF_EEENSH_IJSI_SG_EEENS0_18inequality_wrapperIN6hipcub16HIPCUB_304000_NS8EqualityEEESI_JSF_EEE10hipError_tPvRmT3_T4_T5_T6_T7_T9_mT8_P12ihipStream_tbDpT10_ENKUlT_T0_E_clISt17integral_constantIbLb0EES18_IbLb1EEEEDaS14_S15_EUlS14_E_NS1_11comp_targetILNS1_3genE2ELNS1_11target_archE906ELNS1_3gpuE6ELNS1_3repE0EEENS1_30default_config_static_selectorELNS0_4arch9wavefront6targetE0EEEvT1_.num_named_barrier, 0
	.set _ZN7rocprim17ROCPRIM_400000_NS6detail17trampoline_kernelINS0_14default_configENS1_25partition_config_selectorILNS1_17partition_subalgoE9EllbEEZZNS1_14partition_implILS5_9ELb0ES3_jPKlN6thrust23THRUST_200600_302600_NS17counting_iteratorIlNSB_11use_defaultESD_SD_EEPNS0_10empty_typeENS0_5tupleIJPlSF_EEENSH_IJSI_SG_EEENS0_18inequality_wrapperIN6hipcub16HIPCUB_304000_NS8EqualityEEESI_JSF_EEE10hipError_tPvRmT3_T4_T5_T6_T7_T9_mT8_P12ihipStream_tbDpT10_ENKUlT_T0_E_clISt17integral_constantIbLb0EES18_IbLb1EEEEDaS14_S15_EUlS14_E_NS1_11comp_targetILNS1_3genE2ELNS1_11target_archE906ELNS1_3gpuE6ELNS1_3repE0EEENS1_30default_config_static_selectorELNS0_4arch9wavefront6targetE0EEEvT1_.private_seg_size, 0
	.set _ZN7rocprim17ROCPRIM_400000_NS6detail17trampoline_kernelINS0_14default_configENS1_25partition_config_selectorILNS1_17partition_subalgoE9EllbEEZZNS1_14partition_implILS5_9ELb0ES3_jPKlN6thrust23THRUST_200600_302600_NS17counting_iteratorIlNSB_11use_defaultESD_SD_EEPNS0_10empty_typeENS0_5tupleIJPlSF_EEENSH_IJSI_SG_EEENS0_18inequality_wrapperIN6hipcub16HIPCUB_304000_NS8EqualityEEESI_JSF_EEE10hipError_tPvRmT3_T4_T5_T6_T7_T9_mT8_P12ihipStream_tbDpT10_ENKUlT_T0_E_clISt17integral_constantIbLb0EES18_IbLb1EEEEDaS14_S15_EUlS14_E_NS1_11comp_targetILNS1_3genE2ELNS1_11target_archE906ELNS1_3gpuE6ELNS1_3repE0EEENS1_30default_config_static_selectorELNS0_4arch9wavefront6targetE0EEEvT1_.uses_vcc, 0
	.set _ZN7rocprim17ROCPRIM_400000_NS6detail17trampoline_kernelINS0_14default_configENS1_25partition_config_selectorILNS1_17partition_subalgoE9EllbEEZZNS1_14partition_implILS5_9ELb0ES3_jPKlN6thrust23THRUST_200600_302600_NS17counting_iteratorIlNSB_11use_defaultESD_SD_EEPNS0_10empty_typeENS0_5tupleIJPlSF_EEENSH_IJSI_SG_EEENS0_18inequality_wrapperIN6hipcub16HIPCUB_304000_NS8EqualityEEESI_JSF_EEE10hipError_tPvRmT3_T4_T5_T6_T7_T9_mT8_P12ihipStream_tbDpT10_ENKUlT_T0_E_clISt17integral_constantIbLb0EES18_IbLb1EEEEDaS14_S15_EUlS14_E_NS1_11comp_targetILNS1_3genE2ELNS1_11target_archE906ELNS1_3gpuE6ELNS1_3repE0EEENS1_30default_config_static_selectorELNS0_4arch9wavefront6targetE0EEEvT1_.uses_flat_scratch, 0
	.set _ZN7rocprim17ROCPRIM_400000_NS6detail17trampoline_kernelINS0_14default_configENS1_25partition_config_selectorILNS1_17partition_subalgoE9EllbEEZZNS1_14partition_implILS5_9ELb0ES3_jPKlN6thrust23THRUST_200600_302600_NS17counting_iteratorIlNSB_11use_defaultESD_SD_EEPNS0_10empty_typeENS0_5tupleIJPlSF_EEENSH_IJSI_SG_EEENS0_18inequality_wrapperIN6hipcub16HIPCUB_304000_NS8EqualityEEESI_JSF_EEE10hipError_tPvRmT3_T4_T5_T6_T7_T9_mT8_P12ihipStream_tbDpT10_ENKUlT_T0_E_clISt17integral_constantIbLb0EES18_IbLb1EEEEDaS14_S15_EUlS14_E_NS1_11comp_targetILNS1_3genE2ELNS1_11target_archE906ELNS1_3gpuE6ELNS1_3repE0EEENS1_30default_config_static_selectorELNS0_4arch9wavefront6targetE0EEEvT1_.has_dyn_sized_stack, 0
	.set _ZN7rocprim17ROCPRIM_400000_NS6detail17trampoline_kernelINS0_14default_configENS1_25partition_config_selectorILNS1_17partition_subalgoE9EllbEEZZNS1_14partition_implILS5_9ELb0ES3_jPKlN6thrust23THRUST_200600_302600_NS17counting_iteratorIlNSB_11use_defaultESD_SD_EEPNS0_10empty_typeENS0_5tupleIJPlSF_EEENSH_IJSI_SG_EEENS0_18inequality_wrapperIN6hipcub16HIPCUB_304000_NS8EqualityEEESI_JSF_EEE10hipError_tPvRmT3_T4_T5_T6_T7_T9_mT8_P12ihipStream_tbDpT10_ENKUlT_T0_E_clISt17integral_constantIbLb0EES18_IbLb1EEEEDaS14_S15_EUlS14_E_NS1_11comp_targetILNS1_3genE2ELNS1_11target_archE906ELNS1_3gpuE6ELNS1_3repE0EEENS1_30default_config_static_selectorELNS0_4arch9wavefront6targetE0EEEvT1_.has_recursion, 0
	.set _ZN7rocprim17ROCPRIM_400000_NS6detail17trampoline_kernelINS0_14default_configENS1_25partition_config_selectorILNS1_17partition_subalgoE9EllbEEZZNS1_14partition_implILS5_9ELb0ES3_jPKlN6thrust23THRUST_200600_302600_NS17counting_iteratorIlNSB_11use_defaultESD_SD_EEPNS0_10empty_typeENS0_5tupleIJPlSF_EEENSH_IJSI_SG_EEENS0_18inequality_wrapperIN6hipcub16HIPCUB_304000_NS8EqualityEEESI_JSF_EEE10hipError_tPvRmT3_T4_T5_T6_T7_T9_mT8_P12ihipStream_tbDpT10_ENKUlT_T0_E_clISt17integral_constantIbLb0EES18_IbLb1EEEEDaS14_S15_EUlS14_E_NS1_11comp_targetILNS1_3genE2ELNS1_11target_archE906ELNS1_3gpuE6ELNS1_3repE0EEENS1_30default_config_static_selectorELNS0_4arch9wavefront6targetE0EEEvT1_.has_indirect_call, 0
	.section	.AMDGPU.csdata,"",@progbits
; Kernel info:
; codeLenInByte = 0
; TotalNumSgprs: 0
; NumVgprs: 0
; ScratchSize: 0
; MemoryBound: 0
; FloatMode: 240
; IeeeMode: 1
; LDSByteSize: 0 bytes/workgroup (compile time only)
; SGPRBlocks: 0
; VGPRBlocks: 0
; NumSGPRsForWavesPerEU: 1
; NumVGPRsForWavesPerEU: 1
; Occupancy: 16
; WaveLimiterHint : 0
; COMPUTE_PGM_RSRC2:SCRATCH_EN: 0
; COMPUTE_PGM_RSRC2:USER_SGPR: 2
; COMPUTE_PGM_RSRC2:TRAP_HANDLER: 0
; COMPUTE_PGM_RSRC2:TGID_X_EN: 1
; COMPUTE_PGM_RSRC2:TGID_Y_EN: 0
; COMPUTE_PGM_RSRC2:TGID_Z_EN: 0
; COMPUTE_PGM_RSRC2:TIDIG_COMP_CNT: 0
	.section	.text._ZN7rocprim17ROCPRIM_400000_NS6detail17trampoline_kernelINS0_14default_configENS1_25partition_config_selectorILNS1_17partition_subalgoE9EllbEEZZNS1_14partition_implILS5_9ELb0ES3_jPKlN6thrust23THRUST_200600_302600_NS17counting_iteratorIlNSB_11use_defaultESD_SD_EEPNS0_10empty_typeENS0_5tupleIJPlSF_EEENSH_IJSI_SG_EEENS0_18inequality_wrapperIN6hipcub16HIPCUB_304000_NS8EqualityEEESI_JSF_EEE10hipError_tPvRmT3_T4_T5_T6_T7_T9_mT8_P12ihipStream_tbDpT10_ENKUlT_T0_E_clISt17integral_constantIbLb0EES18_IbLb1EEEEDaS14_S15_EUlS14_E_NS1_11comp_targetILNS1_3genE10ELNS1_11target_archE1200ELNS1_3gpuE4ELNS1_3repE0EEENS1_30default_config_static_selectorELNS0_4arch9wavefront6targetE0EEEvT1_,"axG",@progbits,_ZN7rocprim17ROCPRIM_400000_NS6detail17trampoline_kernelINS0_14default_configENS1_25partition_config_selectorILNS1_17partition_subalgoE9EllbEEZZNS1_14partition_implILS5_9ELb0ES3_jPKlN6thrust23THRUST_200600_302600_NS17counting_iteratorIlNSB_11use_defaultESD_SD_EEPNS0_10empty_typeENS0_5tupleIJPlSF_EEENSH_IJSI_SG_EEENS0_18inequality_wrapperIN6hipcub16HIPCUB_304000_NS8EqualityEEESI_JSF_EEE10hipError_tPvRmT3_T4_T5_T6_T7_T9_mT8_P12ihipStream_tbDpT10_ENKUlT_T0_E_clISt17integral_constantIbLb0EES18_IbLb1EEEEDaS14_S15_EUlS14_E_NS1_11comp_targetILNS1_3genE10ELNS1_11target_archE1200ELNS1_3gpuE4ELNS1_3repE0EEENS1_30default_config_static_selectorELNS0_4arch9wavefront6targetE0EEEvT1_,comdat
	.protected	_ZN7rocprim17ROCPRIM_400000_NS6detail17trampoline_kernelINS0_14default_configENS1_25partition_config_selectorILNS1_17partition_subalgoE9EllbEEZZNS1_14partition_implILS5_9ELb0ES3_jPKlN6thrust23THRUST_200600_302600_NS17counting_iteratorIlNSB_11use_defaultESD_SD_EEPNS0_10empty_typeENS0_5tupleIJPlSF_EEENSH_IJSI_SG_EEENS0_18inequality_wrapperIN6hipcub16HIPCUB_304000_NS8EqualityEEESI_JSF_EEE10hipError_tPvRmT3_T4_T5_T6_T7_T9_mT8_P12ihipStream_tbDpT10_ENKUlT_T0_E_clISt17integral_constantIbLb0EES18_IbLb1EEEEDaS14_S15_EUlS14_E_NS1_11comp_targetILNS1_3genE10ELNS1_11target_archE1200ELNS1_3gpuE4ELNS1_3repE0EEENS1_30default_config_static_selectorELNS0_4arch9wavefront6targetE0EEEvT1_ ; -- Begin function _ZN7rocprim17ROCPRIM_400000_NS6detail17trampoline_kernelINS0_14default_configENS1_25partition_config_selectorILNS1_17partition_subalgoE9EllbEEZZNS1_14partition_implILS5_9ELb0ES3_jPKlN6thrust23THRUST_200600_302600_NS17counting_iteratorIlNSB_11use_defaultESD_SD_EEPNS0_10empty_typeENS0_5tupleIJPlSF_EEENSH_IJSI_SG_EEENS0_18inequality_wrapperIN6hipcub16HIPCUB_304000_NS8EqualityEEESI_JSF_EEE10hipError_tPvRmT3_T4_T5_T6_T7_T9_mT8_P12ihipStream_tbDpT10_ENKUlT_T0_E_clISt17integral_constantIbLb0EES18_IbLb1EEEEDaS14_S15_EUlS14_E_NS1_11comp_targetILNS1_3genE10ELNS1_11target_archE1200ELNS1_3gpuE4ELNS1_3repE0EEENS1_30default_config_static_selectorELNS0_4arch9wavefront6targetE0EEEvT1_
	.globl	_ZN7rocprim17ROCPRIM_400000_NS6detail17trampoline_kernelINS0_14default_configENS1_25partition_config_selectorILNS1_17partition_subalgoE9EllbEEZZNS1_14partition_implILS5_9ELb0ES3_jPKlN6thrust23THRUST_200600_302600_NS17counting_iteratorIlNSB_11use_defaultESD_SD_EEPNS0_10empty_typeENS0_5tupleIJPlSF_EEENSH_IJSI_SG_EEENS0_18inequality_wrapperIN6hipcub16HIPCUB_304000_NS8EqualityEEESI_JSF_EEE10hipError_tPvRmT3_T4_T5_T6_T7_T9_mT8_P12ihipStream_tbDpT10_ENKUlT_T0_E_clISt17integral_constantIbLb0EES18_IbLb1EEEEDaS14_S15_EUlS14_E_NS1_11comp_targetILNS1_3genE10ELNS1_11target_archE1200ELNS1_3gpuE4ELNS1_3repE0EEENS1_30default_config_static_selectorELNS0_4arch9wavefront6targetE0EEEvT1_
	.p2align	8
	.type	_ZN7rocprim17ROCPRIM_400000_NS6detail17trampoline_kernelINS0_14default_configENS1_25partition_config_selectorILNS1_17partition_subalgoE9EllbEEZZNS1_14partition_implILS5_9ELb0ES3_jPKlN6thrust23THRUST_200600_302600_NS17counting_iteratorIlNSB_11use_defaultESD_SD_EEPNS0_10empty_typeENS0_5tupleIJPlSF_EEENSH_IJSI_SG_EEENS0_18inequality_wrapperIN6hipcub16HIPCUB_304000_NS8EqualityEEESI_JSF_EEE10hipError_tPvRmT3_T4_T5_T6_T7_T9_mT8_P12ihipStream_tbDpT10_ENKUlT_T0_E_clISt17integral_constantIbLb0EES18_IbLb1EEEEDaS14_S15_EUlS14_E_NS1_11comp_targetILNS1_3genE10ELNS1_11target_archE1200ELNS1_3gpuE4ELNS1_3repE0EEENS1_30default_config_static_selectorELNS0_4arch9wavefront6targetE0EEEvT1_,@function
_ZN7rocprim17ROCPRIM_400000_NS6detail17trampoline_kernelINS0_14default_configENS1_25partition_config_selectorILNS1_17partition_subalgoE9EllbEEZZNS1_14partition_implILS5_9ELb0ES3_jPKlN6thrust23THRUST_200600_302600_NS17counting_iteratorIlNSB_11use_defaultESD_SD_EEPNS0_10empty_typeENS0_5tupleIJPlSF_EEENSH_IJSI_SG_EEENS0_18inequality_wrapperIN6hipcub16HIPCUB_304000_NS8EqualityEEESI_JSF_EEE10hipError_tPvRmT3_T4_T5_T6_T7_T9_mT8_P12ihipStream_tbDpT10_ENKUlT_T0_E_clISt17integral_constantIbLb0EES18_IbLb1EEEEDaS14_S15_EUlS14_E_NS1_11comp_targetILNS1_3genE10ELNS1_11target_archE1200ELNS1_3gpuE4ELNS1_3repE0EEENS1_30default_config_static_selectorELNS0_4arch9wavefront6targetE0EEEvT1_: ; @_ZN7rocprim17ROCPRIM_400000_NS6detail17trampoline_kernelINS0_14default_configENS1_25partition_config_selectorILNS1_17partition_subalgoE9EllbEEZZNS1_14partition_implILS5_9ELb0ES3_jPKlN6thrust23THRUST_200600_302600_NS17counting_iteratorIlNSB_11use_defaultESD_SD_EEPNS0_10empty_typeENS0_5tupleIJPlSF_EEENSH_IJSI_SG_EEENS0_18inequality_wrapperIN6hipcub16HIPCUB_304000_NS8EqualityEEESI_JSF_EEE10hipError_tPvRmT3_T4_T5_T6_T7_T9_mT8_P12ihipStream_tbDpT10_ENKUlT_T0_E_clISt17integral_constantIbLb0EES18_IbLb1EEEEDaS14_S15_EUlS14_E_NS1_11comp_targetILNS1_3genE10ELNS1_11target_archE1200ELNS1_3gpuE4ELNS1_3repE0EEENS1_30default_config_static_selectorELNS0_4arch9wavefront6targetE0EEEvT1_
; %bb.0:
	s_clause 0x4
	s_load_b128 s[4:7], s[0:1], 0x8
	s_load_b64 s[8:9], s[0:1], 0x18
	s_load_b128 s[12:15], s[0:1], 0x40
	s_load_b64 s[10:11], s[0:1], 0x50
	s_load_b64 s[20:21], s[0:1], 0x60
	v_cmp_ne_u32_e64 s3, 0, v0
	v_cmp_eq_u32_e64 s2, 0, v0
	s_and_saveexec_b32 s16, s2
	s_cbranch_execz .LBB73_4
; %bb.1:
	s_mov_b32 s18, exec_lo
	s_mov_b32 s17, exec_lo
	v_mbcnt_lo_u32_b32 v1, s18, 0
                                        ; implicit-def: $vgpr2
	s_delay_alu instid0(VALU_DEP_1)
	v_cmpx_eq_u32_e32 0, v1
	s_cbranch_execz .LBB73_3
; %bb.2:
	s_load_b64 s[22:23], s[0:1], 0x70
	s_bcnt1_i32_b32 s18, s18
	s_wait_alu 0xfffe
	v_dual_mov_b32 v2, 0 :: v_dual_mov_b32 v3, s18
	s_wait_kmcnt 0x0
	global_atomic_add_u32 v2, v2, v3, s[22:23] th:TH_ATOMIC_RETURN scope:SCOPE_DEV
.LBB73_3:
	s_or_b32 exec_lo, exec_lo, s17
	s_wait_loadcnt 0x0
	v_readfirstlane_b32 s17, v2
	s_delay_alu instid0(VALU_DEP_1)
	v_dual_mov_b32 v2, 0 :: v_dual_add_nc_u32 v1, s17, v1
	ds_store_b32 v2, v1
.LBB73_4:
	s_or_b32 exec_lo, exec_lo, s16
	v_dual_mov_b32 v1, 0 :: v_dual_lshlrev_b32 v54, 3, v0
	s_clause 0x1
	s_load_b128 s[16:19], s[0:1], 0x28
	s_load_b32 s0, s[0:1], 0x68
	s_wait_dscnt 0x0
	s_barrier_signal -1
	s_barrier_wait -1
	global_inv scope:SCOPE_SE
	ds_load_b32 v3, v1
	s_wait_loadcnt_dscnt 0x0
	s_barrier_signal -1
	s_barrier_wait -1
	global_inv scope:SCOPE_SE
	s_wait_kmcnt 0x0
	global_load_b64 v[1:2], v1, s[14:15]
	s_mov_b32 s15, 0
	s_lshl_b64 s[22:23], s[6:7], 3
	v_lshrrev_b32_e32 v44, 2, v0
	v_add_nc_u32_e32 v46, 0x180, v0
	v_add_nc_u32_e32 v45, 0x300, v0
	;; [unrolled: 1-line block ×3, first 2 shown]
	v_or_b32_e32 v41, 0x600, v0
	v_add_nc_u32_e32 v40, 0x780, v0
	v_add_nc_u32_e32 v39, 0x900, v0
	s_mul_i32 s14, s0, 0xc00
	s_add_co_i32 s25, s0, -1
	s_add_nc_u64 s[0:1], s[6:7], s[14:15]
	s_add_co_i32 s14, s14, s6
	v_cmp_le_u64_e64 s11, s[10:11], s[0:1]
	v_readfirstlane_b32 s24, v3
	s_sub_co_i32 s26, s10, s14
	s_add_nc_u64 s[0:1], s[4:5], s[22:23]
	v_add_nc_u32_e32 v43, 0xa80, v0
	s_mov_b32 s27, -1
	s_cmp_eq_u32 s24, s25
	s_mul_i32 s14, s24, 0xc00
	s_cselect_b32 s22, -1, 0
	s_lshl_b64 s[4:5], s[14:15], 3
	s_and_b32 s25, s11, s22
	s_wait_alu 0xfffe
	s_add_nc_u64 s[0:1], s[0:1], s[4:5]
	s_xor_b32 s23, s25, -1
	s_delay_alu instid0(SALU_CYCLE_1)
	s_and_b32 vcc_lo, exec_lo, s23
	s_wait_loadcnt 0x0
	v_readfirstlane_b32 s10, v1
	v_readfirstlane_b32 s11, v2
	s_cbranch_vccz .LBB73_6
; %bb.5:
	s_clause 0x7
	global_load_b64 v[1:2], v54, s[0:1]
	global_load_b64 v[3:4], v54, s[0:1] offset:3072
	global_load_b64 v[5:6], v54, s[0:1] offset:6144
	;; [unrolled: 1-line block ×7, first 2 shown]
	v_lshrrev_b32_e32 v18, 2, v46
	v_lshrrev_b32_e32 v19, 2, v45
	;; [unrolled: 1-line block ×4, first 2 shown]
	v_and_b32_e32 v17, 0x78, v44
	v_lshrrev_b32_e32 v22, 2, v40
	v_lshrrev_b32_e32 v23, 2, v39
	;; [unrolled: 1-line block ×3, first 2 shown]
	v_and_b32_e32 v18, 0xf8, v18
	v_and_b32_e32 v19, 0x1f8, v19
	v_and_b32_e32 v20, 0x1f8, v20
	v_and_b32_e32 v21, 0x1f8, v21
	v_add_nc_u32_e32 v17, v17, v54
	v_and_b32_e32 v22, 0x3f8, v22
	v_and_b32_e32 v23, 0x2f8, v23
	;; [unrolled: 1-line block ×3, first 2 shown]
	v_add_nc_u32_e32 v18, v18, v54
	v_add_nc_u32_e32 v19, v19, v54
	;; [unrolled: 1-line block ×4, first 2 shown]
	s_mov_b32 s27, s15
	v_add_nc_u32_e32 v22, v22, v54
	v_add_nc_u32_e32 v23, v23, v54
	;; [unrolled: 1-line block ×3, first 2 shown]
	s_wait_loadcnt 0x7
	ds_store_b64 v17, v[1:2]
	s_wait_loadcnt 0x6
	ds_store_b64 v18, v[3:4] offset:3072
	s_wait_loadcnt 0x5
	ds_store_b64 v19, v[5:6] offset:6144
	;; [unrolled: 2-line block ×7, first 2 shown]
	s_wait_dscnt 0x0
	s_barrier_signal -1
	s_barrier_wait -1
.LBB73_6:
	s_and_not1_b32 vcc_lo, exec_lo, s27
	s_addk_co_i32 s26, 0xc00
	s_cbranch_vccnz .LBB73_17
; %bb.7:
	v_mov_b32_e32 v1, 0
	s_mov_b32 s4, exec_lo
	s_delay_alu instid0(VALU_DEP_1)
	v_dual_mov_b32 v2, v1 :: v_dual_mov_b32 v3, v1
	v_dual_mov_b32 v4, v1 :: v_dual_mov_b32 v5, v1
	;; [unrolled: 1-line block ×7, first 2 shown]
	v_mov_b32_e32 v16, v1
	v_cmpx_gt_u32_e64 s26, v0
	s_cbranch_execnz .LBB73_28
; %bb.8:
	s_or_b32 exec_lo, exec_lo, s4
	s_delay_alu instid0(SALU_CYCLE_1)
	s_mov_b32 s4, exec_lo
	v_cmpx_gt_u32_e64 s26, v46
	s_cbranch_execnz .LBB73_29
.LBB73_9:
	s_or_b32 exec_lo, exec_lo, s4
	s_delay_alu instid0(SALU_CYCLE_1)
	s_mov_b32 s4, exec_lo
	v_cmpx_gt_u32_e64 s26, v45
	s_cbranch_execnz .LBB73_30
.LBB73_10:
	s_or_b32 exec_lo, exec_lo, s4
	s_delay_alu instid0(SALU_CYCLE_1)
	s_mov_b32 s4, exec_lo
	v_cmpx_gt_u32_e64 s26, v42
	s_cbranch_execnz .LBB73_31
.LBB73_11:
	s_or_b32 exec_lo, exec_lo, s4
	s_delay_alu instid0(SALU_CYCLE_1)
	s_mov_b32 s4, exec_lo
	v_cmpx_gt_u32_e64 s26, v41
	s_cbranch_execnz .LBB73_32
.LBB73_12:
	s_or_b32 exec_lo, exec_lo, s4
	s_delay_alu instid0(SALU_CYCLE_1)
	s_mov_b32 s4, exec_lo
	v_cmpx_gt_u32_e64 s26, v40
	s_cbranch_execnz .LBB73_33
.LBB73_13:
	s_or_b32 exec_lo, exec_lo, s4
	s_delay_alu instid0(SALU_CYCLE_1)
	s_mov_b32 s4, exec_lo
	v_cmpx_gt_u32_e64 s26, v39
	s_cbranch_execnz .LBB73_34
.LBB73_14:
	s_or_b32 exec_lo, exec_lo, s4
	s_delay_alu instid0(SALU_CYCLE_1)
	s_mov_b32 s4, exec_lo
	v_cmpx_gt_u32_e64 s26, v43
	s_cbranch_execz .LBB73_16
.LBB73_15:
	global_load_b64 v[15:16], v54, s[0:1] offset:21504
.LBB73_16:
	s_or_b32 exec_lo, exec_lo, s4
	v_lshrrev_b32_e32 v17, 2, v46
	v_lshrrev_b32_e32 v18, 2, v45
	v_lshrrev_b32_e32 v20, 2, v42
	v_lshrrev_b32_e32 v21, 2, v41
	v_and_b32_e32 v19, 0x78, v44
	v_lshrrev_b32_e32 v22, 2, v40
	v_lshrrev_b32_e32 v23, 2, v39
	;; [unrolled: 1-line block ×3, first 2 shown]
	v_and_b32_e32 v17, 0xf8, v17
	v_and_b32_e32 v18, 0x1f8, v18
	;; [unrolled: 1-line block ×4, first 2 shown]
	v_add_nc_u32_e32 v19, v19, v54
	v_and_b32_e32 v22, 0x3f8, v22
	v_and_b32_e32 v23, 0x3f8, v23
	;; [unrolled: 1-line block ×3, first 2 shown]
	v_add_nc_u32_e32 v17, v17, v54
	v_add_nc_u32_e32 v18, v18, v54
	;; [unrolled: 1-line block ×7, first 2 shown]
	ds_store_b64 v19, v[1:2]
	s_wait_loadcnt 0x0
	ds_store_b64 v17, v[3:4] offset:3072
	ds_store_b64 v18, v[5:6] offset:6144
	;; [unrolled: 1-line block ×7, first 2 shown]
	s_wait_dscnt 0x0
	s_barrier_signal -1
	s_barrier_wait -1
.LBB73_17:
	v_lshlrev_b32_e32 v1, 1, v0
	global_inv scope:SCOPE_SE
	s_add_nc_u64 s[4:5], s[8:9], s[6:7]
	s_and_b32 vcc_lo, exec_lo, s23
	s_add_nc_u64 s[4:5], s[4:5], s[14:15]
	v_and_b32_e32 v1, 0x3f8, v1
	s_mov_b32 s8, -1
	s_delay_alu instid0(VALU_DEP_1)
	v_lshl_add_u32 v13, v0, 6, v1
	ds_load_2addr_b64 v[25:28], v13 offset0:2 offset1:3
	ds_load_2addr_b64 v[21:24], v13 offset0:3 offset1:4
	ds_load_2addr_b64 v[29:32], v13 offset1:1
	ds_load_2addr_b64 v[33:36], v13 offset0:1 offset1:2
	ds_load_2addr_b64 v[17:20], v13 offset0:5 offset1:6
	ds_load_b64 v[37:38], v13 offset:56
	s_wait_loadcnt_dscnt 0x0
	s_barrier_signal -1
	s_barrier_wait -1
	global_inv scope:SCOPE_SE
	s_cbranch_vccz .LBB73_19
; %bb.18:
	v_add_co_u32 v1, s8, s4, v0
	s_delay_alu instid0(VALU_DEP_1) | instskip(SKIP_1) | instid1(VALU_DEP_3)
	v_add_co_ci_u32_e64 v2, null, s5, 0, s8
	v_lshrrev_b32_e32 v16, 2, v46
	v_add_co_u32 v3, vcc_lo, 0x180, v1
	v_lshrrev_b32_e32 v47, 2, v45
	s_delay_alu instid0(VALU_DEP_4)
	v_add_co_ci_u32_e64 v4, null, 0, v2, vcc_lo
	v_add_co_u32 v5, vcc_lo, 0x300, v1
	v_lshrrev_b32_e32 v51, 2, v42
	v_lshrrev_b32_e32 v52, 2, v41
	s_wait_alu 0xfffd
	v_add_co_ci_u32_e64 v6, null, 0, v2, vcc_lo
	v_add_co_u32 v7, vcc_lo, 0x480, v1
	v_and_b32_e32 v49, 0x78, v44
	v_lshrrev_b32_e32 v53, 2, v40
	v_lshrrev_b32_e32 v55, 2, v39
	;; [unrolled: 1-line block ×3, first 2 shown]
	v_and_b32_e32 v16, 0xf8, v16
	s_wait_alu 0xfffd
	v_add_co_ci_u32_e64 v8, null, 0, v2, vcc_lo
	v_add_co_u32 v9, vcc_lo, 0x600, v1
	v_and_b32_e32 v50, 0x1f8, v47
	v_and_b32_e32 v51, 0x1f8, v51
	s_wait_alu 0xfffd
	v_add_co_ci_u32_e64 v10, null, 0, v2, vcc_lo
	v_add_co_u32 v11, vcc_lo, 0x780, v1
	v_and_b32_e32 v52, 0x1f8, v52
	v_add_nc_u32_e32 v49, v49, v54
	v_and_b32_e32 v53, 0x3f8, v53
	v_and_b32_e32 v55, 0x2f8, v55
	;; [unrolled: 1-line block ×3, first 2 shown]
	s_wait_alu 0xfffd
	v_add_co_ci_u32_e64 v12, null, 0, v2, vcc_lo
	v_add_co_u32 v14, vcc_lo, 0x900, v1
	v_add_nc_u32_e32 v16, v16, v54
	v_add_nc_u32_e32 v50, v50, v54
	s_wait_alu 0xfffd
	v_add_co_ci_u32_e64 v15, null, 0, v2, vcc_lo
	v_add_co_u32 v47, vcc_lo, 0xa80, v1
	v_add_nc_u32_e32 v51, v51, v54
	v_add_nc_u32_e32 v52, v52, v54
	s_wait_alu 0xfffd
	v_add_co_ci_u32_e64 v48, null, 0, v2, vcc_lo
	v_add_nc_u32_e32 v53, v53, v54
	v_add_nc_u32_e32 v55, v55, v54
	;; [unrolled: 1-line block ×3, first 2 shown]
	ds_store_b64 v49, v[1:2]
	ds_store_b64 v16, v[3:4] offset:3072
	ds_store_b64 v50, v[5:6] offset:6144
	;; [unrolled: 1-line block ×7, first 2 shown]
	s_wait_loadcnt_dscnt 0x0
	s_barrier_signal -1
	s_mov_b32 s8, 0
	s_barrier_wait -1
.LBB73_19:
	s_wait_alu 0xfffe
	s_and_not1_b32 vcc_lo, exec_lo, s8
	s_wait_alu 0xfffe
	s_cbranch_vccnz .LBB73_21
; %bb.20:
	v_add_co_u32 v1, s8, s4, v0
	s_wait_alu 0xf1ff
	v_add_co_ci_u32_e64 v2, null, s5, 0, s8
	v_add_co_u32 v3, s8, s4, v46
	s_wait_alu 0xf1ff
	v_add_co_ci_u32_e64 v4, null, s5, 0, s8
	;; [unrolled: 3-line block ×4, first 2 shown]
	v_add_co_u32 v9, s8, s4, v41
	v_lshrrev_b32_e32 v16, 2, v46
	v_lshrrev_b32_e32 v45, 2, v45
	s_wait_alu 0xf1ff
	v_add_co_ci_u32_e64 v10, null, s5, 0, s8
	v_add_co_u32 v11, s8, s4, v40
	v_lshrrev_b32_e32 v42, 2, v42
	v_lshrrev_b32_e32 v41, 2, v41
	s_wait_alu 0xf1ff
	v_add_co_ci_u32_e64 v12, null, s5, 0, s8
	v_add_co_u32 v14, s8, s4, v39
	v_and_b32_e32 v46, 0x78, v44
	v_add_co_u32 v44, s4, s4, v43
	v_lshrrev_b32_e32 v40, 2, v40
	v_lshrrev_b32_e32 v39, 2, v39
	;; [unrolled: 1-line block ×3, first 2 shown]
	v_and_b32_e32 v16, 0xf8, v16
	v_and_b32_e32 v47, 0x1f8, v45
	;; [unrolled: 1-line block ×4, first 2 shown]
	v_add_nc_u32_e32 v46, v46, v54
	v_and_b32_e32 v40, 0x3f8, v40
	v_and_b32_e32 v39, 0x2f8, v39
	;; [unrolled: 1-line block ×3, first 2 shown]
	v_add_nc_u32_e32 v16, v16, v54
	v_add_nc_u32_e32 v47, v47, v54
	;; [unrolled: 1-line block ×4, first 2 shown]
	s_wait_alu 0xf1ff
	v_add_co_ci_u32_e64 v15, null, s5, 0, s8
	v_add_co_ci_u32_e64 v45, null, s5, 0, s4
	v_add_nc_u32_e32 v40, v40, v54
	v_add_nc_u32_e32 v39, v39, v54
	;; [unrolled: 1-line block ×3, first 2 shown]
	ds_store_b64 v46, v[1:2]
	ds_store_b64 v16, v[3:4] offset:3072
	ds_store_b64 v47, v[5:6] offset:6144
	;; [unrolled: 1-line block ×7, first 2 shown]
	s_wait_loadcnt_dscnt 0x0
	s_barrier_signal -1
	s_barrier_wait -1
.LBB73_21:
	s_wait_loadcnt 0x0
	global_inv scope:SCOPE_SE
	ds_load_2addr_b64 v[1:4], v13 offset0:6 offset1:7
	ds_load_2addr_b64 v[5:8], v13 offset0:4 offset1:5
	;; [unrolled: 1-line block ×3, first 2 shown]
	ds_load_2addr_b64 v[13:16], v13 offset1:1
	s_cmp_lg_u32 s24, 0
	s_mov_b32 s14, 0
	s_cselect_b32 s9, -1, 0
	s_cmp_lg_u64 s[6:7], 0
	s_wait_loadcnt_dscnt 0x0
	s_cselect_b32 s4, -1, 0
	s_barrier_signal -1
	s_wait_alu 0xfffe
	s_or_b32 s4, s4, s9
	s_barrier_wait -1
	s_wait_alu 0xfffe
	s_and_b32 vcc_lo, exec_lo, s4
	global_inv scope:SCOPE_SE
	s_wait_alu 0xfffe
	s_cbranch_vccz .LBB73_26
; %bb.22:
	v_mov_b32_e32 v39, 0
	s_and_b32 vcc_lo, exec_lo, s23
	ds_store_b64 v54, v[37:38]
	global_load_b64 v[39:40], v39, s[0:1] offset:-8
	s_wait_alu 0xfffe
	s_cbranch_vccz .LBB73_35
; %bb.23:
	s_wait_loadcnt 0x0
	v_dual_mov_b32 v42, v40 :: v_dual_mov_b32 v41, v39
	s_wait_dscnt 0x0
	s_barrier_signal -1
	s_barrier_wait -1
	global_inv scope:SCOPE_SE
	s_and_saveexec_b32 s0, s3
; %bb.24:
	v_add_nc_u32_e32 v41, -8, v54
	ds_load_b64 v[41:42], v41
; %bb.25:
	s_wait_alu 0xfffe
	s_or_b32 exec_lo, exec_lo, s0
	v_cmp_ne_u64_e32 vcc_lo, v[19:20], v[37:38]
	s_wait_dscnt 0x0
	v_cmp_ne_u64_e64 s0, v[41:42], v[29:30]
	s_wait_alu 0xfffd
	v_cndmask_b32_e64 v43, 0, 1, vcc_lo
	v_cmp_ne_u64_e32 vcc_lo, v[17:18], v[19:20]
	s_delay_alu instid0(VALU_DEP_2) | instskip(SKIP_3) | instid1(VALU_DEP_2)
	v_lshlrev_b16 v43, 8, v43
	s_wait_alu 0xfffd
	v_cndmask_b32_e64 v44, 0, 1, vcc_lo
	v_cmp_ne_u64_e32 vcc_lo, v[23:24], v[17:18]
	v_or_b32_e32 v43, v44, v43
	s_wait_alu 0xfffd
	v_cndmask_b32_e64 v45, 0, 1, vcc_lo
	v_cmp_ne_u64_e32 vcc_lo, v[25:26], v[27:28]
	s_delay_alu instid0(VALU_DEP_3) | instskip(NEXT) | instid1(VALU_DEP_3)
	v_lshlrev_b32_e32 v43, 16, v43
	v_lshlrev_b16 v45, 8, v45
	s_wait_alu 0xfffd
	v_cndmask_b32_e64 v46, 0, 1, vcc_lo
	v_cmp_ne_u64_e32 vcc_lo, v[27:28], v[23:24]
	s_delay_alu instid0(VALU_DEP_2) | instskip(SKIP_3) | instid1(VALU_DEP_2)
	v_lshlrev_b16 v46, 8, v46
	s_wait_alu 0xfffd
	v_cndmask_b32_e64 v47, 0, 1, vcc_lo
	v_cmp_ne_u64_e32 vcc_lo, v[31:32], v[25:26]
	v_or_b32_e32 v45, v47, v45
	s_wait_alu 0xfffd
	v_cndmask_b32_e64 v48, 0, 1, vcc_lo
	v_cmp_ne_u64_e32 vcc_lo, v[29:30], v[31:32]
	s_delay_alu instid0(VALU_DEP_3) | instskip(NEXT) | instid1(VALU_DEP_3)
	v_and_b32_e32 v45, 0xffff, v45
	v_or_b32_e32 v46, v48, v46
	s_wait_alu 0xfffd
	v_cndmask_b32_e64 v49, 0, 1, vcc_lo
	s_delay_alu instid0(VALU_DEP_3) | instskip(NEXT) | instid1(VALU_DEP_3)
	v_or_b32_e32 v43, v45, v43
	v_lshlrev_b32_e32 v44, 16, v46
	s_delay_alu instid0(VALU_DEP_3) | instskip(NEXT) | instid1(VALU_DEP_1)
	v_lshlrev_b16 v48, 8, v49
	v_and_b32_e32 v46, 0xffff, v48
	s_delay_alu instid0(VALU_DEP_1)
	v_or_b32_e32 v42, v46, v44
	s_branch .LBB73_39
.LBB73_26:
                                        ; implicit-def: $sgpr0
                                        ; implicit-def: $vgpr43
	s_branch .LBB73_40
.LBB73_27:
                                        ; implicit-def: $vgpr39
                                        ; implicit-def: $vgpr59
                                        ; implicit-def: $vgpr58
                                        ; implicit-def: $vgpr41
                                        ; implicit-def: $vgpr57
                                        ; implicit-def: $vgpr56
                                        ; implicit-def: $vgpr55
	s_branch .LBB73_48
.LBB73_28:
	global_load_b64 v[2:3], v54, s[0:1]
	v_dual_mov_b32 v16, v1 :: v_dual_mov_b32 v17, v1
	v_dual_mov_b32 v4, v1 :: v_dual_mov_b32 v5, v1
	;; [unrolled: 1-line block ×7, first 2 shown]
	s_wait_loadcnt 0x0
	v_mov_b32_e32 v1, v2
	v_mov_b32_e32 v2, v3
	;; [unrolled: 1-line block ×16, first 2 shown]
	s_or_b32 exec_lo, exec_lo, s4
	s_delay_alu instid0(SALU_CYCLE_1)
	s_mov_b32 s4, exec_lo
	v_cmpx_gt_u32_e64 s26, v46
	s_cbranch_execz .LBB73_9
.LBB73_29:
	global_load_b64 v[3:4], v54, s[0:1] offset:3072
	s_or_b32 exec_lo, exec_lo, s4
	s_delay_alu instid0(SALU_CYCLE_1)
	s_mov_b32 s4, exec_lo
	v_cmpx_gt_u32_e64 s26, v45
	s_cbranch_execz .LBB73_10
.LBB73_30:
	global_load_b64 v[5:6], v54, s[0:1] offset:6144
	s_or_b32 exec_lo, exec_lo, s4
	s_delay_alu instid0(SALU_CYCLE_1)
	s_mov_b32 s4, exec_lo
	v_cmpx_gt_u32_e64 s26, v42
	s_cbranch_execz .LBB73_11
.LBB73_31:
	global_load_b64 v[7:8], v54, s[0:1] offset:9216
	s_or_b32 exec_lo, exec_lo, s4
	s_delay_alu instid0(SALU_CYCLE_1)
	s_mov_b32 s4, exec_lo
	v_cmpx_gt_u32_e64 s26, v41
	s_cbranch_execz .LBB73_12
.LBB73_32:
	global_load_b64 v[9:10], v54, s[0:1] offset:12288
	s_or_b32 exec_lo, exec_lo, s4
	s_delay_alu instid0(SALU_CYCLE_1)
	s_mov_b32 s4, exec_lo
	v_cmpx_gt_u32_e64 s26, v40
	s_cbranch_execz .LBB73_13
.LBB73_33:
	global_load_b64 v[11:12], v54, s[0:1] offset:15360
	s_or_b32 exec_lo, exec_lo, s4
	s_delay_alu instid0(SALU_CYCLE_1)
	s_mov_b32 s4, exec_lo
	v_cmpx_gt_u32_e64 s26, v39
	s_cbranch_execz .LBB73_14
.LBB73_34:
	global_load_b64 v[13:14], v54, s[0:1] offset:18432
	s_or_b32 exec_lo, exec_lo, s4
	s_delay_alu instid0(SALU_CYCLE_1)
	s_mov_b32 s4, exec_lo
	v_cmpx_gt_u32_e64 s26, v43
	s_cbranch_execnz .LBB73_15
	s_branch .LBB73_16
.LBB73_35:
                                        ; implicit-def: $sgpr0
                                        ; implicit-def: $vgpr43
	s_cbranch_execz .LBB73_39
; %bb.36:
	s_wait_loadcnt_dscnt 0x0
	s_barrier_signal -1
	s_barrier_wait -1
	global_inv scope:SCOPE_SE
	s_and_saveexec_b32 s0, s3
; %bb.37:
	v_add_nc_u32_e32 v39, -8, v54
	ds_load_b64 v[39:40], v39
; %bb.38:
	s_wait_alu 0xfffe
	s_or_b32 exec_lo, exec_lo, s0
	v_or_b32_e32 v41, 7, v54
	v_or_b32_e32 v42, 6, v54
	v_cmp_ne_u64_e32 vcc_lo, v[19:20], v[37:38]
	v_or_b32_e32 v43, 5, v54
	v_cmp_ne_u64_e64 s1, v[17:18], v[19:20]
	v_cmp_gt_u32_e64 s0, s26, v41
	v_cmp_gt_u32_e64 s4, s26, v42
	v_cmp_ne_u64_e64 s5, v[23:24], v[17:18]
	v_cmp_gt_u32_e64 s6, s26, v43
	v_or_b32_e32 v43, 3, v54
	s_and_b32 s0, s0, vcc_lo
	v_or_b32_e32 v44, 4, v54
	s_wait_alu 0xfffe
	v_cndmask_b32_e64 v41, 0, 1, s0
	s_and_b32 s0, s4, s1
	v_cmp_ne_u64_e32 vcc_lo, v[25:26], v[27:28]
	s_wait_alu 0xfffe
	v_cndmask_b32_e64 v42, 0, 1, s0
	s_and_b32 s0, s6, s5
	v_cmp_gt_u32_e64 s1, s26, v44
	s_wait_alu 0xfffe
	v_cndmask_b32_e64 v45, 0, 1, s0
	v_cmp_gt_u32_e64 s0, s26, v43
	v_or_b32_e32 v43, 2, v54
	v_or_b32_e32 v44, 1, v54
	v_cmp_ne_u64_e64 s4, v[27:28], v[23:24]
	v_cmp_ne_u64_e64 s6, v[29:30], v[31:32]
	s_and_b32 s0, s0, vcc_lo
	v_cmp_ne_u64_e32 vcc_lo, v[31:32], v[25:26]
	s_wait_alu 0xfffe
	v_cndmask_b32_e64 v46, 0, 1, s0
	v_cmp_gt_u32_e64 s0, s26, v43
	v_cmp_gt_u32_e64 s5, s26, v44
	s_and_b32 s1, s1, s4
	v_lshlrev_b16 v45, 8, v45
	s_wait_alu 0xfffe
	v_cndmask_b32_e64 v43, 0, 1, s1
	s_and_b32 s0, s0, vcc_lo
	v_lshlrev_b16 v46, 8, v46
	s_wait_alu 0xfffe
	v_cndmask_b32_e64 v44, 0, 1, s0
	s_and_b32 s0, s5, s6
	v_lshlrev_b16 v41, 8, v41
	s_wait_alu 0xfffe
	v_cndmask_b32_e64 v47, 0, 1, s0
	v_or_b32_e32 v43, v43, v45
	v_or_b32_e32 v44, v44, v46
	s_wait_dscnt 0x0
	v_cmp_ne_u64_e32 vcc_lo, v[39:40], v[29:30]
	v_or_b32_e32 v41, v42, v41
	v_lshlrev_b16 v46, 8, v47
	v_and_b32_e32 v43, 0xffff, v43
	v_lshlrev_b32_e32 v42, 16, v44
	v_cmp_gt_u32_e64 s0, s26, v54
	v_lshlrev_b32_e32 v41, 16, v41
	v_and_b32_e32 v44, 0xffff, v46
	s_and_b32 s0, s0, vcc_lo
	s_delay_alu instid0(VALU_DEP_2) | instskip(NEXT) | instid1(VALU_DEP_2)
	v_or_b32_e32 v43, v43, v41
	v_or_b32_e32 v42, v44, v42
.LBB73_39:
	s_mov_b32 s14, -1
	s_cbranch_execnz .LBB73_27
.LBB73_40:
	v_cmp_ne_u64_e64 s0, v[19:20], v[37:38]
	v_cmp_ne_u64_e64 s1, v[17:18], v[19:20]
	s_and_b32 vcc_lo, exec_lo, s23
	ds_store_b64 v54, v[37:38]
	s_wait_alu 0xfffe
	s_cbranch_vccz .LBB73_44
; %bb.41:
	v_cmp_ne_u64_e32 vcc_lo, v[27:28], v[23:24]
	s_wait_alu 0xf1ff
	v_cndmask_b32_e64 v55, 0, 1, s0
	v_cndmask_b32_e64 v56, 0, 1, s1
	s_wait_loadcnt 0x0
	v_mov_b32_e32 v39, 1
	s_wait_dscnt 0x0
	s_barrier_signal -1
	s_wait_alu 0xfffd
	v_cndmask_b32_e64 v40, 0, 1, vcc_lo
	v_cmp_ne_u64_e32 vcc_lo, v[23:24], v[17:18]
	s_barrier_wait -1
	global_inv scope:SCOPE_SE
                                        ; implicit-def: $sgpr0
                                        ; implicit-def: $vgpr43
	s_wait_alu 0xfffd
	v_cndmask_b32_e64 v57, 0, 1, vcc_lo
	v_cmp_ne_u64_e32 vcc_lo, v[25:26], v[27:28]
	s_wait_alu 0xfffd
	v_cndmask_b32_e64 v41, 0, 1, vcc_lo
	v_cmp_ne_u64_e32 vcc_lo, v[31:32], v[25:26]
	s_wait_alu 0xfffd
	v_cndmask_b32_e64 v58, 0, 1, vcc_lo
	v_cmp_ne_u64_e32 vcc_lo, v[29:30], v[31:32]
	s_wait_alu 0xfffd
	v_cndmask_b32_e64 v59, 0, 1, vcc_lo
	s_and_saveexec_b32 s1, s3
	s_wait_alu 0xfffe
	s_xor_b32 s1, exec_lo, s1
	s_cbranch_execz .LBB73_43
; %bb.42:
	v_add_nc_u32_e32 v42, -8, v54
	v_lshlrev_b16 v43, 8, v55
	v_lshlrev_b16 v46, 8, v41
	;; [unrolled: 1-line block ×3, first 2 shown]
	s_or_b32 s14, s14, exec_lo
	ds_load_b64 v[44:45], v42
	v_lshlrev_b16 v42, 8, v57
	v_or_b32_e32 v43, v56, v43
	v_or_b32_e32 v46, v58, v46
	;; [unrolled: 1-line block ×3, first 2 shown]
	s_delay_alu instid0(VALU_DEP_4) | instskip(NEXT) | instid1(VALU_DEP_4)
	v_or_b32_e32 v42, v40, v42
	v_lshlrev_b32_e32 v43, 16, v43
	s_delay_alu instid0(VALU_DEP_4) | instskip(NEXT) | instid1(VALU_DEP_4)
	v_lshlrev_b32_e32 v46, 16, v46
	v_and_b32_e32 v47, 0xffff, v47
	s_delay_alu instid0(VALU_DEP_4) | instskip(NEXT) | instid1(VALU_DEP_1)
	v_and_b32_e32 v42, 0xffff, v42
	v_or_b32_e32 v43, v42, v43
	s_delay_alu instid0(VALU_DEP_3)
	v_or_b32_e32 v42, v47, v46
	s_wait_dscnt 0x0
	v_cmp_ne_u64_e64 s0, v[44:45], v[29:30]
.LBB73_43:
	s_wait_alu 0xfffe
	s_or_b32 exec_lo, exec_lo, s1
	s_branch .LBB73_48
.LBB73_44:
                                        ; implicit-def: $sgpr0
                                        ; implicit-def: $vgpr43
                                        ; implicit-def: $vgpr39
                                        ; implicit-def: $vgpr59
                                        ; implicit-def: $vgpr58
                                        ; implicit-def: $vgpr41
                                        ; implicit-def: $vgpr57
                                        ; implicit-def: $vgpr56
                                        ; implicit-def: $vgpr55
	s_cbranch_execz .LBB73_48
; %bb.45:
	s_wait_loadcnt 0x0
	v_or_b32_e32 v39, 4, v54
	v_cmp_ne_u64_e64 s0, v[27:28], v[23:24]
	v_or_b32_e32 v42, 3, v54
	v_or_b32_e32 v43, 2, v54
	v_cmp_ne_u64_e64 s4, v[25:26], v[21:22]
	v_cmp_gt_u32_e64 s1, s26, v39
	v_or_b32_e32 v39, 6, v54
	v_or_b32_e32 v22, 1, v54
	v_cmp_gt_u32_e64 s5, s26, v43
	v_or_b32_e32 v41, 7, v54
	s_and_b32 s0, s1, s0
	v_cmp_ne_u64_e64 s1, v[31:32], v[35:36]
	s_wait_alu 0xfffe
	v_cndmask_b32_e64 v40, 0, 1, s0
	v_cmp_gt_u32_e64 s0, s26, v42
	v_cmp_gt_u32_e64 s6, s26, v41
	v_cmp_ne_u64_e64 s7, v[23:24], v[17:18]
	v_cmp_ne_u64_e32 vcc_lo, v[19:20], v[37:38]
	v_lshlrev_b16 v21, 8, v40
	s_and_b32 s0, s0, s4
	v_cmp_ne_u64_e64 s4, v[29:30], v[33:34]
	s_wait_alu 0xfffe
	v_cndmask_b32_e64 v36, 0, 1, s0
	s_and_b32 s0, s5, s1
	v_cmp_gt_u32_e64 s5, s26, v22
	s_wait_alu 0xfffe
	v_cndmask_b32_e64 v35, 0, 1, s0
	v_cmp_gt_u32_e64 s0, s26, v39
	v_or_b32_e32 v39, 5, v54
	v_or_b32_e32 v41, v36, v21
	v_cmp_ne_u64_e64 s1, v[17:18], v[19:20]
	v_lshlrev_b16 v21, 8, v35
	s_and_b32 s4, s5, s4
	v_cmp_gt_u32_e64 s8, s26, v39
	v_dual_mov_b32 v39, 1 :: v_dual_lshlrev_b32 v22, 16, v41
	s_delay_alu instid0(VALU_DEP_3)
	v_and_b32_e32 v33, 0xffff, v21
	s_wait_alu 0xfffe
	v_cndmask_b32_e64 v34, 0, 1, s4
	s_and_b32 s4, s8, s7
	s_and_b32 s0, s0, s1
	s_wait_alu 0xfffe
	v_cndmask_b32_e64 v57, 0, 1, s4
	s_and_b32 s4, s6, vcc_lo
	v_or_b32_e32 v33, v33, v22
	s_wait_alu 0xfffe
	v_cndmask_b32_e64 v55, 0, 1, s4
	v_cndmask_b32_e64 v56, 0, 1, s0
	s_wait_dscnt 0x0
	s_barrier_signal -1
	s_barrier_wait -1
	global_inv scope:SCOPE_SE
                                        ; implicit-def: $sgpr0
                                        ; implicit-def: $vgpr43
	s_and_saveexec_b32 s1, s3
	s_cbranch_execz .LBB73_47
; %bb.46:
	v_add_nc_u32_e32 v42, -8, v54
	v_lshlrev_b16 v36, 8, v36
	v_lshlrev_b16 v44, 8, v34
	;; [unrolled: 1-line block ×4, first 2 shown]
	ds_load_b64 v[42:43], v42
	v_or_b32_e32 v35, v35, v36
	v_or_b32_e32 v36, 1, v44
	;; [unrolled: 1-line block ×4, first 2 shown]
	v_cmp_gt_u32_e64 s0, s26, v54
	v_lshlrev_b32_e32 v35, 16, v35
	v_and_b32_e32 v36, 0xffff, v36
	v_and_b32_e32 v40, 0xffff, v40
	v_lshlrev_b32_e32 v44, 16, v44
	s_or_b32 s14, s14, exec_lo
	s_wait_dscnt 0x0
	v_cmp_ne_u64_e32 vcc_lo, v[42:43], v[29:30]
	v_or_b32_e32 v42, v36, v35
	v_or_b32_e32 v43, v40, v44
	s_and_b32 s0, s0, vcc_lo
.LBB73_47:
	s_wait_alu 0xfffe
	s_or_b32 exec_lo, exec_lo, s1
	v_or_b32_e32 v59, v34, v21
	v_lshrrev_b32_e32 v40, 24, v22
	v_lshrrev_b32_e32 v58, 8, v33
.LBB73_48:
	s_and_saveexec_b32 s1, s14
	s_cbranch_execz .LBB73_50
; %bb.49:
	v_lshrrev_b32_e32 v58, 16, v42
	v_lshrrev_b32_e32 v59, 8, v42
	v_lshrrev_b64 v[41:42], 24, v[42:43]
	v_lshrrev_b32_e32 v57, 8, v43
	v_lshrrev_b32_e32 v56, 16, v43
	v_lshrrev_b32_e32 v55, 24, v43
	s_wait_loadcnt 0x0
	s_wait_alu 0xf1fe
	v_cndmask_b32_e64 v39, 0, 1, s0
	v_mov_b32_e32 v40, v43
.LBB73_50:
	s_wait_alu 0xfffe
	s_or_b32 exec_lo, exec_lo, s1
	s_delay_alu instid0(SALU_CYCLE_1)
	s_and_not1_b32 vcc_lo, exec_lo, s25
	s_wait_alu 0xfffe
	s_cbranch_vccnz .LBB73_54
; %bb.51:
	s_wait_loadcnt 0x0
	v_perm_b32 v21, v39, v59, 0xc0c0004
	v_perm_b32 v22, v58, v41, 0xc0c0004
	v_cmp_gt_u32_e32 vcc_lo, s26, v54
	v_or_b32_e32 v33, 1, v54
	v_perm_b32 v34, v40, v57, 0xc0c0004
	v_perm_b32 v35, v56, v55, 0xc0c0004
	v_lshl_or_b32 v21, v22, 16, v21
	s_wait_alu 0xfffd
	s_delay_alu instid0(VALU_DEP_1) | instskip(SKIP_2) | instid1(VALU_DEP_3)
	v_cndmask_b32_e32 v22, 0, v21, vcc_lo
	v_cmp_gt_u32_e32 vcc_lo, s26, v33
	v_or_b32_e32 v33, 2, v54
	v_and_b32_e32 v22, 0xff, v22
	s_wait_alu 0xfffd
	s_delay_alu instid0(VALU_DEP_1) | instskip(NEXT) | instid1(VALU_DEP_3)
	v_cndmask_b32_e32 v22, v22, v21, vcc_lo
	v_cmp_gt_u32_e32 vcc_lo, s26, v33
	v_lshl_or_b32 v33, v35, 16, v34
	v_or_b32_e32 v34, 3, v54
	v_or_b32_e32 v35, 4, v54
	v_and_b32_e32 v22, 0xffff, v22
	s_delay_alu instid0(VALU_DEP_4) | instskip(SKIP_1) | instid1(VALU_DEP_2)
	v_and_b32_e32 v36, 0xffffff00, v33
	s_wait_alu 0xfffd
	v_cndmask_b32_e32 v22, v22, v21, vcc_lo
	v_cmp_gt_u32_e32 vcc_lo, s26, v34
	s_delay_alu instid0(VALU_DEP_2) | instskip(SKIP_1) | instid1(VALU_DEP_1)
	v_and_b32_e32 v22, 0xffffff, v22
	s_wait_alu 0xfffd
	v_cndmask_b32_e32 v22, v22, v21, vcc_lo
	v_cmp_gt_u32_e32 vcc_lo, s26, v35
	v_or_b32_e32 v35, 5, v54
	s_wait_alu 0xfffd
	v_cndmask_b32_e32 v34, v36, v33, vcc_lo
	v_cndmask_b32_e32 v22, v22, v21, vcc_lo
	s_delay_alu instid0(VALU_DEP_3) | instskip(SKIP_1) | instid1(VALU_DEP_4)
	v_cmp_gt_u32_e32 vcc_lo, s26, v35
	v_or_b32_e32 v35, 6, v54
	v_and_b32_e32 v34, 0xffff00ff, v34
	s_delay_alu instid0(VALU_DEP_2) | instskip(SKIP_1) | instid1(VALU_DEP_2)
	v_cmp_gt_u32_e64 s0, s26, v35
	s_wait_alu 0xfffd
	v_cndmask_b32_e32 v34, v34, v33, vcc_lo
	s_or_b32 vcc_lo, s0, vcc_lo
	s_wait_alu 0xfffe
	s_delay_alu instid0(VALU_DEP_1) | instskip(SKIP_1) | instid1(VALU_DEP_2)
	v_dual_cndmask_b32 v39, v22, v21 :: v_dual_and_b32 v34, 0xff00ffff, v34
	v_or_b32_e32 v21, 7, v54
	v_cndmask_b32_e64 v40, v34, v33, s0
	s_delay_alu instid0(VALU_DEP_3) | instskip(SKIP_2) | instid1(VALU_DEP_3)
	v_lshrrev_b32_e32 v58, 16, v39
	v_lshrrev_b32_e32 v59, 8, v39
	s_mov_b32 s0, exec_lo
	v_lshrrev_b64 v[41:42], 24, v[39:40]
	v_lshrrev_b32_e32 v55, 24, v40
	v_lshrrev_b32_e32 v56, 16, v40
	v_lshrrev_b32_e32 v57, 8, v40
	v_cmpx_le_u32_e64 s26, v21
; %bb.52:
	v_mov_b32_e32 v55, 0
; %bb.53:
	s_wait_alu 0xfffe
	s_or_b32 exec_lo, exec_lo, s0
.LBB73_54:
	s_wait_loadcnt 0x0
	v_and_b32_e32 v45, 0xff, v39
	v_and_b32_e32 v47, 0xff, v59
	;; [unrolled: 1-line block ×6, first 2 shown]
	v_add_nc_u32_e32 v21, v47, v45
	v_and_b32_e32 v33, 0x1e0, v0
	v_mbcnt_lo_u32_b32 v62, -1, 0
	v_and_b32_e32 v61, 0xff, v56
	v_and_b32_e32 v22, 0xff, v55
	v_add3_u32 v21, v21, v49, v51
	v_min_u32_e32 v33, 0x160, v33
	v_and_b32_e32 v34, 15, v62
	v_lshrrev_b32_e32 v63, 5, v0
	s_and_b32 vcc_lo, exec_lo, s9
	v_add3_u32 v21, v21, v53, v60
	s_mov_b32 s7, -1
	v_cmp_eq_u32_e64 s3, 0, v34
	v_cmp_lt_u32_e64 s4, 1, v34
	v_cmp_lt_u32_e64 s1, 3, v34
	v_add3_u32 v64, v21, v61, v22
	v_and_b32_e32 v21, 16, v62
	v_or_b32_e32 v22, 31, v33
	v_cmp_lt_u32_e64 s0, 7, v34
	s_wait_dscnt 0x0
	s_barrier_signal -1
	v_cmp_eq_u32_e64 s6, 0, v21
	v_cmp_eq_u32_e64 s5, v0, v22
	s_barrier_wait -1
	global_inv scope:SCOPE_SE
                                        ; implicit-def: $vgpr33
                                        ; implicit-def: $vgpr35
                                        ; implicit-def: $vgpr42
                                        ; implicit-def: $vgpr44
                                        ; implicit-def: $vgpr46
                                        ; implicit-def: $vgpr48
                                        ; implicit-def: $vgpr50
                                        ; implicit-def: $vgpr52
                                        ; implicit-def: $vgpr22
	s_wait_alu 0xfffe
	s_cbranch_vccz .LBB73_80
; %bb.55:
	v_mov_b32_dpp v21, v64 row_shr:1 row_mask:0xf bank_mask:0xf
	s_delay_alu instid0(VALU_DEP_1) | instskip(NEXT) | instid1(VALU_DEP_1)
	v_cndmask_b32_e64 v21, v21, 0, s3
	v_add_nc_u32_e32 v21, v21, v64
	s_delay_alu instid0(VALU_DEP_1) | instskip(SKIP_1) | instid1(VALU_DEP_1)
	v_mov_b32_dpp v22, v21 row_shr:2 row_mask:0xf bank_mask:0xf
	s_wait_alu 0xf1ff
	v_cndmask_b32_e64 v22, 0, v22, s4
	s_delay_alu instid0(VALU_DEP_1) | instskip(NEXT) | instid1(VALU_DEP_1)
	v_add_nc_u32_e32 v21, v21, v22
	v_mov_b32_dpp v22, v21 row_shr:4 row_mask:0xf bank_mask:0xf
	s_delay_alu instid0(VALU_DEP_1) | instskip(NEXT) | instid1(VALU_DEP_1)
	v_cndmask_b32_e64 v22, 0, v22, s1
	v_add_nc_u32_e32 v21, v21, v22
	s_delay_alu instid0(VALU_DEP_1) | instskip(NEXT) | instid1(VALU_DEP_1)
	v_mov_b32_dpp v22, v21 row_shr:8 row_mask:0xf bank_mask:0xf
	v_cndmask_b32_e64 v22, 0, v22, s0
	s_delay_alu instid0(VALU_DEP_1) | instskip(SKIP_3) | instid1(VALU_DEP_1)
	v_add_nc_u32_e32 v21, v21, v22
	ds_swizzle_b32 v22, v21 offset:swizzle(BROADCAST,32,15)
	s_wait_dscnt 0x0
	v_cndmask_b32_e64 v22, v22, 0, s6
	v_add_nc_u32_e32 v21, v21, v22
	s_and_saveexec_b32 s7, s5
; %bb.56:
	v_lshlrev_b32_e32 v22, 2, v63
	ds_store_b32 v22, v21
; %bb.57:
	s_wait_alu 0xfffe
	s_or_b32 exec_lo, exec_lo, s7
	s_delay_alu instid0(SALU_CYCLE_1)
	s_mov_b32 s7, exec_lo
	s_wait_loadcnt_dscnt 0x0
	s_barrier_signal -1
	s_barrier_wait -1
	global_inv scope:SCOPE_SE
	v_cmpx_gt_u32_e32 12, v0
	s_cbranch_execz .LBB73_59
; %bb.58:
	v_lshlrev_b32_e32 v22, 2, v0
	ds_load_b32 v33, v22
	s_wait_dscnt 0x0
	v_mov_b32_dpp v34, v33 row_shr:1 row_mask:0xf bank_mask:0xf
	s_delay_alu instid0(VALU_DEP_1) | instskip(NEXT) | instid1(VALU_DEP_1)
	v_cndmask_b32_e64 v34, v34, 0, s3
	v_add_nc_u32_e32 v33, v34, v33
	s_delay_alu instid0(VALU_DEP_1) | instskip(NEXT) | instid1(VALU_DEP_1)
	v_mov_b32_dpp v34, v33 row_shr:2 row_mask:0xf bank_mask:0xf
	v_cndmask_b32_e64 v34, 0, v34, s4
	s_delay_alu instid0(VALU_DEP_1) | instskip(NEXT) | instid1(VALU_DEP_1)
	v_add_nc_u32_e32 v33, v33, v34
	v_mov_b32_dpp v34, v33 row_shr:4 row_mask:0xf bank_mask:0xf
	s_delay_alu instid0(VALU_DEP_1) | instskip(NEXT) | instid1(VALU_DEP_1)
	v_cndmask_b32_e64 v34, 0, v34, s1
	v_add_nc_u32_e32 v33, v33, v34
	s_delay_alu instid0(VALU_DEP_1) | instskip(NEXT) | instid1(VALU_DEP_1)
	v_mov_b32_dpp v34, v33 row_shr:8 row_mask:0xf bank_mask:0xf
	v_cndmask_b32_e64 v34, 0, v34, s0
	s_delay_alu instid0(VALU_DEP_1)
	v_add_nc_u32_e32 v33, v33, v34
	ds_store_b32 v22, v33
.LBB73_59:
	s_wait_alu 0xfffe
	s_or_b32 exec_lo, exec_lo, s7
	s_delay_alu instid0(SALU_CYCLE_1)
	s_mov_b32 s8, exec_lo
	v_cmp_gt_u32_e32 vcc_lo, 32, v0
	s_wait_loadcnt_dscnt 0x0
	s_barrier_signal -1
	s_barrier_wait -1
	global_inv scope:SCOPE_SE
                                        ; implicit-def: $vgpr44
	v_cmpx_lt_u32_e32 31, v0
	s_cbranch_execz .LBB73_61
; %bb.60:
	v_lshl_add_u32 v22, v63, 2, -4
	ds_load_b32 v44, v22
	s_wait_dscnt 0x0
	v_add_nc_u32_e32 v21, v44, v21
.LBB73_61:
	s_wait_alu 0xfffe
	s_or_b32 exec_lo, exec_lo, s8
	v_sub_co_u32 v22, s7, v62, 1
	s_delay_alu instid0(VALU_DEP_1) | instskip(SKIP_1) | instid1(VALU_DEP_1)
	v_cmp_gt_i32_e64 s8, 0, v22
	s_wait_alu 0xf1ff
	v_cndmask_b32_e64 v22, v22, v62, s8
	s_delay_alu instid0(VALU_DEP_1)
	v_lshlrev_b32_e32 v22, 2, v22
	ds_bpermute_b32 v46, v22, v21
	s_and_saveexec_b32 s8, vcc_lo
	s_cbranch_execz .LBB73_79
; %bb.62:
	v_mov_b32_e32 v35, 0
	ds_load_b32 v21, v35 offset:44
	s_and_saveexec_b32 s9, s7
	s_cbranch_execz .LBB73_64
; %bb.63:
	s_add_co_i32 s14, s24, 32
	v_mov_b32_e32 v22, 1
	s_lshl_b64 s[14:15], s[14:15], 3
	s_delay_alu instid0(SALU_CYCLE_1)
	s_add_nc_u64 s[14:15], s[20:21], s[14:15]
	s_wait_dscnt 0x0
	global_store_b64 v35, v[21:22], s[14:15] scope:SCOPE_DEV
.LBB73_64:
	s_wait_alu 0xfffe
	s_or_b32 exec_lo, exec_lo, s9
	v_xad_u32 v33, v62, -1, s24
	s_mov_b32 s14, 0
	s_mov_b32 s9, exec_lo
	s_delay_alu instid0(VALU_DEP_1) | instskip(NEXT) | instid1(VALU_DEP_1)
	v_add_nc_u32_e32 v34, 32, v33
	v_lshlrev_b64_e32 v[34:35], 3, v[34:35]
	s_delay_alu instid0(VALU_DEP_1) | instskip(SKIP_1) | instid1(VALU_DEP_2)
	v_add_co_u32 v42, vcc_lo, s20, v34
	s_wait_alu 0xfffd
	v_add_co_ci_u32_e64 v43, null, s21, v35, vcc_lo
	global_load_b64 v[35:36], v[42:43], off scope:SCOPE_DEV
	s_wait_loadcnt 0x0
	v_and_b32_e32 v22, 0xff, v36
	s_delay_alu instid0(VALU_DEP_1)
	v_cmpx_eq_u16_e32 0, v22
	s_cbranch_execz .LBB73_67
.LBB73_65:                              ; =>This Inner Loop Header: Depth=1
	global_load_b64 v[35:36], v[42:43], off scope:SCOPE_DEV
	s_wait_loadcnt 0x0
	v_and_b32_e32 v22, 0xff, v36
	s_delay_alu instid0(VALU_DEP_1) | instskip(SKIP_1) | instid1(SALU_CYCLE_1)
	v_cmp_ne_u16_e32 vcc_lo, 0, v22
	s_or_b32 s14, vcc_lo, s14
	s_and_not1_b32 exec_lo, exec_lo, s14
	s_cbranch_execnz .LBB73_65
; %bb.66:
	s_or_b32 exec_lo, exec_lo, s14
.LBB73_67:
	s_wait_alu 0xfffe
	s_or_b32 exec_lo, exec_lo, s9
	v_cmp_ne_u32_e32 vcc_lo, 31, v62
	v_lshlrev_b32_e64 v50, v62, -1
	v_add_nc_u32_e32 v65, 2, v62
	v_add_nc_u32_e32 v67, 4, v62
	;; [unrolled: 1-line block ×3, first 2 shown]
	s_wait_alu 0xfffd
	v_add_co_ci_u32_e64 v22, null, 0, v62, vcc_lo
	v_lshl_or_b32 v70, v62, 2, 64
	v_add_nc_u32_e32 v71, 16, v62
	s_delay_alu instid0(VALU_DEP_3)
	v_lshlrev_b32_e32 v48, 2, v22
	v_and_b32_e32 v22, 0xff, v36
	ds_bpermute_b32 v34, v48, v35
	v_cmp_eq_u16_e32 vcc_lo, 2, v22
	s_wait_alu 0xfffd
	v_and_or_b32 v22, vcc_lo, v50, 0x80000000
	v_cmp_gt_u32_e32 vcc_lo, 30, v62
	s_delay_alu instid0(VALU_DEP_2) | instskip(SKIP_2) | instid1(VALU_DEP_2)
	v_ctz_i32_b32_e32 v22, v22
	s_wait_alu 0xfffd
	v_cndmask_b32_e64 v42, 0, 2, vcc_lo
	v_cmp_lt_u32_e32 vcc_lo, v62, v22
	s_delay_alu instid0(VALU_DEP_2) | instskip(SKIP_4) | instid1(VALU_DEP_2)
	v_add_lshl_u32 v52, v42, v62, 2
	s_wait_dscnt 0x0
	s_wait_alu 0xfffd
	v_cndmask_b32_e32 v34, 0, v34, vcc_lo
	v_cmp_gt_u32_e32 vcc_lo, 28, v62
	v_add_nc_u32_e32 v34, v34, v35
	s_wait_alu 0xfffd
	v_cndmask_b32_e64 v42, 0, 4, vcc_lo
	v_cmp_le_u32_e32 vcc_lo, v65, v22
	ds_bpermute_b32 v35, v52, v34
	v_add_lshl_u32 v66, v42, v62, 2
	s_wait_dscnt 0x0
	s_wait_alu 0xfffd
	v_cndmask_b32_e32 v35, 0, v35, vcc_lo
	v_cmp_gt_u32_e32 vcc_lo, 24, v62
	s_delay_alu instid0(VALU_DEP_2)
	v_add_nc_u32_e32 v34, v34, v35
	s_wait_alu 0xfffd
	v_cndmask_b32_e64 v42, 0, 8, vcc_lo
	v_cmp_le_u32_e32 vcc_lo, v67, v22
	ds_bpermute_b32 v35, v66, v34
	v_add_lshl_u32 v68, v42, v62, 2
	s_wait_dscnt 0x0
	s_wait_alu 0xfffd
	v_cndmask_b32_e32 v35, 0, v35, vcc_lo
	v_cmp_le_u32_e32 vcc_lo, v69, v22
	s_delay_alu instid0(VALU_DEP_2)
	v_add_nc_u32_e32 v34, v34, v35
	ds_bpermute_b32 v35, v68, v34
	s_wait_dscnt 0x0
	s_wait_alu 0xfffd
	v_cndmask_b32_e32 v35, 0, v35, vcc_lo
	v_cmp_le_u32_e32 vcc_lo, v71, v22
	s_delay_alu instid0(VALU_DEP_2) | instskip(SKIP_4) | instid1(VALU_DEP_1)
	v_add_nc_u32_e32 v34, v34, v35
	ds_bpermute_b32 v35, v70, v34
	s_wait_dscnt 0x0
	s_wait_alu 0xfffd
	v_cndmask_b32_e32 v22, 0, v35, vcc_lo
	v_dual_mov_b32 v34, 0 :: v_dual_add_nc_u32 v35, v34, v22
	s_branch .LBB73_70
.LBB73_68:                              ;   in Loop: Header=BB73_70 Depth=1
	s_wait_alu 0xfffe
	s_or_b32 exec_lo, exec_lo, s9
	ds_bpermute_b32 v43, v48, v35
	v_and_b32_e32 v42, 0xff, v36
	v_subrev_nc_u32_e32 v33, 32, v33
	s_mov_b32 s9, 0
	s_delay_alu instid0(VALU_DEP_2) | instskip(SKIP_2) | instid1(VALU_DEP_1)
	v_cmp_eq_u16_e32 vcc_lo, 2, v42
	s_wait_alu 0xfffd
	v_and_or_b32 v42, vcc_lo, v50, 0x80000000
	v_ctz_i32_b32_e32 v42, v42
	s_delay_alu instid0(VALU_DEP_1) | instskip(SKIP_4) | instid1(VALU_DEP_2)
	v_cmp_lt_u32_e32 vcc_lo, v62, v42
	s_wait_dscnt 0x0
	s_wait_alu 0xfffd
	v_cndmask_b32_e32 v43, 0, v43, vcc_lo
	v_cmp_le_u32_e32 vcc_lo, v65, v42
	v_add_nc_u32_e32 v35, v43, v35
	ds_bpermute_b32 v43, v52, v35
	s_wait_dscnt 0x0
	s_wait_alu 0xfffd
	v_cndmask_b32_e32 v43, 0, v43, vcc_lo
	v_cmp_le_u32_e32 vcc_lo, v67, v42
	s_delay_alu instid0(VALU_DEP_2)
	v_add_nc_u32_e32 v35, v35, v43
	ds_bpermute_b32 v43, v66, v35
	s_wait_dscnt 0x0
	s_wait_alu 0xfffd
	v_cndmask_b32_e32 v43, 0, v43, vcc_lo
	v_cmp_le_u32_e32 vcc_lo, v69, v42
	s_delay_alu instid0(VALU_DEP_2)
	v_add_nc_u32_e32 v35, v35, v43
	ds_bpermute_b32 v43, v68, v35
	s_wait_dscnt 0x0
	s_wait_alu 0xfffd
	v_cndmask_b32_e32 v43, 0, v43, vcc_lo
	v_cmp_le_u32_e32 vcc_lo, v71, v42
	s_delay_alu instid0(VALU_DEP_2) | instskip(SKIP_4) | instid1(VALU_DEP_1)
	v_add_nc_u32_e32 v35, v35, v43
	ds_bpermute_b32 v43, v70, v35
	s_wait_dscnt 0x0
	s_wait_alu 0xfffd
	v_cndmask_b32_e32 v42, 0, v43, vcc_lo
	v_add3_u32 v35, v42, v22, v35
.LBB73_69:                              ;   in Loop: Header=BB73_70 Depth=1
	s_wait_alu 0xfffe
	s_and_b32 vcc_lo, exec_lo, s9
	s_wait_alu 0xfffe
	s_cbranch_vccnz .LBB73_75
.LBB73_70:                              ; =>This Loop Header: Depth=1
                                        ;     Child Loop BB73_73 Depth 2
	v_and_b32_e32 v22, 0xff, v36
	s_mov_b32 s9, -1
                                        ; implicit-def: $vgpr36
	s_delay_alu instid0(VALU_DEP_1)
	v_cmp_ne_u16_e32 vcc_lo, 2, v22
	v_mov_b32_e32 v22, v35
                                        ; implicit-def: $vgpr35
	s_cmp_lg_u32 vcc_lo, exec_lo
	s_cbranch_scc1 .LBB73_69
; %bb.71:                               ;   in Loop: Header=BB73_70 Depth=1
	v_lshlrev_b64_e32 v[35:36], 3, v[33:34]
	s_mov_b32 s9, exec_lo
	s_delay_alu instid0(VALU_DEP_1) | instskip(SKIP_1) | instid1(VALU_DEP_2)
	v_add_co_u32 v42, vcc_lo, s20, v35
	s_wait_alu 0xfffd
	v_add_co_ci_u32_e64 v43, null, s21, v36, vcc_lo
	global_load_b64 v[35:36], v[42:43], off scope:SCOPE_DEV
	s_wait_loadcnt 0x0
	v_and_b32_e32 v72, 0xff, v36
	s_delay_alu instid0(VALU_DEP_1)
	v_cmpx_eq_u16_e32 0, v72
	s_cbranch_execz .LBB73_68
; %bb.72:                               ;   in Loop: Header=BB73_70 Depth=1
	s_mov_b32 s14, 0
.LBB73_73:                              ;   Parent Loop BB73_70 Depth=1
                                        ; =>  This Inner Loop Header: Depth=2
	global_load_b64 v[35:36], v[42:43], off scope:SCOPE_DEV
	s_wait_loadcnt 0x0
	v_and_b32_e32 v72, 0xff, v36
	s_delay_alu instid0(VALU_DEP_1) | instskip(SKIP_1) | instid1(SALU_CYCLE_1)
	v_cmp_ne_u16_e32 vcc_lo, 0, v72
	s_or_b32 s14, vcc_lo, s14
	s_and_not1_b32 exec_lo, exec_lo, s14
	s_cbranch_execnz .LBB73_73
; %bb.74:                               ;   in Loop: Header=BB73_70 Depth=1
	s_or_b32 exec_lo, exec_lo, s14
	s_branch .LBB73_68
.LBB73_75:
	s_and_saveexec_b32 s9, s7
	s_cbranch_execz .LBB73_77
; %bb.76:
	s_add_co_i32 s14, s24, 32
	s_mov_b32 s15, 0
	v_dual_mov_b32 v34, 2 :: v_dual_add_nc_u32 v33, v22, v21
	v_mov_b32_e32 v35, 0
	s_lshl_b64 s[14:15], s[14:15], 3
	s_delay_alu instid0(SALU_CYCLE_1)
	s_add_nc_u64 s[14:15], s[20:21], s[14:15]
	global_store_b64 v35, v[33:34], s[14:15] scope:SCOPE_DEV
	ds_store_b64 v35, v[21:22] offset:25344
.LBB73_77:
	s_wait_alu 0xfffe
	s_or_b32 exec_lo, exec_lo, s9
	s_delay_alu instid0(SALU_CYCLE_1)
	s_and_b32 exec_lo, exec_lo, s2
; %bb.78:
	v_mov_b32_e32 v21, 0
	ds_store_b32 v21, v22 offset:44
.LBB73_79:
	s_wait_alu 0xfffe
	s_or_b32 exec_lo, exec_lo, s8
	s_wait_dscnt 0x0
	v_cndmask_b32_e64 v33, v46, v44, s7
	s_wait_loadcnt 0x0
	s_wait_storecnt 0x0
	s_barrier_signal -1
	s_barrier_wait -1
	global_inv scope:SCOPE_SE
	v_cndmask_b32_e64 v33, v33, 0, s2
	v_mov_b32_e32 v21, 0
	s_mov_b32 s7, 0
	ds_load_b32 v22, v21 offset:44
	s_wait_loadcnt_dscnt 0x0
	s_barrier_signal -1
	s_barrier_wait -1
	global_inv scope:SCOPE_SE
	v_add_nc_u32_e32 v52, v22, v33
	ds_load_b64 v[21:22], v21 offset:25344
	v_add_nc_u32_e32 v50, v52, v45
	s_delay_alu instid0(VALU_DEP_1) | instskip(NEXT) | instid1(VALU_DEP_1)
	v_add_nc_u32_e32 v48, v50, v47
	v_add_nc_u32_e32 v46, v48, v49
	s_delay_alu instid0(VALU_DEP_1) | instskip(NEXT) | instid1(VALU_DEP_1)
	v_add_nc_u32_e32 v44, v46, v51
	;; [unrolled: 3-line block ×3, first 2 shown]
	v_add_nc_u32_e32 v33, v35, v61
.LBB73_80:
	s_wait_alu 0xfffe
	s_and_b32 vcc_lo, exec_lo, s7
	s_wait_alu 0xfffe
	s_cbranch_vccz .LBB73_90
; %bb.81:
	s_wait_dscnt 0x0
	v_mov_b32_dpp v21, v64 row_shr:1 row_mask:0xf bank_mask:0xf
	s_delay_alu instid0(VALU_DEP_1) | instskip(NEXT) | instid1(VALU_DEP_1)
	v_cndmask_b32_e64 v21, v21, 0, s3
	v_add_nc_u32_e32 v21, v21, v64
	s_delay_alu instid0(VALU_DEP_1) | instskip(NEXT) | instid1(VALU_DEP_1)
	v_mov_b32_dpp v22, v21 row_shr:2 row_mask:0xf bank_mask:0xf
	v_cndmask_b32_e64 v22, 0, v22, s4
	s_delay_alu instid0(VALU_DEP_1) | instskip(NEXT) | instid1(VALU_DEP_1)
	v_add_nc_u32_e32 v21, v21, v22
	v_mov_b32_dpp v22, v21 row_shr:4 row_mask:0xf bank_mask:0xf
	s_delay_alu instid0(VALU_DEP_1) | instskip(NEXT) | instid1(VALU_DEP_1)
	v_cndmask_b32_e64 v22, 0, v22, s1
	v_add_nc_u32_e32 v21, v21, v22
	s_delay_alu instid0(VALU_DEP_1) | instskip(NEXT) | instid1(VALU_DEP_1)
	v_mov_b32_dpp v22, v21 row_shr:8 row_mask:0xf bank_mask:0xf
	v_cndmask_b32_e64 v22, 0, v22, s0
	s_delay_alu instid0(VALU_DEP_1) | instskip(SKIP_3) | instid1(VALU_DEP_1)
	v_add_nc_u32_e32 v21, v21, v22
	ds_swizzle_b32 v22, v21 offset:swizzle(BROADCAST,32,15)
	s_wait_dscnt 0x0
	v_cndmask_b32_e64 v22, v22, 0, s6
	v_add_nc_u32_e32 v21, v21, v22
	s_and_saveexec_b32 s6, s5
; %bb.82:
	v_lshlrev_b32_e32 v22, 2, v63
	ds_store_b32 v22, v21
; %bb.83:
	s_wait_alu 0xfffe
	s_or_b32 exec_lo, exec_lo, s6
	s_delay_alu instid0(SALU_CYCLE_1)
	s_mov_b32 s5, exec_lo
	s_wait_loadcnt_dscnt 0x0
	s_barrier_signal -1
	s_barrier_wait -1
	global_inv scope:SCOPE_SE
	v_cmpx_gt_u32_e32 12, v0
	s_cbranch_execz .LBB73_85
; %bb.84:
	v_lshlrev_b32_e32 v22, 2, v0
	ds_load_b32 v33, v22
	s_wait_dscnt 0x0
	v_mov_b32_dpp v34, v33 row_shr:1 row_mask:0xf bank_mask:0xf
	s_delay_alu instid0(VALU_DEP_1) | instskip(NEXT) | instid1(VALU_DEP_1)
	v_cndmask_b32_e64 v34, v34, 0, s3
	v_add_nc_u32_e32 v33, v34, v33
	s_delay_alu instid0(VALU_DEP_1) | instskip(NEXT) | instid1(VALU_DEP_1)
	v_mov_b32_dpp v34, v33 row_shr:2 row_mask:0xf bank_mask:0xf
	v_cndmask_b32_e64 v34, 0, v34, s4
	s_delay_alu instid0(VALU_DEP_1) | instskip(NEXT) | instid1(VALU_DEP_1)
	v_add_nc_u32_e32 v33, v33, v34
	v_mov_b32_dpp v34, v33 row_shr:4 row_mask:0xf bank_mask:0xf
	s_delay_alu instid0(VALU_DEP_1) | instskip(NEXT) | instid1(VALU_DEP_1)
	v_cndmask_b32_e64 v34, 0, v34, s1
	v_add_nc_u32_e32 v33, v33, v34
	s_delay_alu instid0(VALU_DEP_1) | instskip(NEXT) | instid1(VALU_DEP_1)
	v_mov_b32_dpp v34, v33 row_shr:8 row_mask:0xf bank_mask:0xf
	v_cndmask_b32_e64 v34, 0, v34, s0
	s_delay_alu instid0(VALU_DEP_1)
	v_add_nc_u32_e32 v33, v33, v34
	ds_store_b32 v22, v33
.LBB73_85:
	s_wait_alu 0xfffe
	s_or_b32 exec_lo, exec_lo, s5
	v_dual_mov_b32 v22, 0 :: v_dual_mov_b32 v33, 0
	s_mov_b32 s0, exec_lo
	s_wait_loadcnt_dscnt 0x0
	s_barrier_signal -1
	s_barrier_wait -1
	global_inv scope:SCOPE_SE
	v_cmpx_lt_u32_e32 31, v0
; %bb.86:
	v_lshl_add_u32 v33, v63, 2, -4
	ds_load_b32 v33, v33
; %bb.87:
	s_wait_alu 0xfffe
	s_or_b32 exec_lo, exec_lo, s0
	v_sub_co_u32 v34, vcc_lo, v62, 1
	s_wait_dscnt 0x0
	v_add_nc_u32_e32 v21, v33, v21
	s_delay_alu instid0(VALU_DEP_2) | instskip(SKIP_1) | instid1(VALU_DEP_1)
	v_cmp_gt_i32_e64 s0, 0, v34
	s_wait_alu 0xf1ff
	v_cndmask_b32_e64 v34, v34, v62, s0
	s_delay_alu instid0(VALU_DEP_1)
	v_lshlrev_b32_e32 v34, 2, v34
	ds_bpermute_b32 v34, v34, v21
	ds_load_b32 v21, v22 offset:44
	s_and_saveexec_b32 s0, s2
	s_cbranch_execz .LBB73_89
; %bb.88:
	v_dual_mov_b32 v35, 0 :: v_dual_mov_b32 v22, 2
	s_wait_dscnt 0x0
	global_store_b64 v35, v[21:22], s[20:21] offset:256 scope:SCOPE_DEV
.LBB73_89:
	s_wait_alu 0xfffe
	s_or_b32 exec_lo, exec_lo, s0
	s_wait_dscnt 0x1
	s_wait_alu 0xfffd
	v_cndmask_b32_e32 v22, v34, v33, vcc_lo
	s_wait_storecnt 0x0
	s_wait_loadcnt_dscnt 0x0
	s_barrier_signal -1
	s_barrier_wait -1
	global_inv scope:SCOPE_SE
	v_cndmask_b32_e64 v52, v22, 0, s2
	v_mov_b32_e32 v22, 0
	s_delay_alu instid0(VALU_DEP_2) | instskip(NEXT) | instid1(VALU_DEP_1)
	v_add_nc_u32_e32 v50, v52, v45
	v_add_nc_u32_e32 v48, v50, v47
	s_delay_alu instid0(VALU_DEP_1) | instskip(NEXT) | instid1(VALU_DEP_1)
	v_add_nc_u32_e32 v46, v48, v49
	v_add_nc_u32_e32 v44, v46, v51
	s_delay_alu instid0(VALU_DEP_1) | instskip(NEXT) | instid1(VALU_DEP_1)
	v_add_nc_u32_e32 v42, v44, v53
	v_add_nc_u32_e32 v35, v42, v60
	s_delay_alu instid0(VALU_DEP_1)
	v_add_nc_u32_e32 v33, v35, v61
.LBB73_90:
	s_wait_dscnt 0x0
	v_add_nc_u32_e32 v60, v22, v21
	v_and_b32_e32 v39, 1, v39
	v_cmp_gt_u32_e64 s0, 0x181, v21
	s_mov_b32 s4, -1
	v_cmp_lt_u32_e64 s1, v52, v60
	v_cmp_eq_u32_e64 s3, 1, v39
	s_and_b32 vcc_lo, exec_lo, s0
	s_wait_alu 0xfffe
	s_cbranch_vccz .LBB73_108
; %bb.91:
	s_or_b32 s1, s23, s1
	s_wait_alu 0xfffe
	s_and_b32 s3, s1, s3
	s_wait_alu 0xfffe
	s_and_saveexec_b32 s1, s3
	s_cbranch_execz .LBB73_93
; %bb.92:
	v_mov_b32_e32 v53, 0
	s_lshl_b64 s[4:5], s[10:11], 3
	s_wait_alu 0xfffe
	s_add_nc_u64 s[4:5], s[16:17], s[4:5]
	s_delay_alu instid0(VALU_DEP_1) | instskip(SKIP_1) | instid1(VALU_DEP_1)
	v_lshlrev_b64_e32 v[61:62], 3, v[52:53]
	s_wait_alu 0xfffe
	v_add_co_u32 v61, vcc_lo, s4, v61
	s_wait_alu 0xfffd
	s_delay_alu instid0(VALU_DEP_2)
	v_add_co_ci_u32_e64 v62, null, s5, v62, vcc_lo
	global_store_b64 v[61:62], v[29:30], off
.LBB73_93:
	s_wait_alu 0xfffe
	s_or_b32 exec_lo, exec_lo, s1
	v_and_b32_e32 v34, 1, v59
	v_cmp_lt_u32_e32 vcc_lo, v50, v60
	s_delay_alu instid0(VALU_DEP_2)
	v_cmp_eq_u32_e64 s1, 1, v34
	s_or_b32 s3, s23, vcc_lo
	s_wait_alu 0xfffe
	s_and_b32 s3, s3, s1
	s_wait_alu 0xfffe
	s_and_saveexec_b32 s1, s3
	s_cbranch_execz .LBB73_95
; %bb.94:
	v_mov_b32_e32 v51, 0
	s_lshl_b64 s[4:5], s[10:11], 3
	s_wait_alu 0xfffe
	s_add_nc_u64 s[4:5], s[16:17], s[4:5]
	s_delay_alu instid0(VALU_DEP_1) | instskip(SKIP_1) | instid1(VALU_DEP_1)
	v_lshlrev_b64_e32 v[61:62], 3, v[50:51]
	s_wait_alu 0xfffe
	v_add_co_u32 v61, vcc_lo, s4, v61
	s_wait_alu 0xfffd
	s_delay_alu instid0(VALU_DEP_2)
	v_add_co_ci_u32_e64 v62, null, s5, v62, vcc_lo
	global_store_b64 v[61:62], v[31:32], off
.LBB73_95:
	s_wait_alu 0xfffe
	s_or_b32 exec_lo, exec_lo, s1
	v_and_b32_e32 v34, 1, v58
	v_cmp_lt_u32_e32 vcc_lo, v48, v60
	s_delay_alu instid0(VALU_DEP_2)
	v_cmp_eq_u32_e64 s1, 1, v34
	s_or_b32 s3, s23, vcc_lo
	;; [unrolled: 26-line block ×7, first 2 shown]
	s_wait_alu 0xfffe
	s_and_b32 s3, s3, s1
	s_wait_alu 0xfffe
	s_and_saveexec_b32 s1, s3
	s_cbranch_execz .LBB73_107
; %bb.106:
	v_mov_b32_e32 v34, 0
	s_lshl_b64 s[4:5], s[10:11], 3
	s_wait_alu 0xfffe
	s_add_nc_u64 s[4:5], s[16:17], s[4:5]
	s_delay_alu instid0(VALU_DEP_1) | instskip(SKIP_1) | instid1(VALU_DEP_1)
	v_lshlrev_b64_e32 v[61:62], 3, v[33:34]
	s_wait_alu 0xfffe
	v_add_co_u32 v61, vcc_lo, s4, v61
	s_wait_alu 0xfffd
	s_delay_alu instid0(VALU_DEP_2)
	v_add_co_ci_u32_e64 v62, null, s5, v62, vcc_lo
	global_store_b64 v[61:62], v[37:38], off
.LBB73_107:
	s_wait_alu 0xfffe
	s_or_b32 exec_lo, exec_lo, s1
	s_mov_b32 s4, 0
.LBB73_108:
	s_wait_alu 0xfffe
	s_and_b32 vcc_lo, exec_lo, s4
	s_wait_alu 0xfffe
	s_cbranch_vccz .LBB73_129
; %bb.109:
	s_mov_b32 s1, exec_lo
	v_cmpx_eq_u32_e32 1, v39
; %bb.110:
	v_sub_nc_u32_e32 v34, v52, v22
	s_delay_alu instid0(VALU_DEP_1)
	v_lshlrev_b32_e32 v34, 3, v34
	ds_store_b64 v34, v[29:30]
; %bb.111:
	s_wait_alu 0xfffe
	s_or_b32 exec_lo, exec_lo, s1
	v_and_b32_e32 v29, 1, v59
	s_mov_b32 s1, exec_lo
	s_delay_alu instid0(VALU_DEP_1)
	v_cmpx_eq_u32_e32 1, v29
; %bb.112:
	v_sub_nc_u32_e32 v29, v50, v22
	s_delay_alu instid0(VALU_DEP_1)
	v_lshlrev_b32_e32 v29, 3, v29
	ds_store_b64 v29, v[31:32]
; %bb.113:
	s_wait_alu 0xfffe
	s_or_b32 exec_lo, exec_lo, s1
	v_and_b32_e32 v29, 1, v58
	s_mov_b32 s1, exec_lo
	s_delay_alu instid0(VALU_DEP_1)
	;; [unrolled: 12-line block ×7, first 2 shown]
	v_cmpx_eq_u32_e32 1, v17
; %bb.124:
	v_sub_nc_u32_e32 v17, v33, v22
	s_delay_alu instid0(VALU_DEP_1)
	v_lshlrev_b32_e32 v17, 3, v17
	ds_store_b64 v17, v[37:38]
; %bb.125:
	s_wait_alu 0xfffe
	s_or_b32 exec_lo, exec_lo, s1
	s_delay_alu instid0(SALU_CYCLE_1)
	s_mov_b32 s3, exec_lo
	s_wait_storecnt 0x0
	s_wait_loadcnt_dscnt 0x0
	s_barrier_signal -1
	s_barrier_wait -1
	global_inv scope:SCOPE_SE
	v_cmpx_lt_u32_e64 v0, v21
	s_cbranch_execz .LBB73_128
; %bb.126:
	v_dual_mov_b32 v18, 0 :: v_dual_mov_b32 v17, v22
	s_lshl_b64 s[4:5], s[10:11], 3
	s_delay_alu instid0(VALU_DEP_1) | instskip(NEXT) | instid1(VALU_DEP_1)
	v_lshlrev_b64_e32 v[19:20], 3, v[17:18]
	v_add_co_u32 v17, vcc_lo, s16, v19
	s_wait_alu 0xfffd
	s_delay_alu instid0(VALU_DEP_2)
	v_add_co_ci_u32_e64 v23, null, s17, v20, vcc_lo
	v_mov_b32_e32 v19, v54
	s_wait_alu 0xfffe
	v_add_co_u32 v20, vcc_lo, v17, s4
	s_wait_alu 0xfffd
	v_add_co_ci_u32_e64 v23, null, s5, v23, vcc_lo
	v_mov_b32_e32 v17, v0
	s_mov_b32 s4, 0
.LBB73_127:                             ; =>This Inner Loop Header: Depth=1
	ds_load_b64 v[24:25], v19
	v_lshlrev_b64_e32 v[26:27], 3, v[17:18]
	v_add_nc_u32_e32 v17, 0x180, v17
	v_add_nc_u32_e32 v19, 0xc00, v19
	s_delay_alu instid0(VALU_DEP_2) | instskip(NEXT) | instid1(VALU_DEP_4)
	v_cmp_ge_u32_e32 vcc_lo, v17, v21
	v_add_co_u32 v26, s1, v20, v26
	s_wait_alu 0xf1ff
	v_add_co_ci_u32_e64 v27, null, v23, v27, s1
	s_wait_alu 0xfffe
	s_or_b32 s4, vcc_lo, s4
	s_wait_dscnt 0x0
	global_store_b64 v[26:27], v[24:25], off
	s_wait_alu 0xfffe
	s_and_not1_b32 exec_lo, exec_lo, s4
	s_cbranch_execnz .LBB73_127
.LBB73_128:
	s_wait_alu 0xfffe
	s_or_b32 exec_lo, exec_lo, s3
.LBB73_129:
	s_delay_alu instid0(SALU_CYCLE_1)
	s_and_b32 vcc_lo, exec_lo, s0
	s_mov_b32 s0, -1
	s_wait_loadcnt 0x0
	s_wait_storecnt 0x0
	s_barrier_signal -1
	s_barrier_wait -1
	global_inv scope:SCOPE_SE
	s_wait_alu 0xfffe
	s_cbranch_vccnz .LBB73_133
; %bb.130:
	s_and_b32 vcc_lo, exec_lo, s0
	s_wait_alu 0xfffe
	s_cbranch_vccnz .LBB73_150
.LBB73_131:
	s_and_b32 s0, s2, s22
	s_wait_alu 0xfffe
	s_and_saveexec_b32 s1, s0
	s_cbranch_execnz .LBB73_170
.LBB73_132:
	s_endpgm
.LBB73_133:
	v_cmp_lt_u32_e32 vcc_lo, v52, v60
	v_cmp_eq_u32_e64 s0, 1, v39
	s_or_b32 s1, s23, vcc_lo
	s_wait_alu 0xfffe
	s_and_b32 s1, s1, s0
	s_wait_alu 0xfffe
	s_and_saveexec_b32 s0, s1
	s_cbranch_execz .LBB73_135
; %bb.134:
	v_mov_b32_e32 v53, 0
	s_lshl_b64 s[4:5], s[10:11], 3
	s_wait_alu 0xfffe
	s_add_nc_u64 s[4:5], s[18:19], s[4:5]
	s_delay_alu instid0(VALU_DEP_1) | instskip(SKIP_1) | instid1(VALU_DEP_1)
	v_lshlrev_b64_e32 v[17:18], 3, v[52:53]
	s_wait_alu 0xfffe
	v_add_co_u32 v17, vcc_lo, s4, v17
	s_wait_alu 0xfffd
	s_delay_alu instid0(VALU_DEP_2)
	v_add_co_ci_u32_e64 v18, null, s5, v18, vcc_lo
	global_store_b64 v[17:18], v[13:14], off
.LBB73_135:
	s_wait_alu 0xfffe
	s_or_b32 exec_lo, exec_lo, s0
	v_and_b32_e32 v17, 1, v59
	v_cmp_lt_u32_e32 vcc_lo, v50, v60
	s_delay_alu instid0(VALU_DEP_2)
	v_cmp_eq_u32_e64 s0, 1, v17
	s_or_b32 s1, s23, vcc_lo
	s_wait_alu 0xfffe
	s_and_b32 s1, s1, s0
	s_wait_alu 0xfffe
	s_and_saveexec_b32 s0, s1
	s_cbranch_execz .LBB73_137
; %bb.136:
	v_mov_b32_e32 v51, 0
	s_lshl_b64 s[4:5], s[10:11], 3
	s_wait_alu 0xfffe
	s_add_nc_u64 s[4:5], s[18:19], s[4:5]
	s_delay_alu instid0(VALU_DEP_1) | instskip(SKIP_1) | instid1(VALU_DEP_1)
	v_lshlrev_b64_e32 v[17:18], 3, v[50:51]
	s_wait_alu 0xfffe
	v_add_co_u32 v17, vcc_lo, s4, v17
	s_wait_alu 0xfffd
	s_delay_alu instid0(VALU_DEP_2)
	v_add_co_ci_u32_e64 v18, null, s5, v18, vcc_lo
	global_store_b64 v[17:18], v[15:16], off
.LBB73_137:
	s_wait_alu 0xfffe
	s_or_b32 exec_lo, exec_lo, s0
	v_and_b32_e32 v17, 1, v58
	v_cmp_lt_u32_e32 vcc_lo, v48, v60
	s_delay_alu instid0(VALU_DEP_2)
	;; [unrolled: 26-line block ×7, first 2 shown]
	v_cmp_eq_u32_e64 s0, 1, v17
	s_or_b32 s1, s23, vcc_lo
	s_wait_alu 0xfffe
	s_and_b32 s1, s1, s0
	s_wait_alu 0xfffe
	s_and_saveexec_b32 s0, s1
	s_cbranch_execz .LBB73_149
; %bb.148:
	v_mov_b32_e32 v34, 0
	s_lshl_b64 s[4:5], s[10:11], 3
	s_wait_alu 0xfffe
	s_add_nc_u64 s[4:5], s[18:19], s[4:5]
	s_delay_alu instid0(VALU_DEP_1) | instskip(SKIP_1) | instid1(VALU_DEP_1)
	v_lshlrev_b64_e32 v[17:18], 3, v[33:34]
	s_wait_alu 0xfffe
	v_add_co_u32 v17, vcc_lo, s4, v17
	s_wait_alu 0xfffd
	s_delay_alu instid0(VALU_DEP_2)
	v_add_co_ci_u32_e64 v18, null, s5, v18, vcc_lo
	global_store_b64 v[17:18], v[3:4], off
.LBB73_149:
	s_wait_alu 0xfffe
	s_or_b32 exec_lo, exec_lo, s0
	s_branch .LBB73_131
.LBB73_150:
	s_mov_b32 s0, exec_lo
	v_cmpx_eq_u32_e32 1, v39
; %bb.151:
	v_sub_nc_u32_e32 v17, v52, v22
	s_delay_alu instid0(VALU_DEP_1)
	v_lshlrev_b32_e32 v17, 3, v17
	ds_store_b64 v17, v[13:14]
; %bb.152:
	s_wait_alu 0xfffe
	s_or_b32 exec_lo, exec_lo, s0
	v_and_b32_e32 v13, 1, v59
	s_mov_b32 s0, exec_lo
	s_delay_alu instid0(VALU_DEP_1)
	v_cmpx_eq_u32_e32 1, v13
; %bb.153:
	v_sub_nc_u32_e32 v13, v50, v22
	s_delay_alu instid0(VALU_DEP_1)
	v_lshlrev_b32_e32 v13, 3, v13
	ds_store_b64 v13, v[15:16]
; %bb.154:
	s_wait_alu 0xfffe
	s_or_b32 exec_lo, exec_lo, s0
	v_and_b32_e32 v13, 1, v58
	s_mov_b32 s0, exec_lo
	s_delay_alu instid0(VALU_DEP_1)
	;; [unrolled: 12-line block ×7, first 2 shown]
	v_cmpx_eq_u32_e32 1, v1
; %bb.165:
	v_sub_nc_u32_e32 v1, v33, v22
	s_delay_alu instid0(VALU_DEP_1)
	v_lshlrev_b32_e32 v1, 3, v1
	ds_store_b64 v1, v[3:4]
; %bb.166:
	s_wait_alu 0xfffe
	s_or_b32 exec_lo, exec_lo, s0
	s_delay_alu instid0(SALU_CYCLE_1)
	s_mov_b32 s1, exec_lo
	s_wait_storecnt 0x0
	s_wait_loadcnt_dscnt 0x0
	s_barrier_signal -1
	s_barrier_wait -1
	global_inv scope:SCOPE_SE
	v_cmpx_lt_u32_e64 v0, v21
	s_cbranch_execz .LBB73_169
; %bb.167:
	v_dual_mov_b32 v1, 0 :: v_dual_mov_b32 v2, v22
	s_lshl_b64 s[4:5], s[10:11], 3
	s_mov_b32 s3, 0
	s_delay_alu instid0(VALU_DEP_1) | instskip(NEXT) | instid1(VALU_DEP_1)
	v_mov_b32_e32 v3, v1
	v_lshlrev_b64_e32 v[2:3], 3, v[2:3]
	s_delay_alu instid0(VALU_DEP_1) | instskip(SKIP_1) | instid1(VALU_DEP_2)
	v_add_co_u32 v2, vcc_lo, s18, v2
	s_wait_alu 0xfffd
	v_add_co_ci_u32_e64 v3, null, s19, v3, vcc_lo
	s_wait_alu 0xfffe
	s_delay_alu instid0(VALU_DEP_2) | instskip(SKIP_1) | instid1(VALU_DEP_2)
	v_add_co_u32 v2, vcc_lo, v2, s4
	s_wait_alu 0xfffd
	v_add_co_ci_u32_e64 v3, null, s5, v3, vcc_lo
.LBB73_168:                             ; =>This Inner Loop Header: Depth=1
	ds_load_b64 v[4:5], v54
	v_lshlrev_b64_e32 v[6:7], 3, v[0:1]
	v_add_nc_u32_e32 v0, 0x180, v0
	v_add_nc_u32_e32 v54, 0xc00, v54
	s_delay_alu instid0(VALU_DEP_2) | instskip(NEXT) | instid1(VALU_DEP_4)
	v_cmp_ge_u32_e32 vcc_lo, v0, v21
	v_add_co_u32 v6, s0, v2, v6
	s_wait_alu 0xf1ff
	v_add_co_ci_u32_e64 v7, null, v3, v7, s0
	s_or_b32 s3, vcc_lo, s3
	s_wait_dscnt 0x0
	global_store_b64 v[6:7], v[4:5], off
	s_wait_alu 0xfffe
	s_and_not1_b32 exec_lo, exec_lo, s3
	s_cbranch_execnz .LBB73_168
.LBB73_169:
	s_wait_alu 0xfffe
	s_or_b32 exec_lo, exec_lo, s1
	s_and_b32 s0, s2, s22
	s_wait_alu 0xfffe
	s_and_saveexec_b32 s1, s0
	s_cbranch_execz .LBB73_132
.LBB73_170:
	v_add_co_u32 v0, s0, s10, v21
	s_wait_alu 0xf1ff
	v_add_co_ci_u32_e64 v1, null, s11, 0, s0
	v_mov_b32_e32 v2, 0
	s_delay_alu instid0(VALU_DEP_3) | instskip(SKIP_1) | instid1(VALU_DEP_3)
	v_add_co_u32 v0, vcc_lo, v0, v22
	s_wait_alu 0xfffd
	v_add_co_ci_u32_e64 v1, null, 0, v1, vcc_lo
	global_store_b64 v2, v[0:1], s[12:13]
	s_endpgm
	.section	.rodata,"a",@progbits
	.p2align	6, 0x0
	.amdhsa_kernel _ZN7rocprim17ROCPRIM_400000_NS6detail17trampoline_kernelINS0_14default_configENS1_25partition_config_selectorILNS1_17partition_subalgoE9EllbEEZZNS1_14partition_implILS5_9ELb0ES3_jPKlN6thrust23THRUST_200600_302600_NS17counting_iteratorIlNSB_11use_defaultESD_SD_EEPNS0_10empty_typeENS0_5tupleIJPlSF_EEENSH_IJSI_SG_EEENS0_18inequality_wrapperIN6hipcub16HIPCUB_304000_NS8EqualityEEESI_JSF_EEE10hipError_tPvRmT3_T4_T5_T6_T7_T9_mT8_P12ihipStream_tbDpT10_ENKUlT_T0_E_clISt17integral_constantIbLb0EES18_IbLb1EEEEDaS14_S15_EUlS14_E_NS1_11comp_targetILNS1_3genE10ELNS1_11target_archE1200ELNS1_3gpuE4ELNS1_3repE0EEENS1_30default_config_static_selectorELNS0_4arch9wavefront6targetE0EEEvT1_
		.amdhsa_group_segment_fixed_size 25352
		.amdhsa_private_segment_fixed_size 0
		.amdhsa_kernarg_size 128
		.amdhsa_user_sgpr_count 2
		.amdhsa_user_sgpr_dispatch_ptr 0
		.amdhsa_user_sgpr_queue_ptr 0
		.amdhsa_user_sgpr_kernarg_segment_ptr 1
		.amdhsa_user_sgpr_dispatch_id 0
		.amdhsa_user_sgpr_private_segment_size 0
		.amdhsa_wavefront_size32 1
		.amdhsa_uses_dynamic_stack 0
		.amdhsa_enable_private_segment 0
		.amdhsa_system_sgpr_workgroup_id_x 1
		.amdhsa_system_sgpr_workgroup_id_y 0
		.amdhsa_system_sgpr_workgroup_id_z 0
		.amdhsa_system_sgpr_workgroup_info 0
		.amdhsa_system_vgpr_workitem_id 0
		.amdhsa_next_free_vgpr 73
		.amdhsa_next_free_sgpr 28
		.amdhsa_reserve_vcc 1
		.amdhsa_float_round_mode_32 0
		.amdhsa_float_round_mode_16_64 0
		.amdhsa_float_denorm_mode_32 3
		.amdhsa_float_denorm_mode_16_64 3
		.amdhsa_fp16_overflow 0
		.amdhsa_workgroup_processor_mode 1
		.amdhsa_memory_ordered 1
		.amdhsa_forward_progress 1
		.amdhsa_inst_pref_size 81
		.amdhsa_round_robin_scheduling 0
		.amdhsa_exception_fp_ieee_invalid_op 0
		.amdhsa_exception_fp_denorm_src 0
		.amdhsa_exception_fp_ieee_div_zero 0
		.amdhsa_exception_fp_ieee_overflow 0
		.amdhsa_exception_fp_ieee_underflow 0
		.amdhsa_exception_fp_ieee_inexact 0
		.amdhsa_exception_int_div_zero 0
	.end_amdhsa_kernel
	.section	.text._ZN7rocprim17ROCPRIM_400000_NS6detail17trampoline_kernelINS0_14default_configENS1_25partition_config_selectorILNS1_17partition_subalgoE9EllbEEZZNS1_14partition_implILS5_9ELb0ES3_jPKlN6thrust23THRUST_200600_302600_NS17counting_iteratorIlNSB_11use_defaultESD_SD_EEPNS0_10empty_typeENS0_5tupleIJPlSF_EEENSH_IJSI_SG_EEENS0_18inequality_wrapperIN6hipcub16HIPCUB_304000_NS8EqualityEEESI_JSF_EEE10hipError_tPvRmT3_T4_T5_T6_T7_T9_mT8_P12ihipStream_tbDpT10_ENKUlT_T0_E_clISt17integral_constantIbLb0EES18_IbLb1EEEEDaS14_S15_EUlS14_E_NS1_11comp_targetILNS1_3genE10ELNS1_11target_archE1200ELNS1_3gpuE4ELNS1_3repE0EEENS1_30default_config_static_selectorELNS0_4arch9wavefront6targetE0EEEvT1_,"axG",@progbits,_ZN7rocprim17ROCPRIM_400000_NS6detail17trampoline_kernelINS0_14default_configENS1_25partition_config_selectorILNS1_17partition_subalgoE9EllbEEZZNS1_14partition_implILS5_9ELb0ES3_jPKlN6thrust23THRUST_200600_302600_NS17counting_iteratorIlNSB_11use_defaultESD_SD_EEPNS0_10empty_typeENS0_5tupleIJPlSF_EEENSH_IJSI_SG_EEENS0_18inequality_wrapperIN6hipcub16HIPCUB_304000_NS8EqualityEEESI_JSF_EEE10hipError_tPvRmT3_T4_T5_T6_T7_T9_mT8_P12ihipStream_tbDpT10_ENKUlT_T0_E_clISt17integral_constantIbLb0EES18_IbLb1EEEEDaS14_S15_EUlS14_E_NS1_11comp_targetILNS1_3genE10ELNS1_11target_archE1200ELNS1_3gpuE4ELNS1_3repE0EEENS1_30default_config_static_selectorELNS0_4arch9wavefront6targetE0EEEvT1_,comdat
.Lfunc_end73:
	.size	_ZN7rocprim17ROCPRIM_400000_NS6detail17trampoline_kernelINS0_14default_configENS1_25partition_config_selectorILNS1_17partition_subalgoE9EllbEEZZNS1_14partition_implILS5_9ELb0ES3_jPKlN6thrust23THRUST_200600_302600_NS17counting_iteratorIlNSB_11use_defaultESD_SD_EEPNS0_10empty_typeENS0_5tupleIJPlSF_EEENSH_IJSI_SG_EEENS0_18inequality_wrapperIN6hipcub16HIPCUB_304000_NS8EqualityEEESI_JSF_EEE10hipError_tPvRmT3_T4_T5_T6_T7_T9_mT8_P12ihipStream_tbDpT10_ENKUlT_T0_E_clISt17integral_constantIbLb0EES18_IbLb1EEEEDaS14_S15_EUlS14_E_NS1_11comp_targetILNS1_3genE10ELNS1_11target_archE1200ELNS1_3gpuE4ELNS1_3repE0EEENS1_30default_config_static_selectorELNS0_4arch9wavefront6targetE0EEEvT1_, .Lfunc_end73-_ZN7rocprim17ROCPRIM_400000_NS6detail17trampoline_kernelINS0_14default_configENS1_25partition_config_selectorILNS1_17partition_subalgoE9EllbEEZZNS1_14partition_implILS5_9ELb0ES3_jPKlN6thrust23THRUST_200600_302600_NS17counting_iteratorIlNSB_11use_defaultESD_SD_EEPNS0_10empty_typeENS0_5tupleIJPlSF_EEENSH_IJSI_SG_EEENS0_18inequality_wrapperIN6hipcub16HIPCUB_304000_NS8EqualityEEESI_JSF_EEE10hipError_tPvRmT3_T4_T5_T6_T7_T9_mT8_P12ihipStream_tbDpT10_ENKUlT_T0_E_clISt17integral_constantIbLb0EES18_IbLb1EEEEDaS14_S15_EUlS14_E_NS1_11comp_targetILNS1_3genE10ELNS1_11target_archE1200ELNS1_3gpuE4ELNS1_3repE0EEENS1_30default_config_static_selectorELNS0_4arch9wavefront6targetE0EEEvT1_
                                        ; -- End function
	.set _ZN7rocprim17ROCPRIM_400000_NS6detail17trampoline_kernelINS0_14default_configENS1_25partition_config_selectorILNS1_17partition_subalgoE9EllbEEZZNS1_14partition_implILS5_9ELb0ES3_jPKlN6thrust23THRUST_200600_302600_NS17counting_iteratorIlNSB_11use_defaultESD_SD_EEPNS0_10empty_typeENS0_5tupleIJPlSF_EEENSH_IJSI_SG_EEENS0_18inequality_wrapperIN6hipcub16HIPCUB_304000_NS8EqualityEEESI_JSF_EEE10hipError_tPvRmT3_T4_T5_T6_T7_T9_mT8_P12ihipStream_tbDpT10_ENKUlT_T0_E_clISt17integral_constantIbLb0EES18_IbLb1EEEEDaS14_S15_EUlS14_E_NS1_11comp_targetILNS1_3genE10ELNS1_11target_archE1200ELNS1_3gpuE4ELNS1_3repE0EEENS1_30default_config_static_selectorELNS0_4arch9wavefront6targetE0EEEvT1_.num_vgpr, 73
	.set _ZN7rocprim17ROCPRIM_400000_NS6detail17trampoline_kernelINS0_14default_configENS1_25partition_config_selectorILNS1_17partition_subalgoE9EllbEEZZNS1_14partition_implILS5_9ELb0ES3_jPKlN6thrust23THRUST_200600_302600_NS17counting_iteratorIlNSB_11use_defaultESD_SD_EEPNS0_10empty_typeENS0_5tupleIJPlSF_EEENSH_IJSI_SG_EEENS0_18inequality_wrapperIN6hipcub16HIPCUB_304000_NS8EqualityEEESI_JSF_EEE10hipError_tPvRmT3_T4_T5_T6_T7_T9_mT8_P12ihipStream_tbDpT10_ENKUlT_T0_E_clISt17integral_constantIbLb0EES18_IbLb1EEEEDaS14_S15_EUlS14_E_NS1_11comp_targetILNS1_3genE10ELNS1_11target_archE1200ELNS1_3gpuE4ELNS1_3repE0EEENS1_30default_config_static_selectorELNS0_4arch9wavefront6targetE0EEEvT1_.num_agpr, 0
	.set _ZN7rocprim17ROCPRIM_400000_NS6detail17trampoline_kernelINS0_14default_configENS1_25partition_config_selectorILNS1_17partition_subalgoE9EllbEEZZNS1_14partition_implILS5_9ELb0ES3_jPKlN6thrust23THRUST_200600_302600_NS17counting_iteratorIlNSB_11use_defaultESD_SD_EEPNS0_10empty_typeENS0_5tupleIJPlSF_EEENSH_IJSI_SG_EEENS0_18inequality_wrapperIN6hipcub16HIPCUB_304000_NS8EqualityEEESI_JSF_EEE10hipError_tPvRmT3_T4_T5_T6_T7_T9_mT8_P12ihipStream_tbDpT10_ENKUlT_T0_E_clISt17integral_constantIbLb0EES18_IbLb1EEEEDaS14_S15_EUlS14_E_NS1_11comp_targetILNS1_3genE10ELNS1_11target_archE1200ELNS1_3gpuE4ELNS1_3repE0EEENS1_30default_config_static_selectorELNS0_4arch9wavefront6targetE0EEEvT1_.numbered_sgpr, 28
	.set _ZN7rocprim17ROCPRIM_400000_NS6detail17trampoline_kernelINS0_14default_configENS1_25partition_config_selectorILNS1_17partition_subalgoE9EllbEEZZNS1_14partition_implILS5_9ELb0ES3_jPKlN6thrust23THRUST_200600_302600_NS17counting_iteratorIlNSB_11use_defaultESD_SD_EEPNS0_10empty_typeENS0_5tupleIJPlSF_EEENSH_IJSI_SG_EEENS0_18inequality_wrapperIN6hipcub16HIPCUB_304000_NS8EqualityEEESI_JSF_EEE10hipError_tPvRmT3_T4_T5_T6_T7_T9_mT8_P12ihipStream_tbDpT10_ENKUlT_T0_E_clISt17integral_constantIbLb0EES18_IbLb1EEEEDaS14_S15_EUlS14_E_NS1_11comp_targetILNS1_3genE10ELNS1_11target_archE1200ELNS1_3gpuE4ELNS1_3repE0EEENS1_30default_config_static_selectorELNS0_4arch9wavefront6targetE0EEEvT1_.num_named_barrier, 0
	.set _ZN7rocprim17ROCPRIM_400000_NS6detail17trampoline_kernelINS0_14default_configENS1_25partition_config_selectorILNS1_17partition_subalgoE9EllbEEZZNS1_14partition_implILS5_9ELb0ES3_jPKlN6thrust23THRUST_200600_302600_NS17counting_iteratorIlNSB_11use_defaultESD_SD_EEPNS0_10empty_typeENS0_5tupleIJPlSF_EEENSH_IJSI_SG_EEENS0_18inequality_wrapperIN6hipcub16HIPCUB_304000_NS8EqualityEEESI_JSF_EEE10hipError_tPvRmT3_T4_T5_T6_T7_T9_mT8_P12ihipStream_tbDpT10_ENKUlT_T0_E_clISt17integral_constantIbLb0EES18_IbLb1EEEEDaS14_S15_EUlS14_E_NS1_11comp_targetILNS1_3genE10ELNS1_11target_archE1200ELNS1_3gpuE4ELNS1_3repE0EEENS1_30default_config_static_selectorELNS0_4arch9wavefront6targetE0EEEvT1_.private_seg_size, 0
	.set _ZN7rocprim17ROCPRIM_400000_NS6detail17trampoline_kernelINS0_14default_configENS1_25partition_config_selectorILNS1_17partition_subalgoE9EllbEEZZNS1_14partition_implILS5_9ELb0ES3_jPKlN6thrust23THRUST_200600_302600_NS17counting_iteratorIlNSB_11use_defaultESD_SD_EEPNS0_10empty_typeENS0_5tupleIJPlSF_EEENSH_IJSI_SG_EEENS0_18inequality_wrapperIN6hipcub16HIPCUB_304000_NS8EqualityEEESI_JSF_EEE10hipError_tPvRmT3_T4_T5_T6_T7_T9_mT8_P12ihipStream_tbDpT10_ENKUlT_T0_E_clISt17integral_constantIbLb0EES18_IbLb1EEEEDaS14_S15_EUlS14_E_NS1_11comp_targetILNS1_3genE10ELNS1_11target_archE1200ELNS1_3gpuE4ELNS1_3repE0EEENS1_30default_config_static_selectorELNS0_4arch9wavefront6targetE0EEEvT1_.uses_vcc, 1
	.set _ZN7rocprim17ROCPRIM_400000_NS6detail17trampoline_kernelINS0_14default_configENS1_25partition_config_selectorILNS1_17partition_subalgoE9EllbEEZZNS1_14partition_implILS5_9ELb0ES3_jPKlN6thrust23THRUST_200600_302600_NS17counting_iteratorIlNSB_11use_defaultESD_SD_EEPNS0_10empty_typeENS0_5tupleIJPlSF_EEENSH_IJSI_SG_EEENS0_18inequality_wrapperIN6hipcub16HIPCUB_304000_NS8EqualityEEESI_JSF_EEE10hipError_tPvRmT3_T4_T5_T6_T7_T9_mT8_P12ihipStream_tbDpT10_ENKUlT_T0_E_clISt17integral_constantIbLb0EES18_IbLb1EEEEDaS14_S15_EUlS14_E_NS1_11comp_targetILNS1_3genE10ELNS1_11target_archE1200ELNS1_3gpuE4ELNS1_3repE0EEENS1_30default_config_static_selectorELNS0_4arch9wavefront6targetE0EEEvT1_.uses_flat_scratch, 0
	.set _ZN7rocprim17ROCPRIM_400000_NS6detail17trampoline_kernelINS0_14default_configENS1_25partition_config_selectorILNS1_17partition_subalgoE9EllbEEZZNS1_14partition_implILS5_9ELb0ES3_jPKlN6thrust23THRUST_200600_302600_NS17counting_iteratorIlNSB_11use_defaultESD_SD_EEPNS0_10empty_typeENS0_5tupleIJPlSF_EEENSH_IJSI_SG_EEENS0_18inequality_wrapperIN6hipcub16HIPCUB_304000_NS8EqualityEEESI_JSF_EEE10hipError_tPvRmT3_T4_T5_T6_T7_T9_mT8_P12ihipStream_tbDpT10_ENKUlT_T0_E_clISt17integral_constantIbLb0EES18_IbLb1EEEEDaS14_S15_EUlS14_E_NS1_11comp_targetILNS1_3genE10ELNS1_11target_archE1200ELNS1_3gpuE4ELNS1_3repE0EEENS1_30default_config_static_selectorELNS0_4arch9wavefront6targetE0EEEvT1_.has_dyn_sized_stack, 0
	.set _ZN7rocprim17ROCPRIM_400000_NS6detail17trampoline_kernelINS0_14default_configENS1_25partition_config_selectorILNS1_17partition_subalgoE9EllbEEZZNS1_14partition_implILS5_9ELb0ES3_jPKlN6thrust23THRUST_200600_302600_NS17counting_iteratorIlNSB_11use_defaultESD_SD_EEPNS0_10empty_typeENS0_5tupleIJPlSF_EEENSH_IJSI_SG_EEENS0_18inequality_wrapperIN6hipcub16HIPCUB_304000_NS8EqualityEEESI_JSF_EEE10hipError_tPvRmT3_T4_T5_T6_T7_T9_mT8_P12ihipStream_tbDpT10_ENKUlT_T0_E_clISt17integral_constantIbLb0EES18_IbLb1EEEEDaS14_S15_EUlS14_E_NS1_11comp_targetILNS1_3genE10ELNS1_11target_archE1200ELNS1_3gpuE4ELNS1_3repE0EEENS1_30default_config_static_selectorELNS0_4arch9wavefront6targetE0EEEvT1_.has_recursion, 0
	.set _ZN7rocprim17ROCPRIM_400000_NS6detail17trampoline_kernelINS0_14default_configENS1_25partition_config_selectorILNS1_17partition_subalgoE9EllbEEZZNS1_14partition_implILS5_9ELb0ES3_jPKlN6thrust23THRUST_200600_302600_NS17counting_iteratorIlNSB_11use_defaultESD_SD_EEPNS0_10empty_typeENS0_5tupleIJPlSF_EEENSH_IJSI_SG_EEENS0_18inequality_wrapperIN6hipcub16HIPCUB_304000_NS8EqualityEEESI_JSF_EEE10hipError_tPvRmT3_T4_T5_T6_T7_T9_mT8_P12ihipStream_tbDpT10_ENKUlT_T0_E_clISt17integral_constantIbLb0EES18_IbLb1EEEEDaS14_S15_EUlS14_E_NS1_11comp_targetILNS1_3genE10ELNS1_11target_archE1200ELNS1_3gpuE4ELNS1_3repE0EEENS1_30default_config_static_selectorELNS0_4arch9wavefront6targetE0EEEvT1_.has_indirect_call, 0
	.section	.AMDGPU.csdata,"",@progbits
; Kernel info:
; codeLenInByte = 10248
; TotalNumSgprs: 30
; NumVgprs: 73
; ScratchSize: 0
; MemoryBound: 0
; FloatMode: 240
; IeeeMode: 1
; LDSByteSize: 25352 bytes/workgroup (compile time only)
; SGPRBlocks: 0
; VGPRBlocks: 9
; NumSGPRsForWavesPerEU: 30
; NumVGPRsForWavesPerEU: 73
; Occupancy: 15
; WaveLimiterHint : 1
; COMPUTE_PGM_RSRC2:SCRATCH_EN: 0
; COMPUTE_PGM_RSRC2:USER_SGPR: 2
; COMPUTE_PGM_RSRC2:TRAP_HANDLER: 0
; COMPUTE_PGM_RSRC2:TGID_X_EN: 1
; COMPUTE_PGM_RSRC2:TGID_Y_EN: 0
; COMPUTE_PGM_RSRC2:TGID_Z_EN: 0
; COMPUTE_PGM_RSRC2:TIDIG_COMP_CNT: 0
	.section	.text._ZN7rocprim17ROCPRIM_400000_NS6detail17trampoline_kernelINS0_14default_configENS1_25partition_config_selectorILNS1_17partition_subalgoE9EllbEEZZNS1_14partition_implILS5_9ELb0ES3_jPKlN6thrust23THRUST_200600_302600_NS17counting_iteratorIlNSB_11use_defaultESD_SD_EEPNS0_10empty_typeENS0_5tupleIJPlSF_EEENSH_IJSI_SG_EEENS0_18inequality_wrapperIN6hipcub16HIPCUB_304000_NS8EqualityEEESI_JSF_EEE10hipError_tPvRmT3_T4_T5_T6_T7_T9_mT8_P12ihipStream_tbDpT10_ENKUlT_T0_E_clISt17integral_constantIbLb0EES18_IbLb1EEEEDaS14_S15_EUlS14_E_NS1_11comp_targetILNS1_3genE9ELNS1_11target_archE1100ELNS1_3gpuE3ELNS1_3repE0EEENS1_30default_config_static_selectorELNS0_4arch9wavefront6targetE0EEEvT1_,"axG",@progbits,_ZN7rocprim17ROCPRIM_400000_NS6detail17trampoline_kernelINS0_14default_configENS1_25partition_config_selectorILNS1_17partition_subalgoE9EllbEEZZNS1_14partition_implILS5_9ELb0ES3_jPKlN6thrust23THRUST_200600_302600_NS17counting_iteratorIlNSB_11use_defaultESD_SD_EEPNS0_10empty_typeENS0_5tupleIJPlSF_EEENSH_IJSI_SG_EEENS0_18inequality_wrapperIN6hipcub16HIPCUB_304000_NS8EqualityEEESI_JSF_EEE10hipError_tPvRmT3_T4_T5_T6_T7_T9_mT8_P12ihipStream_tbDpT10_ENKUlT_T0_E_clISt17integral_constantIbLb0EES18_IbLb1EEEEDaS14_S15_EUlS14_E_NS1_11comp_targetILNS1_3genE9ELNS1_11target_archE1100ELNS1_3gpuE3ELNS1_3repE0EEENS1_30default_config_static_selectorELNS0_4arch9wavefront6targetE0EEEvT1_,comdat
	.protected	_ZN7rocprim17ROCPRIM_400000_NS6detail17trampoline_kernelINS0_14default_configENS1_25partition_config_selectorILNS1_17partition_subalgoE9EllbEEZZNS1_14partition_implILS5_9ELb0ES3_jPKlN6thrust23THRUST_200600_302600_NS17counting_iteratorIlNSB_11use_defaultESD_SD_EEPNS0_10empty_typeENS0_5tupleIJPlSF_EEENSH_IJSI_SG_EEENS0_18inequality_wrapperIN6hipcub16HIPCUB_304000_NS8EqualityEEESI_JSF_EEE10hipError_tPvRmT3_T4_T5_T6_T7_T9_mT8_P12ihipStream_tbDpT10_ENKUlT_T0_E_clISt17integral_constantIbLb0EES18_IbLb1EEEEDaS14_S15_EUlS14_E_NS1_11comp_targetILNS1_3genE9ELNS1_11target_archE1100ELNS1_3gpuE3ELNS1_3repE0EEENS1_30default_config_static_selectorELNS0_4arch9wavefront6targetE0EEEvT1_ ; -- Begin function _ZN7rocprim17ROCPRIM_400000_NS6detail17trampoline_kernelINS0_14default_configENS1_25partition_config_selectorILNS1_17partition_subalgoE9EllbEEZZNS1_14partition_implILS5_9ELb0ES3_jPKlN6thrust23THRUST_200600_302600_NS17counting_iteratorIlNSB_11use_defaultESD_SD_EEPNS0_10empty_typeENS0_5tupleIJPlSF_EEENSH_IJSI_SG_EEENS0_18inequality_wrapperIN6hipcub16HIPCUB_304000_NS8EqualityEEESI_JSF_EEE10hipError_tPvRmT3_T4_T5_T6_T7_T9_mT8_P12ihipStream_tbDpT10_ENKUlT_T0_E_clISt17integral_constantIbLb0EES18_IbLb1EEEEDaS14_S15_EUlS14_E_NS1_11comp_targetILNS1_3genE9ELNS1_11target_archE1100ELNS1_3gpuE3ELNS1_3repE0EEENS1_30default_config_static_selectorELNS0_4arch9wavefront6targetE0EEEvT1_
	.globl	_ZN7rocprim17ROCPRIM_400000_NS6detail17trampoline_kernelINS0_14default_configENS1_25partition_config_selectorILNS1_17partition_subalgoE9EllbEEZZNS1_14partition_implILS5_9ELb0ES3_jPKlN6thrust23THRUST_200600_302600_NS17counting_iteratorIlNSB_11use_defaultESD_SD_EEPNS0_10empty_typeENS0_5tupleIJPlSF_EEENSH_IJSI_SG_EEENS0_18inequality_wrapperIN6hipcub16HIPCUB_304000_NS8EqualityEEESI_JSF_EEE10hipError_tPvRmT3_T4_T5_T6_T7_T9_mT8_P12ihipStream_tbDpT10_ENKUlT_T0_E_clISt17integral_constantIbLb0EES18_IbLb1EEEEDaS14_S15_EUlS14_E_NS1_11comp_targetILNS1_3genE9ELNS1_11target_archE1100ELNS1_3gpuE3ELNS1_3repE0EEENS1_30default_config_static_selectorELNS0_4arch9wavefront6targetE0EEEvT1_
	.p2align	8
	.type	_ZN7rocprim17ROCPRIM_400000_NS6detail17trampoline_kernelINS0_14default_configENS1_25partition_config_selectorILNS1_17partition_subalgoE9EllbEEZZNS1_14partition_implILS5_9ELb0ES3_jPKlN6thrust23THRUST_200600_302600_NS17counting_iteratorIlNSB_11use_defaultESD_SD_EEPNS0_10empty_typeENS0_5tupleIJPlSF_EEENSH_IJSI_SG_EEENS0_18inequality_wrapperIN6hipcub16HIPCUB_304000_NS8EqualityEEESI_JSF_EEE10hipError_tPvRmT3_T4_T5_T6_T7_T9_mT8_P12ihipStream_tbDpT10_ENKUlT_T0_E_clISt17integral_constantIbLb0EES18_IbLb1EEEEDaS14_S15_EUlS14_E_NS1_11comp_targetILNS1_3genE9ELNS1_11target_archE1100ELNS1_3gpuE3ELNS1_3repE0EEENS1_30default_config_static_selectorELNS0_4arch9wavefront6targetE0EEEvT1_,@function
_ZN7rocprim17ROCPRIM_400000_NS6detail17trampoline_kernelINS0_14default_configENS1_25partition_config_selectorILNS1_17partition_subalgoE9EllbEEZZNS1_14partition_implILS5_9ELb0ES3_jPKlN6thrust23THRUST_200600_302600_NS17counting_iteratorIlNSB_11use_defaultESD_SD_EEPNS0_10empty_typeENS0_5tupleIJPlSF_EEENSH_IJSI_SG_EEENS0_18inequality_wrapperIN6hipcub16HIPCUB_304000_NS8EqualityEEESI_JSF_EEE10hipError_tPvRmT3_T4_T5_T6_T7_T9_mT8_P12ihipStream_tbDpT10_ENKUlT_T0_E_clISt17integral_constantIbLb0EES18_IbLb1EEEEDaS14_S15_EUlS14_E_NS1_11comp_targetILNS1_3genE9ELNS1_11target_archE1100ELNS1_3gpuE3ELNS1_3repE0EEENS1_30default_config_static_selectorELNS0_4arch9wavefront6targetE0EEEvT1_: ; @_ZN7rocprim17ROCPRIM_400000_NS6detail17trampoline_kernelINS0_14default_configENS1_25partition_config_selectorILNS1_17partition_subalgoE9EllbEEZZNS1_14partition_implILS5_9ELb0ES3_jPKlN6thrust23THRUST_200600_302600_NS17counting_iteratorIlNSB_11use_defaultESD_SD_EEPNS0_10empty_typeENS0_5tupleIJPlSF_EEENSH_IJSI_SG_EEENS0_18inequality_wrapperIN6hipcub16HIPCUB_304000_NS8EqualityEEESI_JSF_EEE10hipError_tPvRmT3_T4_T5_T6_T7_T9_mT8_P12ihipStream_tbDpT10_ENKUlT_T0_E_clISt17integral_constantIbLb0EES18_IbLb1EEEEDaS14_S15_EUlS14_E_NS1_11comp_targetILNS1_3genE9ELNS1_11target_archE1100ELNS1_3gpuE3ELNS1_3repE0EEENS1_30default_config_static_selectorELNS0_4arch9wavefront6targetE0EEEvT1_
; %bb.0:
	.section	.rodata,"a",@progbits
	.p2align	6, 0x0
	.amdhsa_kernel _ZN7rocprim17ROCPRIM_400000_NS6detail17trampoline_kernelINS0_14default_configENS1_25partition_config_selectorILNS1_17partition_subalgoE9EllbEEZZNS1_14partition_implILS5_9ELb0ES3_jPKlN6thrust23THRUST_200600_302600_NS17counting_iteratorIlNSB_11use_defaultESD_SD_EEPNS0_10empty_typeENS0_5tupleIJPlSF_EEENSH_IJSI_SG_EEENS0_18inequality_wrapperIN6hipcub16HIPCUB_304000_NS8EqualityEEESI_JSF_EEE10hipError_tPvRmT3_T4_T5_T6_T7_T9_mT8_P12ihipStream_tbDpT10_ENKUlT_T0_E_clISt17integral_constantIbLb0EES18_IbLb1EEEEDaS14_S15_EUlS14_E_NS1_11comp_targetILNS1_3genE9ELNS1_11target_archE1100ELNS1_3gpuE3ELNS1_3repE0EEENS1_30default_config_static_selectorELNS0_4arch9wavefront6targetE0EEEvT1_
		.amdhsa_group_segment_fixed_size 0
		.amdhsa_private_segment_fixed_size 0
		.amdhsa_kernarg_size 128
		.amdhsa_user_sgpr_count 2
		.amdhsa_user_sgpr_dispatch_ptr 0
		.amdhsa_user_sgpr_queue_ptr 0
		.amdhsa_user_sgpr_kernarg_segment_ptr 1
		.amdhsa_user_sgpr_dispatch_id 0
		.amdhsa_user_sgpr_private_segment_size 0
		.amdhsa_wavefront_size32 1
		.amdhsa_uses_dynamic_stack 0
		.amdhsa_enable_private_segment 0
		.amdhsa_system_sgpr_workgroup_id_x 1
		.amdhsa_system_sgpr_workgroup_id_y 0
		.amdhsa_system_sgpr_workgroup_id_z 0
		.amdhsa_system_sgpr_workgroup_info 0
		.amdhsa_system_vgpr_workitem_id 0
		.amdhsa_next_free_vgpr 1
		.amdhsa_next_free_sgpr 1
		.amdhsa_reserve_vcc 0
		.amdhsa_float_round_mode_32 0
		.amdhsa_float_round_mode_16_64 0
		.amdhsa_float_denorm_mode_32 3
		.amdhsa_float_denorm_mode_16_64 3
		.amdhsa_fp16_overflow 0
		.amdhsa_workgroup_processor_mode 1
		.amdhsa_memory_ordered 1
		.amdhsa_forward_progress 1
		.amdhsa_inst_pref_size 0
		.amdhsa_round_robin_scheduling 0
		.amdhsa_exception_fp_ieee_invalid_op 0
		.amdhsa_exception_fp_denorm_src 0
		.amdhsa_exception_fp_ieee_div_zero 0
		.amdhsa_exception_fp_ieee_overflow 0
		.amdhsa_exception_fp_ieee_underflow 0
		.amdhsa_exception_fp_ieee_inexact 0
		.amdhsa_exception_int_div_zero 0
	.end_amdhsa_kernel
	.section	.text._ZN7rocprim17ROCPRIM_400000_NS6detail17trampoline_kernelINS0_14default_configENS1_25partition_config_selectorILNS1_17partition_subalgoE9EllbEEZZNS1_14partition_implILS5_9ELb0ES3_jPKlN6thrust23THRUST_200600_302600_NS17counting_iteratorIlNSB_11use_defaultESD_SD_EEPNS0_10empty_typeENS0_5tupleIJPlSF_EEENSH_IJSI_SG_EEENS0_18inequality_wrapperIN6hipcub16HIPCUB_304000_NS8EqualityEEESI_JSF_EEE10hipError_tPvRmT3_T4_T5_T6_T7_T9_mT8_P12ihipStream_tbDpT10_ENKUlT_T0_E_clISt17integral_constantIbLb0EES18_IbLb1EEEEDaS14_S15_EUlS14_E_NS1_11comp_targetILNS1_3genE9ELNS1_11target_archE1100ELNS1_3gpuE3ELNS1_3repE0EEENS1_30default_config_static_selectorELNS0_4arch9wavefront6targetE0EEEvT1_,"axG",@progbits,_ZN7rocprim17ROCPRIM_400000_NS6detail17trampoline_kernelINS0_14default_configENS1_25partition_config_selectorILNS1_17partition_subalgoE9EllbEEZZNS1_14partition_implILS5_9ELb0ES3_jPKlN6thrust23THRUST_200600_302600_NS17counting_iteratorIlNSB_11use_defaultESD_SD_EEPNS0_10empty_typeENS0_5tupleIJPlSF_EEENSH_IJSI_SG_EEENS0_18inequality_wrapperIN6hipcub16HIPCUB_304000_NS8EqualityEEESI_JSF_EEE10hipError_tPvRmT3_T4_T5_T6_T7_T9_mT8_P12ihipStream_tbDpT10_ENKUlT_T0_E_clISt17integral_constantIbLb0EES18_IbLb1EEEEDaS14_S15_EUlS14_E_NS1_11comp_targetILNS1_3genE9ELNS1_11target_archE1100ELNS1_3gpuE3ELNS1_3repE0EEENS1_30default_config_static_selectorELNS0_4arch9wavefront6targetE0EEEvT1_,comdat
.Lfunc_end74:
	.size	_ZN7rocprim17ROCPRIM_400000_NS6detail17trampoline_kernelINS0_14default_configENS1_25partition_config_selectorILNS1_17partition_subalgoE9EllbEEZZNS1_14partition_implILS5_9ELb0ES3_jPKlN6thrust23THRUST_200600_302600_NS17counting_iteratorIlNSB_11use_defaultESD_SD_EEPNS0_10empty_typeENS0_5tupleIJPlSF_EEENSH_IJSI_SG_EEENS0_18inequality_wrapperIN6hipcub16HIPCUB_304000_NS8EqualityEEESI_JSF_EEE10hipError_tPvRmT3_T4_T5_T6_T7_T9_mT8_P12ihipStream_tbDpT10_ENKUlT_T0_E_clISt17integral_constantIbLb0EES18_IbLb1EEEEDaS14_S15_EUlS14_E_NS1_11comp_targetILNS1_3genE9ELNS1_11target_archE1100ELNS1_3gpuE3ELNS1_3repE0EEENS1_30default_config_static_selectorELNS0_4arch9wavefront6targetE0EEEvT1_, .Lfunc_end74-_ZN7rocprim17ROCPRIM_400000_NS6detail17trampoline_kernelINS0_14default_configENS1_25partition_config_selectorILNS1_17partition_subalgoE9EllbEEZZNS1_14partition_implILS5_9ELb0ES3_jPKlN6thrust23THRUST_200600_302600_NS17counting_iteratorIlNSB_11use_defaultESD_SD_EEPNS0_10empty_typeENS0_5tupleIJPlSF_EEENSH_IJSI_SG_EEENS0_18inequality_wrapperIN6hipcub16HIPCUB_304000_NS8EqualityEEESI_JSF_EEE10hipError_tPvRmT3_T4_T5_T6_T7_T9_mT8_P12ihipStream_tbDpT10_ENKUlT_T0_E_clISt17integral_constantIbLb0EES18_IbLb1EEEEDaS14_S15_EUlS14_E_NS1_11comp_targetILNS1_3genE9ELNS1_11target_archE1100ELNS1_3gpuE3ELNS1_3repE0EEENS1_30default_config_static_selectorELNS0_4arch9wavefront6targetE0EEEvT1_
                                        ; -- End function
	.set _ZN7rocprim17ROCPRIM_400000_NS6detail17trampoline_kernelINS0_14default_configENS1_25partition_config_selectorILNS1_17partition_subalgoE9EllbEEZZNS1_14partition_implILS5_9ELb0ES3_jPKlN6thrust23THRUST_200600_302600_NS17counting_iteratorIlNSB_11use_defaultESD_SD_EEPNS0_10empty_typeENS0_5tupleIJPlSF_EEENSH_IJSI_SG_EEENS0_18inequality_wrapperIN6hipcub16HIPCUB_304000_NS8EqualityEEESI_JSF_EEE10hipError_tPvRmT3_T4_T5_T6_T7_T9_mT8_P12ihipStream_tbDpT10_ENKUlT_T0_E_clISt17integral_constantIbLb0EES18_IbLb1EEEEDaS14_S15_EUlS14_E_NS1_11comp_targetILNS1_3genE9ELNS1_11target_archE1100ELNS1_3gpuE3ELNS1_3repE0EEENS1_30default_config_static_selectorELNS0_4arch9wavefront6targetE0EEEvT1_.num_vgpr, 0
	.set _ZN7rocprim17ROCPRIM_400000_NS6detail17trampoline_kernelINS0_14default_configENS1_25partition_config_selectorILNS1_17partition_subalgoE9EllbEEZZNS1_14partition_implILS5_9ELb0ES3_jPKlN6thrust23THRUST_200600_302600_NS17counting_iteratorIlNSB_11use_defaultESD_SD_EEPNS0_10empty_typeENS0_5tupleIJPlSF_EEENSH_IJSI_SG_EEENS0_18inequality_wrapperIN6hipcub16HIPCUB_304000_NS8EqualityEEESI_JSF_EEE10hipError_tPvRmT3_T4_T5_T6_T7_T9_mT8_P12ihipStream_tbDpT10_ENKUlT_T0_E_clISt17integral_constantIbLb0EES18_IbLb1EEEEDaS14_S15_EUlS14_E_NS1_11comp_targetILNS1_3genE9ELNS1_11target_archE1100ELNS1_3gpuE3ELNS1_3repE0EEENS1_30default_config_static_selectorELNS0_4arch9wavefront6targetE0EEEvT1_.num_agpr, 0
	.set _ZN7rocprim17ROCPRIM_400000_NS6detail17trampoline_kernelINS0_14default_configENS1_25partition_config_selectorILNS1_17partition_subalgoE9EllbEEZZNS1_14partition_implILS5_9ELb0ES3_jPKlN6thrust23THRUST_200600_302600_NS17counting_iteratorIlNSB_11use_defaultESD_SD_EEPNS0_10empty_typeENS0_5tupleIJPlSF_EEENSH_IJSI_SG_EEENS0_18inequality_wrapperIN6hipcub16HIPCUB_304000_NS8EqualityEEESI_JSF_EEE10hipError_tPvRmT3_T4_T5_T6_T7_T9_mT8_P12ihipStream_tbDpT10_ENKUlT_T0_E_clISt17integral_constantIbLb0EES18_IbLb1EEEEDaS14_S15_EUlS14_E_NS1_11comp_targetILNS1_3genE9ELNS1_11target_archE1100ELNS1_3gpuE3ELNS1_3repE0EEENS1_30default_config_static_selectorELNS0_4arch9wavefront6targetE0EEEvT1_.numbered_sgpr, 0
	.set _ZN7rocprim17ROCPRIM_400000_NS6detail17trampoline_kernelINS0_14default_configENS1_25partition_config_selectorILNS1_17partition_subalgoE9EllbEEZZNS1_14partition_implILS5_9ELb0ES3_jPKlN6thrust23THRUST_200600_302600_NS17counting_iteratorIlNSB_11use_defaultESD_SD_EEPNS0_10empty_typeENS0_5tupleIJPlSF_EEENSH_IJSI_SG_EEENS0_18inequality_wrapperIN6hipcub16HIPCUB_304000_NS8EqualityEEESI_JSF_EEE10hipError_tPvRmT3_T4_T5_T6_T7_T9_mT8_P12ihipStream_tbDpT10_ENKUlT_T0_E_clISt17integral_constantIbLb0EES18_IbLb1EEEEDaS14_S15_EUlS14_E_NS1_11comp_targetILNS1_3genE9ELNS1_11target_archE1100ELNS1_3gpuE3ELNS1_3repE0EEENS1_30default_config_static_selectorELNS0_4arch9wavefront6targetE0EEEvT1_.num_named_barrier, 0
	.set _ZN7rocprim17ROCPRIM_400000_NS6detail17trampoline_kernelINS0_14default_configENS1_25partition_config_selectorILNS1_17partition_subalgoE9EllbEEZZNS1_14partition_implILS5_9ELb0ES3_jPKlN6thrust23THRUST_200600_302600_NS17counting_iteratorIlNSB_11use_defaultESD_SD_EEPNS0_10empty_typeENS0_5tupleIJPlSF_EEENSH_IJSI_SG_EEENS0_18inequality_wrapperIN6hipcub16HIPCUB_304000_NS8EqualityEEESI_JSF_EEE10hipError_tPvRmT3_T4_T5_T6_T7_T9_mT8_P12ihipStream_tbDpT10_ENKUlT_T0_E_clISt17integral_constantIbLb0EES18_IbLb1EEEEDaS14_S15_EUlS14_E_NS1_11comp_targetILNS1_3genE9ELNS1_11target_archE1100ELNS1_3gpuE3ELNS1_3repE0EEENS1_30default_config_static_selectorELNS0_4arch9wavefront6targetE0EEEvT1_.private_seg_size, 0
	.set _ZN7rocprim17ROCPRIM_400000_NS6detail17trampoline_kernelINS0_14default_configENS1_25partition_config_selectorILNS1_17partition_subalgoE9EllbEEZZNS1_14partition_implILS5_9ELb0ES3_jPKlN6thrust23THRUST_200600_302600_NS17counting_iteratorIlNSB_11use_defaultESD_SD_EEPNS0_10empty_typeENS0_5tupleIJPlSF_EEENSH_IJSI_SG_EEENS0_18inequality_wrapperIN6hipcub16HIPCUB_304000_NS8EqualityEEESI_JSF_EEE10hipError_tPvRmT3_T4_T5_T6_T7_T9_mT8_P12ihipStream_tbDpT10_ENKUlT_T0_E_clISt17integral_constantIbLb0EES18_IbLb1EEEEDaS14_S15_EUlS14_E_NS1_11comp_targetILNS1_3genE9ELNS1_11target_archE1100ELNS1_3gpuE3ELNS1_3repE0EEENS1_30default_config_static_selectorELNS0_4arch9wavefront6targetE0EEEvT1_.uses_vcc, 0
	.set _ZN7rocprim17ROCPRIM_400000_NS6detail17trampoline_kernelINS0_14default_configENS1_25partition_config_selectorILNS1_17partition_subalgoE9EllbEEZZNS1_14partition_implILS5_9ELb0ES3_jPKlN6thrust23THRUST_200600_302600_NS17counting_iteratorIlNSB_11use_defaultESD_SD_EEPNS0_10empty_typeENS0_5tupleIJPlSF_EEENSH_IJSI_SG_EEENS0_18inequality_wrapperIN6hipcub16HIPCUB_304000_NS8EqualityEEESI_JSF_EEE10hipError_tPvRmT3_T4_T5_T6_T7_T9_mT8_P12ihipStream_tbDpT10_ENKUlT_T0_E_clISt17integral_constantIbLb0EES18_IbLb1EEEEDaS14_S15_EUlS14_E_NS1_11comp_targetILNS1_3genE9ELNS1_11target_archE1100ELNS1_3gpuE3ELNS1_3repE0EEENS1_30default_config_static_selectorELNS0_4arch9wavefront6targetE0EEEvT1_.uses_flat_scratch, 0
	.set _ZN7rocprim17ROCPRIM_400000_NS6detail17trampoline_kernelINS0_14default_configENS1_25partition_config_selectorILNS1_17partition_subalgoE9EllbEEZZNS1_14partition_implILS5_9ELb0ES3_jPKlN6thrust23THRUST_200600_302600_NS17counting_iteratorIlNSB_11use_defaultESD_SD_EEPNS0_10empty_typeENS0_5tupleIJPlSF_EEENSH_IJSI_SG_EEENS0_18inequality_wrapperIN6hipcub16HIPCUB_304000_NS8EqualityEEESI_JSF_EEE10hipError_tPvRmT3_T4_T5_T6_T7_T9_mT8_P12ihipStream_tbDpT10_ENKUlT_T0_E_clISt17integral_constantIbLb0EES18_IbLb1EEEEDaS14_S15_EUlS14_E_NS1_11comp_targetILNS1_3genE9ELNS1_11target_archE1100ELNS1_3gpuE3ELNS1_3repE0EEENS1_30default_config_static_selectorELNS0_4arch9wavefront6targetE0EEEvT1_.has_dyn_sized_stack, 0
	.set _ZN7rocprim17ROCPRIM_400000_NS6detail17trampoline_kernelINS0_14default_configENS1_25partition_config_selectorILNS1_17partition_subalgoE9EllbEEZZNS1_14partition_implILS5_9ELb0ES3_jPKlN6thrust23THRUST_200600_302600_NS17counting_iteratorIlNSB_11use_defaultESD_SD_EEPNS0_10empty_typeENS0_5tupleIJPlSF_EEENSH_IJSI_SG_EEENS0_18inequality_wrapperIN6hipcub16HIPCUB_304000_NS8EqualityEEESI_JSF_EEE10hipError_tPvRmT3_T4_T5_T6_T7_T9_mT8_P12ihipStream_tbDpT10_ENKUlT_T0_E_clISt17integral_constantIbLb0EES18_IbLb1EEEEDaS14_S15_EUlS14_E_NS1_11comp_targetILNS1_3genE9ELNS1_11target_archE1100ELNS1_3gpuE3ELNS1_3repE0EEENS1_30default_config_static_selectorELNS0_4arch9wavefront6targetE0EEEvT1_.has_recursion, 0
	.set _ZN7rocprim17ROCPRIM_400000_NS6detail17trampoline_kernelINS0_14default_configENS1_25partition_config_selectorILNS1_17partition_subalgoE9EllbEEZZNS1_14partition_implILS5_9ELb0ES3_jPKlN6thrust23THRUST_200600_302600_NS17counting_iteratorIlNSB_11use_defaultESD_SD_EEPNS0_10empty_typeENS0_5tupleIJPlSF_EEENSH_IJSI_SG_EEENS0_18inequality_wrapperIN6hipcub16HIPCUB_304000_NS8EqualityEEESI_JSF_EEE10hipError_tPvRmT3_T4_T5_T6_T7_T9_mT8_P12ihipStream_tbDpT10_ENKUlT_T0_E_clISt17integral_constantIbLb0EES18_IbLb1EEEEDaS14_S15_EUlS14_E_NS1_11comp_targetILNS1_3genE9ELNS1_11target_archE1100ELNS1_3gpuE3ELNS1_3repE0EEENS1_30default_config_static_selectorELNS0_4arch9wavefront6targetE0EEEvT1_.has_indirect_call, 0
	.section	.AMDGPU.csdata,"",@progbits
; Kernel info:
; codeLenInByte = 0
; TotalNumSgprs: 0
; NumVgprs: 0
; ScratchSize: 0
; MemoryBound: 0
; FloatMode: 240
; IeeeMode: 1
; LDSByteSize: 0 bytes/workgroup (compile time only)
; SGPRBlocks: 0
; VGPRBlocks: 0
; NumSGPRsForWavesPerEU: 1
; NumVGPRsForWavesPerEU: 1
; Occupancy: 16
; WaveLimiterHint : 0
; COMPUTE_PGM_RSRC2:SCRATCH_EN: 0
; COMPUTE_PGM_RSRC2:USER_SGPR: 2
; COMPUTE_PGM_RSRC2:TRAP_HANDLER: 0
; COMPUTE_PGM_RSRC2:TGID_X_EN: 1
; COMPUTE_PGM_RSRC2:TGID_Y_EN: 0
; COMPUTE_PGM_RSRC2:TGID_Z_EN: 0
; COMPUTE_PGM_RSRC2:TIDIG_COMP_CNT: 0
	.section	.text._ZN7rocprim17ROCPRIM_400000_NS6detail17trampoline_kernelINS0_14default_configENS1_25partition_config_selectorILNS1_17partition_subalgoE9EllbEEZZNS1_14partition_implILS5_9ELb0ES3_jPKlN6thrust23THRUST_200600_302600_NS17counting_iteratorIlNSB_11use_defaultESD_SD_EEPNS0_10empty_typeENS0_5tupleIJPlSF_EEENSH_IJSI_SG_EEENS0_18inequality_wrapperIN6hipcub16HIPCUB_304000_NS8EqualityEEESI_JSF_EEE10hipError_tPvRmT3_T4_T5_T6_T7_T9_mT8_P12ihipStream_tbDpT10_ENKUlT_T0_E_clISt17integral_constantIbLb0EES18_IbLb1EEEEDaS14_S15_EUlS14_E_NS1_11comp_targetILNS1_3genE8ELNS1_11target_archE1030ELNS1_3gpuE2ELNS1_3repE0EEENS1_30default_config_static_selectorELNS0_4arch9wavefront6targetE0EEEvT1_,"axG",@progbits,_ZN7rocprim17ROCPRIM_400000_NS6detail17trampoline_kernelINS0_14default_configENS1_25partition_config_selectorILNS1_17partition_subalgoE9EllbEEZZNS1_14partition_implILS5_9ELb0ES3_jPKlN6thrust23THRUST_200600_302600_NS17counting_iteratorIlNSB_11use_defaultESD_SD_EEPNS0_10empty_typeENS0_5tupleIJPlSF_EEENSH_IJSI_SG_EEENS0_18inequality_wrapperIN6hipcub16HIPCUB_304000_NS8EqualityEEESI_JSF_EEE10hipError_tPvRmT3_T4_T5_T6_T7_T9_mT8_P12ihipStream_tbDpT10_ENKUlT_T0_E_clISt17integral_constantIbLb0EES18_IbLb1EEEEDaS14_S15_EUlS14_E_NS1_11comp_targetILNS1_3genE8ELNS1_11target_archE1030ELNS1_3gpuE2ELNS1_3repE0EEENS1_30default_config_static_selectorELNS0_4arch9wavefront6targetE0EEEvT1_,comdat
	.protected	_ZN7rocprim17ROCPRIM_400000_NS6detail17trampoline_kernelINS0_14default_configENS1_25partition_config_selectorILNS1_17partition_subalgoE9EllbEEZZNS1_14partition_implILS5_9ELb0ES3_jPKlN6thrust23THRUST_200600_302600_NS17counting_iteratorIlNSB_11use_defaultESD_SD_EEPNS0_10empty_typeENS0_5tupleIJPlSF_EEENSH_IJSI_SG_EEENS0_18inequality_wrapperIN6hipcub16HIPCUB_304000_NS8EqualityEEESI_JSF_EEE10hipError_tPvRmT3_T4_T5_T6_T7_T9_mT8_P12ihipStream_tbDpT10_ENKUlT_T0_E_clISt17integral_constantIbLb0EES18_IbLb1EEEEDaS14_S15_EUlS14_E_NS1_11comp_targetILNS1_3genE8ELNS1_11target_archE1030ELNS1_3gpuE2ELNS1_3repE0EEENS1_30default_config_static_selectorELNS0_4arch9wavefront6targetE0EEEvT1_ ; -- Begin function _ZN7rocprim17ROCPRIM_400000_NS6detail17trampoline_kernelINS0_14default_configENS1_25partition_config_selectorILNS1_17partition_subalgoE9EllbEEZZNS1_14partition_implILS5_9ELb0ES3_jPKlN6thrust23THRUST_200600_302600_NS17counting_iteratorIlNSB_11use_defaultESD_SD_EEPNS0_10empty_typeENS0_5tupleIJPlSF_EEENSH_IJSI_SG_EEENS0_18inequality_wrapperIN6hipcub16HIPCUB_304000_NS8EqualityEEESI_JSF_EEE10hipError_tPvRmT3_T4_T5_T6_T7_T9_mT8_P12ihipStream_tbDpT10_ENKUlT_T0_E_clISt17integral_constantIbLb0EES18_IbLb1EEEEDaS14_S15_EUlS14_E_NS1_11comp_targetILNS1_3genE8ELNS1_11target_archE1030ELNS1_3gpuE2ELNS1_3repE0EEENS1_30default_config_static_selectorELNS0_4arch9wavefront6targetE0EEEvT1_
	.globl	_ZN7rocprim17ROCPRIM_400000_NS6detail17trampoline_kernelINS0_14default_configENS1_25partition_config_selectorILNS1_17partition_subalgoE9EllbEEZZNS1_14partition_implILS5_9ELb0ES3_jPKlN6thrust23THRUST_200600_302600_NS17counting_iteratorIlNSB_11use_defaultESD_SD_EEPNS0_10empty_typeENS0_5tupleIJPlSF_EEENSH_IJSI_SG_EEENS0_18inequality_wrapperIN6hipcub16HIPCUB_304000_NS8EqualityEEESI_JSF_EEE10hipError_tPvRmT3_T4_T5_T6_T7_T9_mT8_P12ihipStream_tbDpT10_ENKUlT_T0_E_clISt17integral_constantIbLb0EES18_IbLb1EEEEDaS14_S15_EUlS14_E_NS1_11comp_targetILNS1_3genE8ELNS1_11target_archE1030ELNS1_3gpuE2ELNS1_3repE0EEENS1_30default_config_static_selectorELNS0_4arch9wavefront6targetE0EEEvT1_
	.p2align	8
	.type	_ZN7rocprim17ROCPRIM_400000_NS6detail17trampoline_kernelINS0_14default_configENS1_25partition_config_selectorILNS1_17partition_subalgoE9EllbEEZZNS1_14partition_implILS5_9ELb0ES3_jPKlN6thrust23THRUST_200600_302600_NS17counting_iteratorIlNSB_11use_defaultESD_SD_EEPNS0_10empty_typeENS0_5tupleIJPlSF_EEENSH_IJSI_SG_EEENS0_18inequality_wrapperIN6hipcub16HIPCUB_304000_NS8EqualityEEESI_JSF_EEE10hipError_tPvRmT3_T4_T5_T6_T7_T9_mT8_P12ihipStream_tbDpT10_ENKUlT_T0_E_clISt17integral_constantIbLb0EES18_IbLb1EEEEDaS14_S15_EUlS14_E_NS1_11comp_targetILNS1_3genE8ELNS1_11target_archE1030ELNS1_3gpuE2ELNS1_3repE0EEENS1_30default_config_static_selectorELNS0_4arch9wavefront6targetE0EEEvT1_,@function
_ZN7rocprim17ROCPRIM_400000_NS6detail17trampoline_kernelINS0_14default_configENS1_25partition_config_selectorILNS1_17partition_subalgoE9EllbEEZZNS1_14partition_implILS5_9ELb0ES3_jPKlN6thrust23THRUST_200600_302600_NS17counting_iteratorIlNSB_11use_defaultESD_SD_EEPNS0_10empty_typeENS0_5tupleIJPlSF_EEENSH_IJSI_SG_EEENS0_18inequality_wrapperIN6hipcub16HIPCUB_304000_NS8EqualityEEESI_JSF_EEE10hipError_tPvRmT3_T4_T5_T6_T7_T9_mT8_P12ihipStream_tbDpT10_ENKUlT_T0_E_clISt17integral_constantIbLb0EES18_IbLb1EEEEDaS14_S15_EUlS14_E_NS1_11comp_targetILNS1_3genE8ELNS1_11target_archE1030ELNS1_3gpuE2ELNS1_3repE0EEENS1_30default_config_static_selectorELNS0_4arch9wavefront6targetE0EEEvT1_: ; @_ZN7rocprim17ROCPRIM_400000_NS6detail17trampoline_kernelINS0_14default_configENS1_25partition_config_selectorILNS1_17partition_subalgoE9EllbEEZZNS1_14partition_implILS5_9ELb0ES3_jPKlN6thrust23THRUST_200600_302600_NS17counting_iteratorIlNSB_11use_defaultESD_SD_EEPNS0_10empty_typeENS0_5tupleIJPlSF_EEENSH_IJSI_SG_EEENS0_18inequality_wrapperIN6hipcub16HIPCUB_304000_NS8EqualityEEESI_JSF_EEE10hipError_tPvRmT3_T4_T5_T6_T7_T9_mT8_P12ihipStream_tbDpT10_ENKUlT_T0_E_clISt17integral_constantIbLb0EES18_IbLb1EEEEDaS14_S15_EUlS14_E_NS1_11comp_targetILNS1_3genE8ELNS1_11target_archE1030ELNS1_3gpuE2ELNS1_3repE0EEENS1_30default_config_static_selectorELNS0_4arch9wavefront6targetE0EEEvT1_
; %bb.0:
	.section	.rodata,"a",@progbits
	.p2align	6, 0x0
	.amdhsa_kernel _ZN7rocprim17ROCPRIM_400000_NS6detail17trampoline_kernelINS0_14default_configENS1_25partition_config_selectorILNS1_17partition_subalgoE9EllbEEZZNS1_14partition_implILS5_9ELb0ES3_jPKlN6thrust23THRUST_200600_302600_NS17counting_iteratorIlNSB_11use_defaultESD_SD_EEPNS0_10empty_typeENS0_5tupleIJPlSF_EEENSH_IJSI_SG_EEENS0_18inequality_wrapperIN6hipcub16HIPCUB_304000_NS8EqualityEEESI_JSF_EEE10hipError_tPvRmT3_T4_T5_T6_T7_T9_mT8_P12ihipStream_tbDpT10_ENKUlT_T0_E_clISt17integral_constantIbLb0EES18_IbLb1EEEEDaS14_S15_EUlS14_E_NS1_11comp_targetILNS1_3genE8ELNS1_11target_archE1030ELNS1_3gpuE2ELNS1_3repE0EEENS1_30default_config_static_selectorELNS0_4arch9wavefront6targetE0EEEvT1_
		.amdhsa_group_segment_fixed_size 0
		.amdhsa_private_segment_fixed_size 0
		.amdhsa_kernarg_size 128
		.amdhsa_user_sgpr_count 2
		.amdhsa_user_sgpr_dispatch_ptr 0
		.amdhsa_user_sgpr_queue_ptr 0
		.amdhsa_user_sgpr_kernarg_segment_ptr 1
		.amdhsa_user_sgpr_dispatch_id 0
		.amdhsa_user_sgpr_private_segment_size 0
		.amdhsa_wavefront_size32 1
		.amdhsa_uses_dynamic_stack 0
		.amdhsa_enable_private_segment 0
		.amdhsa_system_sgpr_workgroup_id_x 1
		.amdhsa_system_sgpr_workgroup_id_y 0
		.amdhsa_system_sgpr_workgroup_id_z 0
		.amdhsa_system_sgpr_workgroup_info 0
		.amdhsa_system_vgpr_workitem_id 0
		.amdhsa_next_free_vgpr 1
		.amdhsa_next_free_sgpr 1
		.amdhsa_reserve_vcc 0
		.amdhsa_float_round_mode_32 0
		.amdhsa_float_round_mode_16_64 0
		.amdhsa_float_denorm_mode_32 3
		.amdhsa_float_denorm_mode_16_64 3
		.amdhsa_fp16_overflow 0
		.amdhsa_workgroup_processor_mode 1
		.amdhsa_memory_ordered 1
		.amdhsa_forward_progress 1
		.amdhsa_inst_pref_size 0
		.amdhsa_round_robin_scheduling 0
		.amdhsa_exception_fp_ieee_invalid_op 0
		.amdhsa_exception_fp_denorm_src 0
		.amdhsa_exception_fp_ieee_div_zero 0
		.amdhsa_exception_fp_ieee_overflow 0
		.amdhsa_exception_fp_ieee_underflow 0
		.amdhsa_exception_fp_ieee_inexact 0
		.amdhsa_exception_int_div_zero 0
	.end_amdhsa_kernel
	.section	.text._ZN7rocprim17ROCPRIM_400000_NS6detail17trampoline_kernelINS0_14default_configENS1_25partition_config_selectorILNS1_17partition_subalgoE9EllbEEZZNS1_14partition_implILS5_9ELb0ES3_jPKlN6thrust23THRUST_200600_302600_NS17counting_iteratorIlNSB_11use_defaultESD_SD_EEPNS0_10empty_typeENS0_5tupleIJPlSF_EEENSH_IJSI_SG_EEENS0_18inequality_wrapperIN6hipcub16HIPCUB_304000_NS8EqualityEEESI_JSF_EEE10hipError_tPvRmT3_T4_T5_T6_T7_T9_mT8_P12ihipStream_tbDpT10_ENKUlT_T0_E_clISt17integral_constantIbLb0EES18_IbLb1EEEEDaS14_S15_EUlS14_E_NS1_11comp_targetILNS1_3genE8ELNS1_11target_archE1030ELNS1_3gpuE2ELNS1_3repE0EEENS1_30default_config_static_selectorELNS0_4arch9wavefront6targetE0EEEvT1_,"axG",@progbits,_ZN7rocprim17ROCPRIM_400000_NS6detail17trampoline_kernelINS0_14default_configENS1_25partition_config_selectorILNS1_17partition_subalgoE9EllbEEZZNS1_14partition_implILS5_9ELb0ES3_jPKlN6thrust23THRUST_200600_302600_NS17counting_iteratorIlNSB_11use_defaultESD_SD_EEPNS0_10empty_typeENS0_5tupleIJPlSF_EEENSH_IJSI_SG_EEENS0_18inequality_wrapperIN6hipcub16HIPCUB_304000_NS8EqualityEEESI_JSF_EEE10hipError_tPvRmT3_T4_T5_T6_T7_T9_mT8_P12ihipStream_tbDpT10_ENKUlT_T0_E_clISt17integral_constantIbLb0EES18_IbLb1EEEEDaS14_S15_EUlS14_E_NS1_11comp_targetILNS1_3genE8ELNS1_11target_archE1030ELNS1_3gpuE2ELNS1_3repE0EEENS1_30default_config_static_selectorELNS0_4arch9wavefront6targetE0EEEvT1_,comdat
.Lfunc_end75:
	.size	_ZN7rocprim17ROCPRIM_400000_NS6detail17trampoline_kernelINS0_14default_configENS1_25partition_config_selectorILNS1_17partition_subalgoE9EllbEEZZNS1_14partition_implILS5_9ELb0ES3_jPKlN6thrust23THRUST_200600_302600_NS17counting_iteratorIlNSB_11use_defaultESD_SD_EEPNS0_10empty_typeENS0_5tupleIJPlSF_EEENSH_IJSI_SG_EEENS0_18inequality_wrapperIN6hipcub16HIPCUB_304000_NS8EqualityEEESI_JSF_EEE10hipError_tPvRmT3_T4_T5_T6_T7_T9_mT8_P12ihipStream_tbDpT10_ENKUlT_T0_E_clISt17integral_constantIbLb0EES18_IbLb1EEEEDaS14_S15_EUlS14_E_NS1_11comp_targetILNS1_3genE8ELNS1_11target_archE1030ELNS1_3gpuE2ELNS1_3repE0EEENS1_30default_config_static_selectorELNS0_4arch9wavefront6targetE0EEEvT1_, .Lfunc_end75-_ZN7rocprim17ROCPRIM_400000_NS6detail17trampoline_kernelINS0_14default_configENS1_25partition_config_selectorILNS1_17partition_subalgoE9EllbEEZZNS1_14partition_implILS5_9ELb0ES3_jPKlN6thrust23THRUST_200600_302600_NS17counting_iteratorIlNSB_11use_defaultESD_SD_EEPNS0_10empty_typeENS0_5tupleIJPlSF_EEENSH_IJSI_SG_EEENS0_18inequality_wrapperIN6hipcub16HIPCUB_304000_NS8EqualityEEESI_JSF_EEE10hipError_tPvRmT3_T4_T5_T6_T7_T9_mT8_P12ihipStream_tbDpT10_ENKUlT_T0_E_clISt17integral_constantIbLb0EES18_IbLb1EEEEDaS14_S15_EUlS14_E_NS1_11comp_targetILNS1_3genE8ELNS1_11target_archE1030ELNS1_3gpuE2ELNS1_3repE0EEENS1_30default_config_static_selectorELNS0_4arch9wavefront6targetE0EEEvT1_
                                        ; -- End function
	.set _ZN7rocprim17ROCPRIM_400000_NS6detail17trampoline_kernelINS0_14default_configENS1_25partition_config_selectorILNS1_17partition_subalgoE9EllbEEZZNS1_14partition_implILS5_9ELb0ES3_jPKlN6thrust23THRUST_200600_302600_NS17counting_iteratorIlNSB_11use_defaultESD_SD_EEPNS0_10empty_typeENS0_5tupleIJPlSF_EEENSH_IJSI_SG_EEENS0_18inequality_wrapperIN6hipcub16HIPCUB_304000_NS8EqualityEEESI_JSF_EEE10hipError_tPvRmT3_T4_T5_T6_T7_T9_mT8_P12ihipStream_tbDpT10_ENKUlT_T0_E_clISt17integral_constantIbLb0EES18_IbLb1EEEEDaS14_S15_EUlS14_E_NS1_11comp_targetILNS1_3genE8ELNS1_11target_archE1030ELNS1_3gpuE2ELNS1_3repE0EEENS1_30default_config_static_selectorELNS0_4arch9wavefront6targetE0EEEvT1_.num_vgpr, 0
	.set _ZN7rocprim17ROCPRIM_400000_NS6detail17trampoline_kernelINS0_14default_configENS1_25partition_config_selectorILNS1_17partition_subalgoE9EllbEEZZNS1_14partition_implILS5_9ELb0ES3_jPKlN6thrust23THRUST_200600_302600_NS17counting_iteratorIlNSB_11use_defaultESD_SD_EEPNS0_10empty_typeENS0_5tupleIJPlSF_EEENSH_IJSI_SG_EEENS0_18inequality_wrapperIN6hipcub16HIPCUB_304000_NS8EqualityEEESI_JSF_EEE10hipError_tPvRmT3_T4_T5_T6_T7_T9_mT8_P12ihipStream_tbDpT10_ENKUlT_T0_E_clISt17integral_constantIbLb0EES18_IbLb1EEEEDaS14_S15_EUlS14_E_NS1_11comp_targetILNS1_3genE8ELNS1_11target_archE1030ELNS1_3gpuE2ELNS1_3repE0EEENS1_30default_config_static_selectorELNS0_4arch9wavefront6targetE0EEEvT1_.num_agpr, 0
	.set _ZN7rocprim17ROCPRIM_400000_NS6detail17trampoline_kernelINS0_14default_configENS1_25partition_config_selectorILNS1_17partition_subalgoE9EllbEEZZNS1_14partition_implILS5_9ELb0ES3_jPKlN6thrust23THRUST_200600_302600_NS17counting_iteratorIlNSB_11use_defaultESD_SD_EEPNS0_10empty_typeENS0_5tupleIJPlSF_EEENSH_IJSI_SG_EEENS0_18inequality_wrapperIN6hipcub16HIPCUB_304000_NS8EqualityEEESI_JSF_EEE10hipError_tPvRmT3_T4_T5_T6_T7_T9_mT8_P12ihipStream_tbDpT10_ENKUlT_T0_E_clISt17integral_constantIbLb0EES18_IbLb1EEEEDaS14_S15_EUlS14_E_NS1_11comp_targetILNS1_3genE8ELNS1_11target_archE1030ELNS1_3gpuE2ELNS1_3repE0EEENS1_30default_config_static_selectorELNS0_4arch9wavefront6targetE0EEEvT1_.numbered_sgpr, 0
	.set _ZN7rocprim17ROCPRIM_400000_NS6detail17trampoline_kernelINS0_14default_configENS1_25partition_config_selectorILNS1_17partition_subalgoE9EllbEEZZNS1_14partition_implILS5_9ELb0ES3_jPKlN6thrust23THRUST_200600_302600_NS17counting_iteratorIlNSB_11use_defaultESD_SD_EEPNS0_10empty_typeENS0_5tupleIJPlSF_EEENSH_IJSI_SG_EEENS0_18inequality_wrapperIN6hipcub16HIPCUB_304000_NS8EqualityEEESI_JSF_EEE10hipError_tPvRmT3_T4_T5_T6_T7_T9_mT8_P12ihipStream_tbDpT10_ENKUlT_T0_E_clISt17integral_constantIbLb0EES18_IbLb1EEEEDaS14_S15_EUlS14_E_NS1_11comp_targetILNS1_3genE8ELNS1_11target_archE1030ELNS1_3gpuE2ELNS1_3repE0EEENS1_30default_config_static_selectorELNS0_4arch9wavefront6targetE0EEEvT1_.num_named_barrier, 0
	.set _ZN7rocprim17ROCPRIM_400000_NS6detail17trampoline_kernelINS0_14default_configENS1_25partition_config_selectorILNS1_17partition_subalgoE9EllbEEZZNS1_14partition_implILS5_9ELb0ES3_jPKlN6thrust23THRUST_200600_302600_NS17counting_iteratorIlNSB_11use_defaultESD_SD_EEPNS0_10empty_typeENS0_5tupleIJPlSF_EEENSH_IJSI_SG_EEENS0_18inequality_wrapperIN6hipcub16HIPCUB_304000_NS8EqualityEEESI_JSF_EEE10hipError_tPvRmT3_T4_T5_T6_T7_T9_mT8_P12ihipStream_tbDpT10_ENKUlT_T0_E_clISt17integral_constantIbLb0EES18_IbLb1EEEEDaS14_S15_EUlS14_E_NS1_11comp_targetILNS1_3genE8ELNS1_11target_archE1030ELNS1_3gpuE2ELNS1_3repE0EEENS1_30default_config_static_selectorELNS0_4arch9wavefront6targetE0EEEvT1_.private_seg_size, 0
	.set _ZN7rocprim17ROCPRIM_400000_NS6detail17trampoline_kernelINS0_14default_configENS1_25partition_config_selectorILNS1_17partition_subalgoE9EllbEEZZNS1_14partition_implILS5_9ELb0ES3_jPKlN6thrust23THRUST_200600_302600_NS17counting_iteratorIlNSB_11use_defaultESD_SD_EEPNS0_10empty_typeENS0_5tupleIJPlSF_EEENSH_IJSI_SG_EEENS0_18inequality_wrapperIN6hipcub16HIPCUB_304000_NS8EqualityEEESI_JSF_EEE10hipError_tPvRmT3_T4_T5_T6_T7_T9_mT8_P12ihipStream_tbDpT10_ENKUlT_T0_E_clISt17integral_constantIbLb0EES18_IbLb1EEEEDaS14_S15_EUlS14_E_NS1_11comp_targetILNS1_3genE8ELNS1_11target_archE1030ELNS1_3gpuE2ELNS1_3repE0EEENS1_30default_config_static_selectorELNS0_4arch9wavefront6targetE0EEEvT1_.uses_vcc, 0
	.set _ZN7rocprim17ROCPRIM_400000_NS6detail17trampoline_kernelINS0_14default_configENS1_25partition_config_selectorILNS1_17partition_subalgoE9EllbEEZZNS1_14partition_implILS5_9ELb0ES3_jPKlN6thrust23THRUST_200600_302600_NS17counting_iteratorIlNSB_11use_defaultESD_SD_EEPNS0_10empty_typeENS0_5tupleIJPlSF_EEENSH_IJSI_SG_EEENS0_18inequality_wrapperIN6hipcub16HIPCUB_304000_NS8EqualityEEESI_JSF_EEE10hipError_tPvRmT3_T4_T5_T6_T7_T9_mT8_P12ihipStream_tbDpT10_ENKUlT_T0_E_clISt17integral_constantIbLb0EES18_IbLb1EEEEDaS14_S15_EUlS14_E_NS1_11comp_targetILNS1_3genE8ELNS1_11target_archE1030ELNS1_3gpuE2ELNS1_3repE0EEENS1_30default_config_static_selectorELNS0_4arch9wavefront6targetE0EEEvT1_.uses_flat_scratch, 0
	.set _ZN7rocprim17ROCPRIM_400000_NS6detail17trampoline_kernelINS0_14default_configENS1_25partition_config_selectorILNS1_17partition_subalgoE9EllbEEZZNS1_14partition_implILS5_9ELb0ES3_jPKlN6thrust23THRUST_200600_302600_NS17counting_iteratorIlNSB_11use_defaultESD_SD_EEPNS0_10empty_typeENS0_5tupleIJPlSF_EEENSH_IJSI_SG_EEENS0_18inequality_wrapperIN6hipcub16HIPCUB_304000_NS8EqualityEEESI_JSF_EEE10hipError_tPvRmT3_T4_T5_T6_T7_T9_mT8_P12ihipStream_tbDpT10_ENKUlT_T0_E_clISt17integral_constantIbLb0EES18_IbLb1EEEEDaS14_S15_EUlS14_E_NS1_11comp_targetILNS1_3genE8ELNS1_11target_archE1030ELNS1_3gpuE2ELNS1_3repE0EEENS1_30default_config_static_selectorELNS0_4arch9wavefront6targetE0EEEvT1_.has_dyn_sized_stack, 0
	.set _ZN7rocprim17ROCPRIM_400000_NS6detail17trampoline_kernelINS0_14default_configENS1_25partition_config_selectorILNS1_17partition_subalgoE9EllbEEZZNS1_14partition_implILS5_9ELb0ES3_jPKlN6thrust23THRUST_200600_302600_NS17counting_iteratorIlNSB_11use_defaultESD_SD_EEPNS0_10empty_typeENS0_5tupleIJPlSF_EEENSH_IJSI_SG_EEENS0_18inequality_wrapperIN6hipcub16HIPCUB_304000_NS8EqualityEEESI_JSF_EEE10hipError_tPvRmT3_T4_T5_T6_T7_T9_mT8_P12ihipStream_tbDpT10_ENKUlT_T0_E_clISt17integral_constantIbLb0EES18_IbLb1EEEEDaS14_S15_EUlS14_E_NS1_11comp_targetILNS1_3genE8ELNS1_11target_archE1030ELNS1_3gpuE2ELNS1_3repE0EEENS1_30default_config_static_selectorELNS0_4arch9wavefront6targetE0EEEvT1_.has_recursion, 0
	.set _ZN7rocprim17ROCPRIM_400000_NS6detail17trampoline_kernelINS0_14default_configENS1_25partition_config_selectorILNS1_17partition_subalgoE9EllbEEZZNS1_14partition_implILS5_9ELb0ES3_jPKlN6thrust23THRUST_200600_302600_NS17counting_iteratorIlNSB_11use_defaultESD_SD_EEPNS0_10empty_typeENS0_5tupleIJPlSF_EEENSH_IJSI_SG_EEENS0_18inequality_wrapperIN6hipcub16HIPCUB_304000_NS8EqualityEEESI_JSF_EEE10hipError_tPvRmT3_T4_T5_T6_T7_T9_mT8_P12ihipStream_tbDpT10_ENKUlT_T0_E_clISt17integral_constantIbLb0EES18_IbLb1EEEEDaS14_S15_EUlS14_E_NS1_11comp_targetILNS1_3genE8ELNS1_11target_archE1030ELNS1_3gpuE2ELNS1_3repE0EEENS1_30default_config_static_selectorELNS0_4arch9wavefront6targetE0EEEvT1_.has_indirect_call, 0
	.section	.AMDGPU.csdata,"",@progbits
; Kernel info:
; codeLenInByte = 0
; TotalNumSgprs: 0
; NumVgprs: 0
; ScratchSize: 0
; MemoryBound: 0
; FloatMode: 240
; IeeeMode: 1
; LDSByteSize: 0 bytes/workgroup (compile time only)
; SGPRBlocks: 0
; VGPRBlocks: 0
; NumSGPRsForWavesPerEU: 1
; NumVGPRsForWavesPerEU: 1
; Occupancy: 16
; WaveLimiterHint : 0
; COMPUTE_PGM_RSRC2:SCRATCH_EN: 0
; COMPUTE_PGM_RSRC2:USER_SGPR: 2
; COMPUTE_PGM_RSRC2:TRAP_HANDLER: 0
; COMPUTE_PGM_RSRC2:TGID_X_EN: 1
; COMPUTE_PGM_RSRC2:TGID_Y_EN: 0
; COMPUTE_PGM_RSRC2:TGID_Z_EN: 0
; COMPUTE_PGM_RSRC2:TIDIG_COMP_CNT: 0
	.section	.text._ZN2at6native12_GLOBAL__N_124krn_partials_per_segmentIiEEvPT_PKS3_PKll,"axG",@progbits,_ZN2at6native12_GLOBAL__N_124krn_partials_per_segmentIiEEvPT_PKS3_PKll,comdat
	.globl	_ZN2at6native12_GLOBAL__N_124krn_partials_per_segmentIiEEvPT_PKS3_PKll ; -- Begin function _ZN2at6native12_GLOBAL__N_124krn_partials_per_segmentIiEEvPT_PKS3_PKll
	.p2align	8
	.type	_ZN2at6native12_GLOBAL__N_124krn_partials_per_segmentIiEEvPT_PKS3_PKll,@function
_ZN2at6native12_GLOBAL__N_124krn_partials_per_segmentIiEEvPT_PKS3_PKll: ; @_ZN2at6native12_GLOBAL__N_124krn_partials_per_segmentIiEEvPT_PKS3_PKll
; %bb.0:
	s_clause 0x1
	s_load_b256 s[4:11], s[0:1], 0x0
	s_load_b32 s2, s[0:1], 0x2c
	s_wait_kmcnt 0x0
	s_load_b64 s[0:1], s[8:9], 0x0
	s_and_b32 s2, s2, 0xffff
	s_delay_alu instid0(SALU_CYCLE_1) | instskip(SKIP_3) | instid1(VALU_DEP_1)
	v_mad_co_u64_u32 v[2:3], null, ttmp9, s2, v[0:1]
	s_mov_b32 s2, exec_lo
	v_ashrrev_i32_e32 v3, 31, v2
	s_wait_kmcnt 0x0
	v_cmpx_gt_i64_e64 s[0:1], v[2:3]
	s_cbranch_execz .LBB76_4
; %bb.1:
	v_lshlrev_b64_e32 v[0:1], 2, v[2:3]
	s_add_nc_u64 s[0:1], s[0:1], -1
	s_delay_alu instid0(VALU_DEP_1) | instskip(NEXT) | instid1(VALU_DEP_1)
	v_add_co_u32 v4, vcc_lo, s6, v0
	v_add_co_ci_u32_e64 v5, null, s7, v1, vcc_lo
	s_wait_alu 0xfffe
	v_cmp_ne_u64_e32 vcc_lo, s[0:1], v[2:3]
	v_dual_mov_b32 v2, s10 :: v_dual_mov_b32 v3, s11
	global_load_b32 v6, v[4:5], off
	s_and_saveexec_b32 s0, vcc_lo
	s_cbranch_execz .LBB76_3
; %bb.2:
	global_load_b32 v2, v[4:5], off offset:4
	s_wait_loadcnt 0x0
	v_ashrrev_i32_e32 v3, 31, v2
.LBB76_3:
	s_wait_alu 0xfffe
	s_or_b32 exec_lo, exec_lo, s0
	s_wait_loadcnt 0x0
	v_ashrrev_i32_e32 v4, 31, v6
	v_sub_co_u32 v2, vcc_lo, v2, v6
	s_wait_alu 0xfffd
	s_delay_alu instid0(VALU_DEP_2) | instskip(NEXT) | instid1(VALU_DEP_2)
	v_sub_co_ci_u32_e64 v3, null, v3, v4, vcc_lo
	v_add_co_u32 v6, vcc_lo, v2, 9
	s_wait_alu 0xfffd
	s_delay_alu instid0(VALU_DEP_2) | instskip(NEXT) | instid1(VALU_DEP_2)
	v_add_co_ci_u32_e64 v7, null, 0, v3, vcc_lo
	v_mul_hi_u32 v2, 0x66666667, v6
	v_mov_b32_e32 v3, 0
	v_add_co_u32 v0, vcc_lo, s4, v0
	s_wait_alu 0xfffd
	v_add_co_ci_u32_e64 v1, null, s5, v1, vcc_lo
	s_delay_alu instid0(VALU_DEP_3) | instskip(NEXT) | instid1(VALU_DEP_1)
	v_mad_co_u64_u32 v[4:5], null, 0x66666667, v7, v[2:3]
	v_mov_b32_e32 v2, v4
	v_ashrrev_i32_e32 v4, 31, v7
	s_delay_alu instid0(VALU_DEP_2) | instskip(NEXT) | instid1(VALU_DEP_2)
	v_mad_co_u64_u32 v[2:3], null, 0x66666666, v6, v[2:3]
	v_mul_lo_u32 v6, 0x66666667, v4
	s_delay_alu instid0(VALU_DEP_2) | instskip(SKIP_3) | instid1(VALU_DEP_2)
	v_add_co_u32 v2, s0, v5, v3
	s_wait_alu 0xf1ff
	v_add_co_ci_u32_e64 v3, null, 0, 0, s0
	v_mul_lo_u32 v5, 0x66666666, v4
	v_mad_co_u64_u32 v[2:3], null, 0x66666666, v7, v[2:3]
	s_delay_alu instid0(VALU_DEP_1) | instskip(NEXT) | instid1(VALU_DEP_1)
	v_mad_co_u64_u32 v[2:3], null, 0x66666667, v4, v[2:3]
	v_add3_u32 v3, v6, v3, v5
	s_delay_alu instid0(VALU_DEP_1) | instskip(SKIP_1) | instid1(VALU_DEP_1)
	v_alignbit_b32 v2, v3, v2, 2
	v_lshrrev_b32_e32 v3, 31, v3
	v_add_nc_u32_e32 v2, v2, v3
	global_store_b32 v[0:1], v2, off
.LBB76_4:
	s_endpgm
	.section	.rodata,"a",@progbits
	.p2align	6, 0x0
	.amdhsa_kernel _ZN2at6native12_GLOBAL__N_124krn_partials_per_segmentIiEEvPT_PKS3_PKll
		.amdhsa_group_segment_fixed_size 0
		.amdhsa_private_segment_fixed_size 0
		.amdhsa_kernarg_size 288
		.amdhsa_user_sgpr_count 2
		.amdhsa_user_sgpr_dispatch_ptr 0
		.amdhsa_user_sgpr_queue_ptr 0
		.amdhsa_user_sgpr_kernarg_segment_ptr 1
		.amdhsa_user_sgpr_dispatch_id 0
		.amdhsa_user_sgpr_private_segment_size 0
		.amdhsa_wavefront_size32 1
		.amdhsa_uses_dynamic_stack 0
		.amdhsa_enable_private_segment 0
		.amdhsa_system_sgpr_workgroup_id_x 1
		.amdhsa_system_sgpr_workgroup_id_y 0
		.amdhsa_system_sgpr_workgroup_id_z 0
		.amdhsa_system_sgpr_workgroup_info 0
		.amdhsa_system_vgpr_workitem_id 0
		.amdhsa_next_free_vgpr 8
		.amdhsa_next_free_sgpr 12
		.amdhsa_reserve_vcc 1
		.amdhsa_float_round_mode_32 0
		.amdhsa_float_round_mode_16_64 0
		.amdhsa_float_denorm_mode_32 3
		.amdhsa_float_denorm_mode_16_64 3
		.amdhsa_fp16_overflow 0
		.amdhsa_workgroup_processor_mode 1
		.amdhsa_memory_ordered 1
		.amdhsa_forward_progress 1
		.amdhsa_inst_pref_size 4
		.amdhsa_round_robin_scheduling 0
		.amdhsa_exception_fp_ieee_invalid_op 0
		.amdhsa_exception_fp_denorm_src 0
		.amdhsa_exception_fp_ieee_div_zero 0
		.amdhsa_exception_fp_ieee_overflow 0
		.amdhsa_exception_fp_ieee_underflow 0
		.amdhsa_exception_fp_ieee_inexact 0
		.amdhsa_exception_int_div_zero 0
	.end_amdhsa_kernel
	.section	.text._ZN2at6native12_GLOBAL__N_124krn_partials_per_segmentIiEEvPT_PKS3_PKll,"axG",@progbits,_ZN2at6native12_GLOBAL__N_124krn_partials_per_segmentIiEEvPT_PKS3_PKll,comdat
.Lfunc_end76:
	.size	_ZN2at6native12_GLOBAL__N_124krn_partials_per_segmentIiEEvPT_PKS3_PKll, .Lfunc_end76-_ZN2at6native12_GLOBAL__N_124krn_partials_per_segmentIiEEvPT_PKS3_PKll
                                        ; -- End function
	.set _ZN2at6native12_GLOBAL__N_124krn_partials_per_segmentIiEEvPT_PKS3_PKll.num_vgpr, 8
	.set _ZN2at6native12_GLOBAL__N_124krn_partials_per_segmentIiEEvPT_PKS3_PKll.num_agpr, 0
	.set _ZN2at6native12_GLOBAL__N_124krn_partials_per_segmentIiEEvPT_PKS3_PKll.numbered_sgpr, 12
	.set _ZN2at6native12_GLOBAL__N_124krn_partials_per_segmentIiEEvPT_PKS3_PKll.num_named_barrier, 0
	.set _ZN2at6native12_GLOBAL__N_124krn_partials_per_segmentIiEEvPT_PKS3_PKll.private_seg_size, 0
	.set _ZN2at6native12_GLOBAL__N_124krn_partials_per_segmentIiEEvPT_PKS3_PKll.uses_vcc, 1
	.set _ZN2at6native12_GLOBAL__N_124krn_partials_per_segmentIiEEvPT_PKS3_PKll.uses_flat_scratch, 0
	.set _ZN2at6native12_GLOBAL__N_124krn_partials_per_segmentIiEEvPT_PKS3_PKll.has_dyn_sized_stack, 0
	.set _ZN2at6native12_GLOBAL__N_124krn_partials_per_segmentIiEEvPT_PKS3_PKll.has_recursion, 0
	.set _ZN2at6native12_GLOBAL__N_124krn_partials_per_segmentIiEEvPT_PKS3_PKll.has_indirect_call, 0
	.section	.AMDGPU.csdata,"",@progbits
; Kernel info:
; codeLenInByte = 420
; TotalNumSgprs: 14
; NumVgprs: 8
; ScratchSize: 0
; MemoryBound: 0
; FloatMode: 240
; IeeeMode: 1
; LDSByteSize: 0 bytes/workgroup (compile time only)
; SGPRBlocks: 0
; VGPRBlocks: 0
; NumSGPRsForWavesPerEU: 14
; NumVGPRsForWavesPerEU: 8
; Occupancy: 16
; WaveLimiterHint : 0
; COMPUTE_PGM_RSRC2:SCRATCH_EN: 0
; COMPUTE_PGM_RSRC2:USER_SGPR: 2
; COMPUTE_PGM_RSRC2:TRAP_HANDLER: 0
; COMPUTE_PGM_RSRC2:TGID_X_EN: 1
; COMPUTE_PGM_RSRC2:TGID_Y_EN: 0
; COMPUTE_PGM_RSRC2:TGID_Z_EN: 0
; COMPUTE_PGM_RSRC2:TIDIG_COMP_CNT: 0
	.section	.text._ZN2at6native12_GLOBAL__N_131compute_num_of_partial_segmentsIiEEvPKT_S5_PKlPl,"axG",@progbits,_ZN2at6native12_GLOBAL__N_131compute_num_of_partial_segmentsIiEEvPKT_S5_PKlPl,comdat
	.globl	_ZN2at6native12_GLOBAL__N_131compute_num_of_partial_segmentsIiEEvPKT_S5_PKlPl ; -- Begin function _ZN2at6native12_GLOBAL__N_131compute_num_of_partial_segmentsIiEEvPKT_S5_PKlPl
	.p2align	8
	.type	_ZN2at6native12_GLOBAL__N_131compute_num_of_partial_segmentsIiEEvPKT_S5_PKlPl,@function
_ZN2at6native12_GLOBAL__N_131compute_num_of_partial_segmentsIiEEvPKT_S5_PKlPl: ; @_ZN2at6native12_GLOBAL__N_131compute_num_of_partial_segmentsIiEEvPKT_S5_PKlPl
; %bb.0:
	s_load_b256 s[0:7], s[0:1], 0x0
	s_wait_kmcnt 0x0
	s_load_b64 s[4:5], s[4:5], 0x0
	s_wait_kmcnt 0x0
	s_lshl_b64 s[4:5], s[4:5], 2
	s_delay_alu instid0(SALU_CYCLE_1)
	s_add_nc_u64 s[0:1], s[0:1], s[4:5]
	s_add_nc_u64 s[2:3], s[2:3], s[4:5]
	s_add_nc_u64 s[0:1], s[0:1], -4
	s_add_nc_u64 s[2:3], s[2:3], -4
	s_load_b32 s0, s[0:1], 0x0
	s_load_b32 s1, s[2:3], 0x0
	s_wait_kmcnt 0x0
	s_add_co_i32 s1, s1, s0
	s_delay_alu instid0(SALU_CYCLE_1) | instskip(NEXT) | instid1(SALU_CYCLE_1)
	s_ashr_i32 s0, s1, 31
	v_dual_mov_b32 v2, 0 :: v_dual_mov_b32 v1, s0
	v_mov_b32_e32 v0, s1
	global_store_b64 v2, v[0:1], s[6:7]
	s_endpgm
	.section	.rodata,"a",@progbits
	.p2align	6, 0x0
	.amdhsa_kernel _ZN2at6native12_GLOBAL__N_131compute_num_of_partial_segmentsIiEEvPKT_S5_PKlPl
		.amdhsa_group_segment_fixed_size 0
		.amdhsa_private_segment_fixed_size 0
		.amdhsa_kernarg_size 32
		.amdhsa_user_sgpr_count 2
		.amdhsa_user_sgpr_dispatch_ptr 0
		.amdhsa_user_sgpr_queue_ptr 0
		.amdhsa_user_sgpr_kernarg_segment_ptr 1
		.amdhsa_user_sgpr_dispatch_id 0
		.amdhsa_user_sgpr_private_segment_size 0
		.amdhsa_wavefront_size32 1
		.amdhsa_uses_dynamic_stack 0
		.amdhsa_enable_private_segment 0
		.amdhsa_system_sgpr_workgroup_id_x 1
		.amdhsa_system_sgpr_workgroup_id_y 0
		.amdhsa_system_sgpr_workgroup_id_z 0
		.amdhsa_system_sgpr_workgroup_info 0
		.amdhsa_system_vgpr_workitem_id 0
		.amdhsa_next_free_vgpr 3
		.amdhsa_next_free_sgpr 8
		.amdhsa_reserve_vcc 0
		.amdhsa_float_round_mode_32 0
		.amdhsa_float_round_mode_16_64 0
		.amdhsa_float_denorm_mode_32 3
		.amdhsa_float_denorm_mode_16_64 3
		.amdhsa_fp16_overflow 0
		.amdhsa_workgroup_processor_mode 1
		.amdhsa_memory_ordered 1
		.amdhsa_forward_progress 1
		.amdhsa_inst_pref_size 1
		.amdhsa_round_robin_scheduling 0
		.amdhsa_exception_fp_ieee_invalid_op 0
		.amdhsa_exception_fp_denorm_src 0
		.amdhsa_exception_fp_ieee_div_zero 0
		.amdhsa_exception_fp_ieee_overflow 0
		.amdhsa_exception_fp_ieee_underflow 0
		.amdhsa_exception_fp_ieee_inexact 0
		.amdhsa_exception_int_div_zero 0
	.end_amdhsa_kernel
	.section	.text._ZN2at6native12_GLOBAL__N_131compute_num_of_partial_segmentsIiEEvPKT_S5_PKlPl,"axG",@progbits,_ZN2at6native12_GLOBAL__N_131compute_num_of_partial_segmentsIiEEvPKT_S5_PKlPl,comdat
.Lfunc_end77:
	.size	_ZN2at6native12_GLOBAL__N_131compute_num_of_partial_segmentsIiEEvPKT_S5_PKlPl, .Lfunc_end77-_ZN2at6native12_GLOBAL__N_131compute_num_of_partial_segmentsIiEEvPKT_S5_PKlPl
                                        ; -- End function
	.set _ZN2at6native12_GLOBAL__N_131compute_num_of_partial_segmentsIiEEvPKT_S5_PKlPl.num_vgpr, 3
	.set _ZN2at6native12_GLOBAL__N_131compute_num_of_partial_segmentsIiEEvPKT_S5_PKlPl.num_agpr, 0
	.set _ZN2at6native12_GLOBAL__N_131compute_num_of_partial_segmentsIiEEvPKT_S5_PKlPl.numbered_sgpr, 8
	.set _ZN2at6native12_GLOBAL__N_131compute_num_of_partial_segmentsIiEEvPKT_S5_PKlPl.num_named_barrier, 0
	.set _ZN2at6native12_GLOBAL__N_131compute_num_of_partial_segmentsIiEEvPKT_S5_PKlPl.private_seg_size, 0
	.set _ZN2at6native12_GLOBAL__N_131compute_num_of_partial_segmentsIiEEvPKT_S5_PKlPl.uses_vcc, 0
	.set _ZN2at6native12_GLOBAL__N_131compute_num_of_partial_segmentsIiEEvPKT_S5_PKlPl.uses_flat_scratch, 0
	.set _ZN2at6native12_GLOBAL__N_131compute_num_of_partial_segmentsIiEEvPKT_S5_PKlPl.has_dyn_sized_stack, 0
	.set _ZN2at6native12_GLOBAL__N_131compute_num_of_partial_segmentsIiEEvPKT_S5_PKlPl.has_recursion, 0
	.set _ZN2at6native12_GLOBAL__N_131compute_num_of_partial_segmentsIiEEvPKT_S5_PKlPl.has_indirect_call, 0
	.section	.AMDGPU.csdata,"",@progbits
; Kernel info:
; codeLenInByte = 108
; TotalNumSgprs: 8
; NumVgprs: 3
; ScratchSize: 0
; MemoryBound: 1
; FloatMode: 240
; IeeeMode: 1
; LDSByteSize: 0 bytes/workgroup (compile time only)
; SGPRBlocks: 0
; VGPRBlocks: 0
; NumSGPRsForWavesPerEU: 8
; NumVGPRsForWavesPerEU: 3
; Occupancy: 16
; WaveLimiterHint : 1
; COMPUTE_PGM_RSRC2:SCRATCH_EN: 0
; COMPUTE_PGM_RSRC2:USER_SGPR: 2
; COMPUTE_PGM_RSRC2:TRAP_HANDLER: 0
; COMPUTE_PGM_RSRC2:TGID_X_EN: 1
; COMPUTE_PGM_RSRC2:TGID_Y_EN: 0
; COMPUTE_PGM_RSRC2:TGID_Z_EN: 0
; COMPUTE_PGM_RSRC2:TIDIG_COMP_CNT: 0
	.section	.text._ZN2at6native12_GLOBAL__N_126krn_partial_segment_offsetIiEEvPT_PKS3_S6_S6_PKl,"axG",@progbits,_ZN2at6native12_GLOBAL__N_126krn_partial_segment_offsetIiEEvPT_PKS3_S6_S6_PKl,comdat
	.globl	_ZN2at6native12_GLOBAL__N_126krn_partial_segment_offsetIiEEvPT_PKS3_S6_S6_PKl ; -- Begin function _ZN2at6native12_GLOBAL__N_126krn_partial_segment_offsetIiEEvPT_PKS3_S6_S6_PKl
	.p2align	8
	.type	_ZN2at6native12_GLOBAL__N_126krn_partial_segment_offsetIiEEvPT_PKS3_S6_S6_PKl,@function
_ZN2at6native12_GLOBAL__N_126krn_partial_segment_offsetIiEEvPT_PKS3_S6_S6_PKl: ; @_ZN2at6native12_GLOBAL__N_126krn_partial_segment_offsetIiEEvPT_PKS3_S6_S6_PKl
; %bb.0:
	s_clause 0x1
	s_load_b64 s[2:3], s[0:1], 0x20
	s_load_b32 s4, s[0:1], 0x34
	s_wait_kmcnt 0x0
	s_load_b64 s[2:3], s[2:3], 0x0
	s_and_b32 s4, s4, 0xffff
	s_delay_alu instid0(SALU_CYCLE_1) | instskip(NEXT) | instid1(VALU_DEP_1)
	v_mad_co_u64_u32 v[0:1], null, ttmp9, s4, v[0:1]
	v_ashrrev_i32_e32 v1, 31, v0
	s_wait_kmcnt 0x0
	s_delay_alu instid0(VALU_DEP_1)
	v_cmp_gt_i64_e32 vcc_lo, s[2:3], v[0:1]
	s_and_saveexec_b32 s2, vcc_lo
	s_cbranch_execz .LBB78_4
; %bb.1:
	s_load_b256 s[0:7], s[0:1], 0x0
	v_lshlrev_b64_e32 v[1:2], 2, v[0:1]
	s_wait_kmcnt 0x0
	s_delay_alu instid0(VALU_DEP_1) | instskip(NEXT) | instid1(VALU_DEP_1)
	v_add_co_u32 v3, vcc_lo, s2, v1
	v_add_co_ci_u32_e64 v4, null, s3, v2, vcc_lo
	s_mov_b32 s2, 0
	global_load_b32 v0, v[3:4], off
	s_wait_loadcnt 0x0
	v_cmp_lt_i32_e32 vcc_lo, 0, v0
	s_and_b32 exec_lo, exec_lo, vcc_lo
	s_cbranch_execz .LBB78_4
; %bb.2:
	v_add_co_u32 v3, vcc_lo, s4, v1
	s_wait_alu 0xfffd
	v_add_co_ci_u32_e64 v4, null, s5, v2, vcc_lo
	v_add_co_u32 v1, vcc_lo, s6, v1
	s_wait_alu 0xfffd
	v_add_co_ci_u32_e64 v2, null, s7, v2, vcc_lo
	global_load_b32 v5, v[3:4], off
	global_load_b32 v4, v[1:2], off
	v_ashrrev_i32_e32 v1, 31, v0
	s_wait_loadcnt 0x1
	v_ashrrev_i32_e32 v6, 31, v5
	s_delay_alu instid0(VALU_DEP_1) | instskip(NEXT) | instid1(VALU_DEP_1)
	v_lshlrev_b64_e32 v[2:3], 2, v[5:6]
	v_add_co_u32 v2, vcc_lo, s0, v2
	s_wait_alu 0xfffd
	s_delay_alu instid0(VALU_DEP_2)
	v_add_co_ci_u32_e64 v3, null, s1, v3, vcc_lo
.LBB78_3:                               ; =>This Inner Loop Header: Depth=1
	v_add_co_u32 v0, vcc_lo, v0, -1
	s_wait_alu 0xfffd
	v_add_co_ci_u32_e64 v1, null, -1, v1, vcc_lo
	s_wait_loadcnt 0x0
	global_store_b32 v[2:3], v4, off
	v_add_co_u32 v2, s0, v2, 4
	v_cmp_eq_u64_e32 vcc_lo, 0, v[0:1]
	v_add_nc_u32_e32 v4, 10, v4
	s_wait_alu 0xf1ff
	v_add_co_ci_u32_e64 v3, null, 0, v3, s0
	s_wait_alu 0xfffe
	s_or_b32 s2, vcc_lo, s2
	s_wait_alu 0xfffe
	s_and_not1_b32 exec_lo, exec_lo, s2
	s_cbranch_execnz .LBB78_3
.LBB78_4:
	s_endpgm
	.section	.rodata,"a",@progbits
	.p2align	6, 0x0
	.amdhsa_kernel _ZN2at6native12_GLOBAL__N_126krn_partial_segment_offsetIiEEvPT_PKS3_S6_S6_PKl
		.amdhsa_group_segment_fixed_size 0
		.amdhsa_private_segment_fixed_size 0
		.amdhsa_kernarg_size 296
		.amdhsa_user_sgpr_count 2
		.amdhsa_user_sgpr_dispatch_ptr 0
		.amdhsa_user_sgpr_queue_ptr 0
		.amdhsa_user_sgpr_kernarg_segment_ptr 1
		.amdhsa_user_sgpr_dispatch_id 0
		.amdhsa_user_sgpr_private_segment_size 0
		.amdhsa_wavefront_size32 1
		.amdhsa_uses_dynamic_stack 0
		.amdhsa_enable_private_segment 0
		.amdhsa_system_sgpr_workgroup_id_x 1
		.amdhsa_system_sgpr_workgroup_id_y 0
		.amdhsa_system_sgpr_workgroup_id_z 0
		.amdhsa_system_sgpr_workgroup_info 0
		.amdhsa_system_vgpr_workitem_id 0
		.amdhsa_next_free_vgpr 7
		.amdhsa_next_free_sgpr 8
		.amdhsa_reserve_vcc 1
		.amdhsa_float_round_mode_32 0
		.amdhsa_float_round_mode_16_64 0
		.amdhsa_float_denorm_mode_32 3
		.amdhsa_float_denorm_mode_16_64 3
		.amdhsa_fp16_overflow 0
		.amdhsa_workgroup_processor_mode 1
		.amdhsa_memory_ordered 1
		.amdhsa_forward_progress 1
		.amdhsa_inst_pref_size 3
		.amdhsa_round_robin_scheduling 0
		.amdhsa_exception_fp_ieee_invalid_op 0
		.amdhsa_exception_fp_denorm_src 0
		.amdhsa_exception_fp_ieee_div_zero 0
		.amdhsa_exception_fp_ieee_overflow 0
		.amdhsa_exception_fp_ieee_underflow 0
		.amdhsa_exception_fp_ieee_inexact 0
		.amdhsa_exception_int_div_zero 0
	.end_amdhsa_kernel
	.section	.text._ZN2at6native12_GLOBAL__N_126krn_partial_segment_offsetIiEEvPT_PKS3_S6_S6_PKl,"axG",@progbits,_ZN2at6native12_GLOBAL__N_126krn_partial_segment_offsetIiEEvPT_PKS3_S6_S6_PKl,comdat
.Lfunc_end78:
	.size	_ZN2at6native12_GLOBAL__N_126krn_partial_segment_offsetIiEEvPT_PKS3_S6_S6_PKl, .Lfunc_end78-_ZN2at6native12_GLOBAL__N_126krn_partial_segment_offsetIiEEvPT_PKS3_S6_S6_PKl
                                        ; -- End function
	.set _ZN2at6native12_GLOBAL__N_126krn_partial_segment_offsetIiEEvPT_PKS3_S6_S6_PKl.num_vgpr, 7
	.set _ZN2at6native12_GLOBAL__N_126krn_partial_segment_offsetIiEEvPT_PKS3_S6_S6_PKl.num_agpr, 0
	.set _ZN2at6native12_GLOBAL__N_126krn_partial_segment_offsetIiEEvPT_PKS3_S6_S6_PKl.numbered_sgpr, 8
	.set _ZN2at6native12_GLOBAL__N_126krn_partial_segment_offsetIiEEvPT_PKS3_S6_S6_PKl.num_named_barrier, 0
	.set _ZN2at6native12_GLOBAL__N_126krn_partial_segment_offsetIiEEvPT_PKS3_S6_S6_PKl.private_seg_size, 0
	.set _ZN2at6native12_GLOBAL__N_126krn_partial_segment_offsetIiEEvPT_PKS3_S6_S6_PKl.uses_vcc, 1
	.set _ZN2at6native12_GLOBAL__N_126krn_partial_segment_offsetIiEEvPT_PKS3_S6_S6_PKl.uses_flat_scratch, 0
	.set _ZN2at6native12_GLOBAL__N_126krn_partial_segment_offsetIiEEvPT_PKS3_S6_S6_PKl.has_dyn_sized_stack, 0
	.set _ZN2at6native12_GLOBAL__N_126krn_partial_segment_offsetIiEEvPT_PKS3_S6_S6_PKl.has_recursion, 0
	.set _ZN2at6native12_GLOBAL__N_126krn_partial_segment_offsetIiEEvPT_PKS3_S6_S6_PKl.has_indirect_call, 0
	.section	.AMDGPU.csdata,"",@progbits
; Kernel info:
; codeLenInByte = 340
; TotalNumSgprs: 10
; NumVgprs: 7
; ScratchSize: 0
; MemoryBound: 0
; FloatMode: 240
; IeeeMode: 1
; LDSByteSize: 0 bytes/workgroup (compile time only)
; SGPRBlocks: 0
; VGPRBlocks: 0
; NumSGPRsForWavesPerEU: 10
; NumVGPRsForWavesPerEU: 7
; Occupancy: 16
; WaveLimiterHint : 0
; COMPUTE_PGM_RSRC2:SCRATCH_EN: 0
; COMPUTE_PGM_RSRC2:USER_SGPR: 2
; COMPUTE_PGM_RSRC2:TRAP_HANDLER: 0
; COMPUTE_PGM_RSRC2:TGID_X_EN: 1
; COMPUTE_PGM_RSRC2:TGID_Y_EN: 0
; COMPUTE_PGM_RSRC2:TGID_Z_EN: 0
; COMPUTE_PGM_RSRC2:TIDIG_COMP_CNT: 0
	.section	.text._ZN2at6native12_GLOBAL__N_126krn_partial_to_segment_idxIiEEvPT_PKS3_S6_PKl,"axG",@progbits,_ZN2at6native12_GLOBAL__N_126krn_partial_to_segment_idxIiEEvPT_PKS3_S6_PKl,comdat
	.globl	_ZN2at6native12_GLOBAL__N_126krn_partial_to_segment_idxIiEEvPT_PKS3_S6_PKl ; -- Begin function _ZN2at6native12_GLOBAL__N_126krn_partial_to_segment_idxIiEEvPT_PKS3_S6_PKl
	.p2align	8
	.type	_ZN2at6native12_GLOBAL__N_126krn_partial_to_segment_idxIiEEvPT_PKS3_S6_PKl,@function
_ZN2at6native12_GLOBAL__N_126krn_partial_to_segment_idxIiEEvPT_PKS3_S6_PKl: ; @_ZN2at6native12_GLOBAL__N_126krn_partial_to_segment_idxIiEEvPT_PKS3_S6_PKl
; %bb.0:
	s_clause 0x1
	s_load_b256 s[4:11], s[0:1], 0x0
	s_load_b32 s2, s[0:1], 0x2c
	s_wait_kmcnt 0x0
	s_load_b64 s[0:1], s[10:11], 0x0
	s_and_b32 s2, s2, 0xffff
	s_delay_alu instid0(SALU_CYCLE_1) | instskip(NEXT) | instid1(VALU_DEP_1)
	v_mad_co_u64_u32 v[0:1], null, ttmp9, s2, v[0:1]
	v_ashrrev_i32_e32 v1, 31, v0
	s_wait_kmcnt 0x0
	s_delay_alu instid0(VALU_DEP_1)
	v_cmp_gt_i64_e32 vcc_lo, s[0:1], v[0:1]
	s_and_saveexec_b32 s0, vcc_lo
	s_cbranch_execz .LBB79_4
; %bb.1:
	v_lshlrev_b64_e32 v[1:2], 2, v[0:1]
	s_mov_b32 s1, 0
	s_delay_alu instid0(VALU_DEP_1) | instskip(NEXT) | instid1(VALU_DEP_1)
	v_add_co_u32 v3, vcc_lo, s6, v1
	v_add_co_ci_u32_e64 v4, null, s7, v2, vcc_lo
	global_load_b32 v3, v[3:4], off
	s_wait_loadcnt 0x0
	v_cmp_lt_i32_e32 vcc_lo, 0, v3
	s_and_b32 exec_lo, exec_lo, vcc_lo
	s_cbranch_execz .LBB79_4
; %bb.2:
	v_add_co_u32 v1, vcc_lo, s8, v1
	s_wait_alu 0xfffd
	v_add_co_ci_u32_e64 v2, null, s9, v2, vcc_lo
	global_load_b32 v1, v[1:2], off
	s_wait_loadcnt 0x0
	v_ashrrev_i32_e32 v2, 31, v1
	s_delay_alu instid0(VALU_DEP_1) | instskip(NEXT) | instid1(VALU_DEP_1)
	v_lshlrev_b64_e32 v[1:2], 2, v[1:2]
	v_add_co_u32 v1, vcc_lo, s4, v1
	s_wait_alu 0xfffd
	s_delay_alu instid0(VALU_DEP_2)
	v_add_co_ci_u32_e64 v2, null, s5, v2, vcc_lo
.LBB79_3:                               ; =>This Inner Loop Header: Depth=1
	v_add_nc_u32_e32 v3, -1, v3
	global_store_b32 v[1:2], v0, off
	v_add_co_u32 v1, s0, v1, 4
	s_wait_alu 0xf1fe
	v_add_co_ci_u32_e64 v2, null, 0, v2, s0
	v_cmp_eq_u32_e32 vcc_lo, 0, v3
	s_or_b32 s1, vcc_lo, s1
	s_wait_alu 0xfffe
	s_and_not1_b32 exec_lo, exec_lo, s1
	s_cbranch_execnz .LBB79_3
.LBB79_4:
	s_endpgm
	.section	.rodata,"a",@progbits
	.p2align	6, 0x0
	.amdhsa_kernel _ZN2at6native12_GLOBAL__N_126krn_partial_to_segment_idxIiEEvPT_PKS3_S6_PKl
		.amdhsa_group_segment_fixed_size 0
		.amdhsa_private_segment_fixed_size 0
		.amdhsa_kernarg_size 288
		.amdhsa_user_sgpr_count 2
		.amdhsa_user_sgpr_dispatch_ptr 0
		.amdhsa_user_sgpr_queue_ptr 0
		.amdhsa_user_sgpr_kernarg_segment_ptr 1
		.amdhsa_user_sgpr_dispatch_id 0
		.amdhsa_user_sgpr_private_segment_size 0
		.amdhsa_wavefront_size32 1
		.amdhsa_uses_dynamic_stack 0
		.amdhsa_enable_private_segment 0
		.amdhsa_system_sgpr_workgroup_id_x 1
		.amdhsa_system_sgpr_workgroup_id_y 0
		.amdhsa_system_sgpr_workgroup_id_z 0
		.amdhsa_system_sgpr_workgroup_info 0
		.amdhsa_system_vgpr_workitem_id 0
		.amdhsa_next_free_vgpr 5
		.amdhsa_next_free_sgpr 12
		.amdhsa_reserve_vcc 1
		.amdhsa_float_round_mode_32 0
		.amdhsa_float_round_mode_16_64 0
		.amdhsa_float_denorm_mode_32 3
		.amdhsa_float_denorm_mode_16_64 3
		.amdhsa_fp16_overflow 0
		.amdhsa_workgroup_processor_mode 1
		.amdhsa_memory_ordered 1
		.amdhsa_forward_progress 1
		.amdhsa_inst_pref_size 3
		.amdhsa_round_robin_scheduling 0
		.amdhsa_exception_fp_ieee_invalid_op 0
		.amdhsa_exception_fp_denorm_src 0
		.amdhsa_exception_fp_ieee_div_zero 0
		.amdhsa_exception_fp_ieee_overflow 0
		.amdhsa_exception_fp_ieee_underflow 0
		.amdhsa_exception_fp_ieee_inexact 0
		.amdhsa_exception_int_div_zero 0
	.end_amdhsa_kernel
	.section	.text._ZN2at6native12_GLOBAL__N_126krn_partial_to_segment_idxIiEEvPT_PKS3_S6_PKl,"axG",@progbits,_ZN2at6native12_GLOBAL__N_126krn_partial_to_segment_idxIiEEvPT_PKS3_S6_PKl,comdat
.Lfunc_end79:
	.size	_ZN2at6native12_GLOBAL__N_126krn_partial_to_segment_idxIiEEvPT_PKS3_S6_PKl, .Lfunc_end79-_ZN2at6native12_GLOBAL__N_126krn_partial_to_segment_idxIiEEvPT_PKS3_S6_PKl
                                        ; -- End function
	.set _ZN2at6native12_GLOBAL__N_126krn_partial_to_segment_idxIiEEvPT_PKS3_S6_PKl.num_vgpr, 5
	.set _ZN2at6native12_GLOBAL__N_126krn_partial_to_segment_idxIiEEvPT_PKS3_S6_PKl.num_agpr, 0
	.set _ZN2at6native12_GLOBAL__N_126krn_partial_to_segment_idxIiEEvPT_PKS3_S6_PKl.numbered_sgpr, 12
	.set _ZN2at6native12_GLOBAL__N_126krn_partial_to_segment_idxIiEEvPT_PKS3_S6_PKl.num_named_barrier, 0
	.set _ZN2at6native12_GLOBAL__N_126krn_partial_to_segment_idxIiEEvPT_PKS3_S6_PKl.private_seg_size, 0
	.set _ZN2at6native12_GLOBAL__N_126krn_partial_to_segment_idxIiEEvPT_PKS3_S6_PKl.uses_vcc, 1
	.set _ZN2at6native12_GLOBAL__N_126krn_partial_to_segment_idxIiEEvPT_PKS3_S6_PKl.uses_flat_scratch, 0
	.set _ZN2at6native12_GLOBAL__N_126krn_partial_to_segment_idxIiEEvPT_PKS3_S6_PKl.has_dyn_sized_stack, 0
	.set _ZN2at6native12_GLOBAL__N_126krn_partial_to_segment_idxIiEEvPT_PKS3_S6_PKl.has_recursion, 0
	.set _ZN2at6native12_GLOBAL__N_126krn_partial_to_segment_idxIiEEvPT_PKS3_S6_PKl.has_indirect_call, 0
	.section	.AMDGPU.csdata,"",@progbits
; Kernel info:
; codeLenInByte = 264
; TotalNumSgprs: 14
; NumVgprs: 5
; ScratchSize: 0
; MemoryBound: 0
; FloatMode: 240
; IeeeMode: 1
; LDSByteSize: 0 bytes/workgroup (compile time only)
; SGPRBlocks: 0
; VGPRBlocks: 0
; NumSGPRsForWavesPerEU: 14
; NumVGPRsForWavesPerEU: 5
; Occupancy: 16
; WaveLimiterHint : 0
; COMPUTE_PGM_RSRC2:SCRATCH_EN: 0
; COMPUTE_PGM_RSRC2:USER_SGPR: 2
; COMPUTE_PGM_RSRC2:TRAP_HANDLER: 0
; COMPUTE_PGM_RSRC2:TGID_X_EN: 1
; COMPUTE_PGM_RSRC2:TGID_Y_EN: 0
; COMPUTE_PGM_RSRC2:TGID_Z_EN: 0
; COMPUTE_PGM_RSRC2:TIDIG_COMP_CNT: 0
	.section	.text._ZN2at6native12_GLOBAL__N_137compute_grad_weight_atomic_accumulateIddiEEvPKT1_PKT_S5_llS5_PKlS5_S5_S5_PT0_ll,"axG",@progbits,_ZN2at6native12_GLOBAL__N_137compute_grad_weight_atomic_accumulateIddiEEvPKT1_PKT_S5_llS5_PKlS5_S5_S5_PT0_ll,comdat
	.globl	_ZN2at6native12_GLOBAL__N_137compute_grad_weight_atomic_accumulateIddiEEvPKT1_PKT_S5_llS5_PKlS5_S5_S5_PT0_ll ; -- Begin function _ZN2at6native12_GLOBAL__N_137compute_grad_weight_atomic_accumulateIddiEEvPKT1_PKT_S5_llS5_PKlS5_S5_S5_PT0_ll
	.p2align	8
	.type	_ZN2at6native12_GLOBAL__N_137compute_grad_weight_atomic_accumulateIddiEEvPKT1_PKT_S5_llS5_PKlS5_S5_S5_PT0_ll,@function
_ZN2at6native12_GLOBAL__N_137compute_grad_weight_atomic_accumulateIddiEEvPKT1_PKT_S5_llS5_PKlS5_S5_S5_PT0_ll: ; @_ZN2at6native12_GLOBAL__N_137compute_grad_weight_atomic_accumulateIddiEEvPKT1_PKT_S5_llS5_PKlS5_S5_S5_PT0_ll
; %bb.0:
	s_clause 0x1
	s_load_b32 s2, s[0:1], 0x74
	s_load_b64 s[20:21], s[0:1], 0x60
	v_mov_b32_e32 v2, 0
	s_wait_kmcnt 0x0
	s_and_b32 s2, s2, 0xffff
	s_delay_alu instid0(SALU_CYCLE_1) | instskip(NEXT) | instid1(VALU_DEP_1)
	v_mad_co_u64_u32 v[0:1], null, ttmp9, s2, v[0:1]
	v_ashrrev_i32_e32 v1, 31, v0
	s_delay_alu instid0(VALU_DEP_1) | instskip(NEXT) | instid1(VALU_DEP_1)
	v_or_b32_e32 v3, s21, v1
	v_cmp_ne_u64_e32 vcc_lo, 0, v[2:3]
                                        ; implicit-def: $vgpr2_vgpr3
	s_and_saveexec_b32 s2, vcc_lo
	s_wait_alu 0xfffe
	s_xor_b32 s3, exec_lo, s2
	s_cbranch_execz .LBB80_2
; %bb.1:
	s_ashr_i32 s4, s21, 31
	s_mov_b32 s15, 0
	s_mov_b32 s5, s4
	v_ashrrev_i32_e32 v8, 31, v1
	s_add_nc_u64 s[6:7], s[20:21], s[4:5]
	s_delay_alu instid0(SALU_CYCLE_1) | instskip(NEXT) | instid1(VALU_DEP_1)
	s_xor_b64 s[6:7], s[6:7], s[4:5]
	v_add_co_u32 v2, vcc_lo, v0, v8
	s_cvt_f32_u32 s2, s6
	s_cvt_f32_u32 s5, s7
	s_sub_nc_u64 s[10:11], 0, s[6:7]
	v_add_co_ci_u32_e64 v3, null, v1, v8, vcc_lo
	s_wait_alu 0xfffe
	s_fmamk_f32 s2, s5, 0x4f800000, s2
	v_xor_b32_e32 v9, v2, v8
	s_delay_alu instid0(VALU_DEP_2) | instskip(SKIP_2) | instid1(TRANS32_DEP_1)
	v_xor_b32_e32 v10, v3, v8
	s_wait_alu 0xfffe
	v_s_rcp_f32 s2, s2
	s_mul_f32 s2, s2, 0x5f7ffffc
	s_wait_alu 0xfffe
	s_delay_alu instid0(SALU_CYCLE_2) | instskip(NEXT) | instid1(SALU_CYCLE_3)
	s_mul_f32 s5, s2, 0x2f800000
	s_trunc_f32 s5, s5
	s_delay_alu instid0(SALU_CYCLE_3) | instskip(SKIP_2) | instid1(SALU_CYCLE_1)
	s_fmamk_f32 s2, s5, 0xcf800000, s2
	s_cvt_u32_f32 s9, s5
	s_wait_alu 0xfffe
	s_cvt_u32_f32 s8, s2
	s_delay_alu instid0(SALU_CYCLE_3) | instskip(NEXT) | instid1(SALU_CYCLE_1)
	s_mul_u64 s[12:13], s[10:11], s[8:9]
	s_mul_hi_u32 s17, s8, s13
	s_mul_i32 s16, s8, s13
	s_mul_hi_u32 s14, s8, s12
	s_mul_i32 s5, s9, s12
	s_add_nc_u64 s[16:17], s[14:15], s[16:17]
	s_mul_hi_u32 s2, s9, s12
	s_mul_hi_u32 s18, s9, s13
	s_add_co_u32 s5, s16, s5
	s_wait_alu 0xfffe
	s_add_co_ci_u32 s14, s17, s2
	s_mul_i32 s12, s9, s13
	s_add_co_ci_u32 s13, s18, 0
	s_delay_alu instid0(SALU_CYCLE_1) | instskip(NEXT) | instid1(SALU_CYCLE_1)
	s_add_nc_u64 s[12:13], s[14:15], s[12:13]
	s_add_co_u32 s8, s8, s12
	s_cselect_b32 s2, -1, 0
	s_wait_alu 0xfffe
	s_cmp_lg_u32 s2, 0
	s_add_co_ci_u32 s9, s9, s13
	s_delay_alu instid0(SALU_CYCLE_1) | instskip(NEXT) | instid1(SALU_CYCLE_1)
	s_mul_u64 s[10:11], s[10:11], s[8:9]
	s_mul_hi_u32 s13, s8, s11
	s_mul_i32 s12, s8, s11
	s_mul_hi_u32 s14, s8, s10
	s_mul_i32 s5, s9, s10
	s_add_nc_u64 s[12:13], s[14:15], s[12:13]
	s_mul_hi_u32 s2, s9, s10
	s_mul_hi_u32 s16, s9, s11
	s_add_co_u32 s5, s12, s5
	s_wait_alu 0xfffe
	s_add_co_ci_u32 s14, s13, s2
	s_mul_i32 s10, s9, s11
	s_add_co_ci_u32 s11, s16, 0
	s_delay_alu instid0(SALU_CYCLE_1) | instskip(NEXT) | instid1(SALU_CYCLE_1)
	s_add_nc_u64 s[10:11], s[14:15], s[10:11]
	s_add_co_u32 s2, s8, s10
	s_cselect_b32 s5, -1, 0
	s_wait_alu 0xfffe
	v_mul_hi_u32 v11, v9, s2
	s_cmp_lg_u32 s5, 0
	v_mad_co_u64_u32 v[4:5], null, v10, s2, 0
	s_add_co_ci_u32 s5, s9, s11
	s_delay_alu instid0(SALU_CYCLE_1) | instskip(SKIP_1) | instid1(VALU_DEP_2)
	v_mad_co_u64_u32 v[2:3], null, v9, s5, 0
	v_mad_co_u64_u32 v[6:7], null, v10, s5, 0
	v_add_co_u32 v2, vcc_lo, v11, v2
	s_wait_alu 0xfffd
	s_delay_alu instid0(VALU_DEP_3) | instskip(NEXT) | instid1(VALU_DEP_2)
	v_add_co_ci_u32_e64 v3, null, 0, v3, vcc_lo
	v_add_co_u32 v2, vcc_lo, v2, v4
	s_wait_alu 0xfffd
	s_delay_alu instid0(VALU_DEP_2) | instskip(SKIP_2) | instid1(VALU_DEP_2)
	v_add_co_ci_u32_e32 v2, vcc_lo, v3, v5, vcc_lo
	s_wait_alu 0xfffd
	v_add_co_ci_u32_e32 v3, vcc_lo, 0, v7, vcc_lo
	v_add_co_u32 v4, vcc_lo, v2, v6
	s_wait_alu 0xfffd
	s_delay_alu instid0(VALU_DEP_2) | instskip(NEXT) | instid1(VALU_DEP_2)
	v_add_co_ci_u32_e64 v5, null, 0, v3, vcc_lo
	v_mul_lo_u32 v6, s7, v4
	v_mad_co_u64_u32 v[2:3], null, s6, v4, 0
	s_delay_alu instid0(VALU_DEP_3) | instskip(NEXT) | instid1(VALU_DEP_2)
	v_mul_lo_u32 v7, s6, v5
	v_sub_co_u32 v2, vcc_lo, v9, v2
	s_delay_alu instid0(VALU_DEP_2) | instskip(SKIP_3) | instid1(VALU_DEP_3)
	v_add3_u32 v3, v3, v7, v6
	v_add_co_u32 v7, s2, v4, 2
	s_wait_alu 0xf1ff
	v_add_co_ci_u32_e64 v9, null, 0, v5, s2
	v_sub_nc_u32_e32 v6, v10, v3
	v_sub_co_u32 v11, s2, v2, s6
	s_wait_alu 0xfffd
	v_sub_co_ci_u32_e64 v3, null, v10, v3, vcc_lo
	s_delay_alu instid0(VALU_DEP_3) | instskip(NEXT) | instid1(VALU_DEP_3)
	v_subrev_co_ci_u32_e64 v6, null, s7, v6, vcc_lo
	v_cmp_le_u32_e32 vcc_lo, s6, v11
	s_wait_alu 0xf1ff
	s_delay_alu instid0(VALU_DEP_2) | instskip(SKIP_2) | instid1(VALU_DEP_2)
	v_subrev_co_ci_u32_e64 v6, null, 0, v6, s2
	s_wait_alu 0xfffd
	v_cndmask_b32_e64 v10, 0, -1, vcc_lo
	v_cmp_le_u32_e32 vcc_lo, s7, v6
	s_wait_alu 0xfffd
	v_cndmask_b32_e64 v11, 0, -1, vcc_lo
	v_cmp_le_u32_e32 vcc_lo, s6, v2
	;; [unrolled: 3-line block ×3, first 2 shown]
	s_wait_alu 0xfffd
	v_cndmask_b32_e64 v12, 0, -1, vcc_lo
	v_cmp_eq_u32_e32 vcc_lo, s7, v6
	s_wait_alu 0xfffd
	v_cndmask_b32_e32 v6, v11, v10, vcc_lo
	v_add_co_u32 v10, vcc_lo, v4, 1
	s_wait_alu 0xfffd
	v_add_co_ci_u32_e64 v11, null, 0, v5, vcc_lo
	v_cmp_eq_u32_e32 vcc_lo, s7, v3
	s_wait_alu 0xfffd
	v_cndmask_b32_e32 v2, v12, v2, vcc_lo
	v_cmp_ne_u32_e32 vcc_lo, 0, v6
	v_xor_b32_e32 v6, s4, v8
	s_wait_alu 0xfffd
	v_cndmask_b32_e32 v3, v11, v9, vcc_lo
	v_cmp_ne_u32_e64 s2, 0, v2
	v_cndmask_b32_e32 v2, v10, v7, vcc_lo
	s_wait_alu 0xf1ff
	s_delay_alu instid0(VALU_DEP_2) | instskip(NEXT) | instid1(VALU_DEP_2)
	v_cndmask_b32_e64 v3, v5, v3, s2
	v_cndmask_b32_e64 v2, v4, v2, s2
	s_delay_alu instid0(VALU_DEP_2) | instskip(NEXT) | instid1(VALU_DEP_2)
	v_xor_b32_e32 v3, v3, v6
	v_xor_b32_e32 v2, v2, v6
	s_delay_alu instid0(VALU_DEP_1) | instskip(SKIP_1) | instid1(VALU_DEP_3)
	v_sub_co_u32 v2, vcc_lo, v2, v6
	s_wait_alu 0xfffd
	v_sub_co_ci_u32_e64 v3, null, v3, v6, vcc_lo
.LBB80_2:
	s_wait_alu 0xfffe
	s_or_saveexec_b32 s2, s3
	s_load_b512 s[4:19], s[0:1], 0x0
	s_xor_b32 exec_lo, exec_lo, s2
	s_cbranch_execz .LBB80_4
; %bb.3:
	v_cvt_f32_u32_e32 v2, s20
	s_sub_co_i32 s3, 0, s20
	s_delay_alu instid0(VALU_DEP_1) | instskip(NEXT) | instid1(TRANS32_DEP_1)
	v_rcp_iflag_f32_e32 v2, v2
	v_mul_f32_e32 v2, 0x4f7ffffe, v2
	s_delay_alu instid0(VALU_DEP_1) | instskip(SKIP_1) | instid1(VALU_DEP_1)
	v_cvt_u32_f32_e32 v2, v2
	s_wait_alu 0xfffe
	v_mul_lo_u32 v3, s3, v2
	s_delay_alu instid0(VALU_DEP_1) | instskip(NEXT) | instid1(VALU_DEP_1)
	v_mul_hi_u32 v3, v2, v3
	v_add_nc_u32_e32 v2, v2, v3
	s_delay_alu instid0(VALU_DEP_1) | instskip(NEXT) | instid1(VALU_DEP_1)
	v_mul_hi_u32 v2, v0, v2
	v_mul_lo_u32 v3, v2, s20
	v_add_nc_u32_e32 v4, 1, v2
	s_delay_alu instid0(VALU_DEP_2) | instskip(NEXT) | instid1(VALU_DEP_1)
	v_sub_nc_u32_e32 v3, v0, v3
	v_subrev_nc_u32_e32 v5, s20, v3
	v_cmp_le_u32_e32 vcc_lo, s20, v3
	s_wait_alu 0xfffd
	s_delay_alu instid0(VALU_DEP_2) | instskip(NEXT) | instid1(VALU_DEP_1)
	v_dual_cndmask_b32 v3, v3, v5 :: v_dual_cndmask_b32 v2, v2, v4
	v_cmp_le_u32_e32 vcc_lo, s20, v3
	s_delay_alu instid0(VALU_DEP_2) | instskip(SKIP_1) | instid1(VALU_DEP_1)
	v_dual_mov_b32 v3, 0 :: v_dual_add_nc_u32 v4, 1, v2
	s_wait_alu 0xfffd
	v_cndmask_b32_e32 v2, v2, v4, vcc_lo
.LBB80_4:
	s_or_b32 exec_lo, exec_lo, s2
	s_delay_alu instid0(VALU_DEP_2) | instskip(NEXT) | instid1(VALU_DEP_2)
	v_mul_lo_u32 v5, v3, s20
	v_mul_lo_u32 v6, v2, s21
	v_mad_co_u64_u32 v[3:4], null, v2, s20, 0
	s_mov_b32 s2, exec_lo
	v_add3_u32 v4, v4, v6, v5
	v_sub_co_u32 v7, vcc_lo, v0, v3
	s_wait_alu 0xfffd
	s_delay_alu instid0(VALU_DEP_2) | instskip(SKIP_1) | instid1(VALU_DEP_1)
	v_sub_co_ci_u32_e64 v8, null, v1, v4, vcc_lo
	s_wait_kmcnt 0x0
	v_cmpx_gt_i64_e64 s[12:13], v[7:8]
	s_cbranch_execz .LBB80_20
; %bb.5:
	s_load_b64 s[2:3], s[16:17], 0x0
	v_ashrrev_i32_e32 v3, 31, v2
	s_wait_kmcnt 0x0
	s_delay_alu instid0(VALU_DEP_1)
	v_cmp_gt_i64_e32 vcc_lo, s[2:3], v[2:3]
	s_and_b32 exec_lo, exec_lo, vcc_lo
	s_cbranch_execz .LBB80_20
; %bb.6:
	v_lshlrev_b64_e32 v[0:1], 2, v[2:3]
	s_add_nc_u64 s[2:3], s[2:3], -1
                                        ; implicit-def: $vgpr13
	s_delay_alu instid0(VALU_DEP_1) | instskip(SKIP_1) | instid1(VALU_DEP_2)
	v_add_co_u32 v4, vcc_lo, s14, v0
	s_wait_alu 0xfffd
	v_add_co_ci_u32_e64 v5, null, s15, v1, vcc_lo
	s_wait_alu 0xfffe
	v_cmp_ne_u64_e32 vcc_lo, s[2:3], v[2:3]
	global_load_b32 v6, v[4:5], off
	s_and_saveexec_b32 s2, vcc_lo
	s_wait_alu 0xfffe
	s_xor_b32 s2, exec_lo, s2
	s_cbranch_execz .LBB80_8
; %bb.7:
	v_dual_mov_b32 v3, 0 :: v_dual_add_nc_u32 v4, 1, v2
	s_delay_alu instid0(VALU_DEP_1) | instskip(NEXT) | instid1(VALU_DEP_1)
	v_ashrrev_i64 v[2:3], 30, v[3:4]
	v_add_co_u32 v2, vcc_lo, s14, v2
	s_wait_alu 0xfffd
	s_delay_alu instid0(VALU_DEP_2)
	v_add_co_ci_u32_e64 v3, null, s15, v3, vcc_lo
	global_load_b32 v13, v[2:3], off
.LBB80_8:
	s_wait_alu 0xfffe
	s_or_saveexec_b32 s2, s2
	s_load_b256 s[20:27], s[0:1], 0x40
	s_xor_b32 exec_lo, exec_lo, s2
	s_cbranch_execz .LBB80_10
; %bb.9:
	s_wait_loadcnt 0x0
	v_mov_b32_e32 v13, s10
.LBB80_10:
	s_or_b32 exec_lo, exec_lo, s2
	v_mov_b32_e32 v4, 0
	v_lshlrev_b64_e32 v[2:3], 3, v[7:8]
	v_mov_b32_e32 v5, 0
	s_mov_b32 s1, exec_lo
	s_wait_loadcnt 0x0
	v_cmpx_lt_i32_e64 v6, v13
	s_cbranch_execz .LBB80_17
; %bb.11:
	v_ashrrev_i32_e32 v7, 31, v6
	v_add_co_u32 v14, vcc_lo, s6, v2
	s_wait_alu 0xfffd
	v_add_co_ci_u32_e64 v15, null, s7, v3, vcc_lo
	s_delay_alu instid0(VALU_DEP_3) | instskip(SKIP_3) | instid1(VALU_DEP_1)
	v_lshlrev_b64_e32 v[4:5], 2, v[6:7]
	s_cmp_lg_u64 s[8:9], 0
	s_mov_b32 s3, 0
	s_cselect_b32 s2, -1, 0
	v_add_co_u32 v7, vcc_lo, s4, v4
	s_wait_alu 0xfffd
	v_add_co_ci_u32_e64 v8, null, s5, v5, vcc_lo
	v_add_co_u32 v9, vcc_lo, s8, v4
	s_wait_alu 0xfffd
	v_add_co_ci_u32_e64 v10, null, s9, v5, vcc_lo
	v_mov_b32_e32 v4, 0
	v_mov_b32_e32 v5, 0
	s_branch .LBB80_14
.LBB80_12:                              ;   in Loop: Header=BB80_14 Depth=1
	global_load_b32 v11, v[9:10], off
	s_wait_loadcnt 0x0
	v_cvt_f64_i32_e32 v[11:12], v11
	s_delay_alu instid0(VALU_DEP_1) | instskip(NEXT) | instid1(VALU_DEP_1)
	v_div_scale_f64 v[17:18], null, v[11:12], v[11:12], 1.0
	v_rcp_f64_e32 v[19:20], v[17:18]
	s_delay_alu instid0(TRANS32_DEP_1) | instskip(NEXT) | instid1(VALU_DEP_1)
	v_fma_f64 v[21:22], -v[17:18], v[19:20], 1.0
	v_fma_f64 v[19:20], v[19:20], v[21:22], v[19:20]
	s_delay_alu instid0(VALU_DEP_1) | instskip(NEXT) | instid1(VALU_DEP_1)
	v_fma_f64 v[21:22], -v[17:18], v[19:20], 1.0
	v_fma_f64 v[19:20], v[19:20], v[21:22], v[19:20]
	v_div_scale_f64 v[21:22], vcc_lo, 1.0, v[11:12], 1.0
	s_delay_alu instid0(VALU_DEP_1) | instskip(NEXT) | instid1(VALU_DEP_1)
	v_mul_f64_e32 v[23:24], v[21:22], v[19:20]
	v_fma_f64 v[17:18], -v[17:18], v[23:24], v[21:22]
	s_wait_alu 0xfffd
	s_delay_alu instid0(VALU_DEP_1) | instskip(NEXT) | instid1(VALU_DEP_1)
	v_div_fmas_f64 v[17:18], v[17:18], v[19:20], v[23:24]
	v_div_fixup_f64 v[11:12], v[17:18], v[11:12], 1.0
.LBB80_13:                              ;   in Loop: Header=BB80_14 Depth=1
	s_wait_loadcnt 0x0
	v_ashrrev_i32_e32 v18, 31, v16
	v_mul_lo_u32 v19, s13, v16
	v_mad_co_u64_u32 v[16:17], null, s12, v16, 0
	v_add_nc_u32_e32 v6, 1, v6
	s_delay_alu instid0(VALU_DEP_4) | instskip(SKIP_3) | instid1(VALU_DEP_3)
	v_mul_lo_u32 v18, s12, v18
	v_add_co_u32 v9, s0, v9, 4
	s_wait_alu 0xf1ff
	v_add_co_ci_u32_e64 v10, null, 0, v10, s0
	v_add3_u32 v17, v17, v18, v19
	s_delay_alu instid0(VALU_DEP_1) | instskip(NEXT) | instid1(VALU_DEP_1)
	v_lshlrev_b64_e32 v[16:17], 3, v[16:17]
	v_add_co_u32 v16, vcc_lo, v14, v16
	s_wait_alu 0xfffd
	s_delay_alu instid0(VALU_DEP_2)
	v_add_co_ci_u32_e64 v17, null, v15, v17, vcc_lo
	v_add_co_u32 v7, vcc_lo, v7, 4
	s_wait_alu 0xfffd
	v_add_co_ci_u32_e64 v8, null, 0, v8, vcc_lo
	global_load_b64 v[16:17], v[16:17], off
	v_cmp_ge_i32_e32 vcc_lo, v6, v13
	s_or_b32 s3, vcc_lo, s3
	s_wait_loadcnt 0x0
	v_fma_f64 v[4:5], v[11:12], v[16:17], v[4:5]
	s_wait_alu 0xfffe
	s_and_not1_b32 exec_lo, exec_lo, s3
	s_cbranch_execz .LBB80_16
.LBB80_14:                              ; =>This Inner Loop Header: Depth=1
	global_load_b32 v16, v[7:8], off
	s_wait_alu 0xfffe
	s_and_not1_b32 vcc_lo, exec_lo, s2
	s_wait_alu 0xfffe
	s_cbranch_vccz .LBB80_12
; %bb.15:                               ;   in Loop: Header=BB80_14 Depth=1
	v_mov_b32_e32 v11, 0
	v_mov_b32_e32 v12, 0x3ff00000
	s_branch .LBB80_13
.LBB80_16:
	s_or_b32 exec_lo, exec_lo, s3
.LBB80_17:
	s_wait_alu 0xfffe
	s_or_b32 exec_lo, exec_lo, s1
	s_wait_kmcnt 0x0
	v_add_co_u32 v0, vcc_lo, s20, v0
	s_wait_alu 0xfffd
	v_add_co_ci_u32_e64 v1, null, s21, v1, vcc_lo
	global_load_b32 v0, v[0:1], off
	s_wait_loadcnt 0x0
	v_ashrrev_i32_e32 v1, 31, v0
	s_delay_alu instid0(VALU_DEP_1) | instskip(NEXT) | instid1(VALU_DEP_1)
	v_lshlrev_b64_e32 v[0:1], 2, v[0:1]
	v_add_co_u32 v0, vcc_lo, s22, v0
	s_wait_alu 0xfffd
	s_delay_alu instid0(VALU_DEP_2) | instskip(SKIP_3) | instid1(VALU_DEP_1)
	v_add_co_ci_u32_e64 v1, null, s23, v1, vcc_lo
	global_load_b32 v0, v[0:1], off
	s_wait_loadcnt 0x0
	v_ashrrev_i32_e32 v1, 31, v0
	v_lshlrev_b64_e32 v[0:1], 2, v[0:1]
	s_delay_alu instid0(VALU_DEP_1) | instskip(SKIP_1) | instid1(VALU_DEP_2)
	v_add_co_u32 v0, vcc_lo, s18, v0
	s_wait_alu 0xfffd
	v_add_co_ci_u32_e64 v1, null, s19, v1, vcc_lo
	global_load_b32 v0, v[0:1], off
	s_wait_loadcnt 0x0
	v_ashrrev_i32_e32 v1, 31, v0
	s_delay_alu instid0(VALU_DEP_1)
	v_cmp_ne_u64_e32 vcc_lo, s[26:27], v[0:1]
	s_and_b32 exec_lo, exec_lo, vcc_lo
	s_cbranch_execz .LBB80_20
; %bb.18:
	v_mul_lo_u32 v6, s13, v0
	v_mul_lo_u32 v7, s12, v1
	v_mad_co_u64_u32 v[0:1], null, s12, v0, 0
	s_mov_b32 s0, 0
	v_add3_u32 v1, v1, v7, v6
	s_delay_alu instid0(VALU_DEP_1) | instskip(NEXT) | instid1(VALU_DEP_1)
	v_lshlrev_b64_e32 v[0:1], 3, v[0:1]
	v_add_co_u32 v0, vcc_lo, s24, v0
	s_wait_alu 0xfffd
	s_delay_alu instid0(VALU_DEP_2) | instskip(NEXT) | instid1(VALU_DEP_2)
	v_add_co_ci_u32_e64 v1, null, s25, v1, vcc_lo
	v_add_co_u32 v6, vcc_lo, v0, v2
	s_wait_alu 0xfffd
	s_delay_alu instid0(VALU_DEP_2)
	v_add_co_ci_u32_e64 v7, null, v1, v3, vcc_lo
	global_load_b64 v[2:3], v[6:7], off
.LBB80_19:                              ; =>This Inner Loop Header: Depth=1
	s_wait_loadcnt 0x0
	v_add_f64_e32 v[0:1], v[2:3], v[4:5]
	global_atomic_cmpswap_b64 v[0:1], v[6:7], v[0:3], off th:TH_ATOMIC_RETURN scope:SCOPE_DEV
	s_wait_loadcnt 0x0
	v_cmp_eq_u64_e32 vcc_lo, v[0:1], v[2:3]
	v_dual_mov_b32 v3, v1 :: v_dual_mov_b32 v2, v0
	s_wait_alu 0xfffe
	s_or_b32 s0, vcc_lo, s0
	s_wait_alu 0xfffe
	s_and_not1_b32 exec_lo, exec_lo, s0
	s_cbranch_execnz .LBB80_19
.LBB80_20:
	s_endpgm
	.section	.rodata,"a",@progbits
	.p2align	6, 0x0
	.amdhsa_kernel _ZN2at6native12_GLOBAL__N_137compute_grad_weight_atomic_accumulateIddiEEvPKT1_PKT_S5_llS5_PKlS5_S5_S5_PT0_ll
		.amdhsa_group_segment_fixed_size 0
		.amdhsa_private_segment_fixed_size 0
		.amdhsa_kernarg_size 360
		.amdhsa_user_sgpr_count 2
		.amdhsa_user_sgpr_dispatch_ptr 0
		.amdhsa_user_sgpr_queue_ptr 0
		.amdhsa_user_sgpr_kernarg_segment_ptr 1
		.amdhsa_user_sgpr_dispatch_id 0
		.amdhsa_user_sgpr_private_segment_size 0
		.amdhsa_wavefront_size32 1
		.amdhsa_uses_dynamic_stack 0
		.amdhsa_enable_private_segment 0
		.amdhsa_system_sgpr_workgroup_id_x 1
		.amdhsa_system_sgpr_workgroup_id_y 0
		.amdhsa_system_sgpr_workgroup_id_z 0
		.amdhsa_system_sgpr_workgroup_info 0
		.amdhsa_system_vgpr_workitem_id 0
		.amdhsa_next_free_vgpr 25
		.amdhsa_next_free_sgpr 28
		.amdhsa_reserve_vcc 1
		.amdhsa_float_round_mode_32 0
		.amdhsa_float_round_mode_16_64 0
		.amdhsa_float_denorm_mode_32 3
		.amdhsa_float_denorm_mode_16_64 3
		.amdhsa_fp16_overflow 0
		.amdhsa_workgroup_processor_mode 1
		.amdhsa_memory_ordered 1
		.amdhsa_forward_progress 1
		.amdhsa_inst_pref_size 17
		.amdhsa_round_robin_scheduling 0
		.amdhsa_exception_fp_ieee_invalid_op 0
		.amdhsa_exception_fp_denorm_src 0
		.amdhsa_exception_fp_ieee_div_zero 0
		.amdhsa_exception_fp_ieee_overflow 0
		.amdhsa_exception_fp_ieee_underflow 0
		.amdhsa_exception_fp_ieee_inexact 0
		.amdhsa_exception_int_div_zero 0
	.end_amdhsa_kernel
	.section	.text._ZN2at6native12_GLOBAL__N_137compute_grad_weight_atomic_accumulateIddiEEvPKT1_PKT_S5_llS5_PKlS5_S5_S5_PT0_ll,"axG",@progbits,_ZN2at6native12_GLOBAL__N_137compute_grad_weight_atomic_accumulateIddiEEvPKT1_PKT_S5_llS5_PKlS5_S5_S5_PT0_ll,comdat
.Lfunc_end80:
	.size	_ZN2at6native12_GLOBAL__N_137compute_grad_weight_atomic_accumulateIddiEEvPKT1_PKT_S5_llS5_PKlS5_S5_S5_PT0_ll, .Lfunc_end80-_ZN2at6native12_GLOBAL__N_137compute_grad_weight_atomic_accumulateIddiEEvPKT1_PKT_S5_llS5_PKlS5_S5_S5_PT0_ll
                                        ; -- End function
	.set _ZN2at6native12_GLOBAL__N_137compute_grad_weight_atomic_accumulateIddiEEvPKT1_PKT_S5_llS5_PKlS5_S5_S5_PT0_ll.num_vgpr, 25
	.set _ZN2at6native12_GLOBAL__N_137compute_grad_weight_atomic_accumulateIddiEEvPKT1_PKT_S5_llS5_PKlS5_S5_S5_PT0_ll.num_agpr, 0
	.set _ZN2at6native12_GLOBAL__N_137compute_grad_weight_atomic_accumulateIddiEEvPKT1_PKT_S5_llS5_PKlS5_S5_S5_PT0_ll.numbered_sgpr, 28
	.set _ZN2at6native12_GLOBAL__N_137compute_grad_weight_atomic_accumulateIddiEEvPKT1_PKT_S5_llS5_PKlS5_S5_S5_PT0_ll.num_named_barrier, 0
	.set _ZN2at6native12_GLOBAL__N_137compute_grad_weight_atomic_accumulateIddiEEvPKT1_PKT_S5_llS5_PKlS5_S5_S5_PT0_ll.private_seg_size, 0
	.set _ZN2at6native12_GLOBAL__N_137compute_grad_weight_atomic_accumulateIddiEEvPKT1_PKT_S5_llS5_PKlS5_S5_S5_PT0_ll.uses_vcc, 1
	.set _ZN2at6native12_GLOBAL__N_137compute_grad_weight_atomic_accumulateIddiEEvPKT1_PKT_S5_llS5_PKlS5_S5_S5_PT0_ll.uses_flat_scratch, 0
	.set _ZN2at6native12_GLOBAL__N_137compute_grad_weight_atomic_accumulateIddiEEvPKT1_PKT_S5_llS5_PKlS5_S5_S5_PT0_ll.has_dyn_sized_stack, 0
	.set _ZN2at6native12_GLOBAL__N_137compute_grad_weight_atomic_accumulateIddiEEvPKT1_PKT_S5_llS5_PKlS5_S5_S5_PT0_ll.has_recursion, 0
	.set _ZN2at6native12_GLOBAL__N_137compute_grad_weight_atomic_accumulateIddiEEvPKT1_PKT_S5_llS5_PKlS5_S5_S5_PT0_ll.has_indirect_call, 0
	.section	.AMDGPU.csdata,"",@progbits
; Kernel info:
; codeLenInByte = 2056
; TotalNumSgprs: 30
; NumVgprs: 25
; ScratchSize: 0
; MemoryBound: 0
; FloatMode: 240
; IeeeMode: 1
; LDSByteSize: 0 bytes/workgroup (compile time only)
; SGPRBlocks: 0
; VGPRBlocks: 3
; NumSGPRsForWavesPerEU: 30
; NumVGPRsForWavesPerEU: 25
; Occupancy: 16
; WaveLimiterHint : 1
; COMPUTE_PGM_RSRC2:SCRATCH_EN: 0
; COMPUTE_PGM_RSRC2:USER_SGPR: 2
; COMPUTE_PGM_RSRC2:TRAP_HANDLER: 0
; COMPUTE_PGM_RSRC2:TGID_X_EN: 1
; COMPUTE_PGM_RSRC2:TGID_Y_EN: 0
; COMPUTE_PGM_RSRC2:TGID_Z_EN: 0
; COMPUTE_PGM_RSRC2:TIDIG_COMP_CNT: 0
	.section	.text._ZN2at6native12_GLOBAL__N_124compute_grad_weight_bagsIdiEEvPKT0_PKT_S5_S5_lliS5_S8_lS5_PKlPNS_14AccumulateTypeIS6_Lb1EE4typeEl,"axG",@progbits,_ZN2at6native12_GLOBAL__N_124compute_grad_weight_bagsIdiEEvPKT0_PKT_S5_S5_lliS5_S8_lS5_PKlPNS_14AccumulateTypeIS6_Lb1EE4typeEl,comdat
	.globl	_ZN2at6native12_GLOBAL__N_124compute_grad_weight_bagsIdiEEvPKT0_PKT_S5_S5_lliS5_S8_lS5_PKlPNS_14AccumulateTypeIS6_Lb1EE4typeEl ; -- Begin function _ZN2at6native12_GLOBAL__N_124compute_grad_weight_bagsIdiEEvPKT0_PKT_S5_S5_lliS5_S8_lS5_PKlPNS_14AccumulateTypeIS6_Lb1EE4typeEl
	.p2align	8
	.type	_ZN2at6native12_GLOBAL__N_124compute_grad_weight_bagsIdiEEvPKT0_PKT_S5_S5_lliS5_S8_lS5_PKlPNS_14AccumulateTypeIS6_Lb1EE4typeEl,@function
_ZN2at6native12_GLOBAL__N_124compute_grad_weight_bagsIdiEEvPKT0_PKT_S5_S5_lliS5_S8_lS5_PKlPNS_14AccumulateTypeIS6_Lb1EE4typeEl: ; @_ZN2at6native12_GLOBAL__N_124compute_grad_weight_bagsIdiEEvPKT0_PKT_S5_S5_lliS5_S8_lS5_PKlPNS_14AccumulateTypeIS6_Lb1EE4typeEl
; %bb.0:
	s_clause 0x2
	s_load_b32 s2, s[0:1], 0x7c
	s_load_b64 s[4:5], s[0:1], 0x68
	s_load_b128 s[20:23], s[0:1], 0x58
	v_mov_b32_e32 v1, 0
	s_delay_alu instid0(VALU_DEP_1) | instskip(SKIP_2) | instid1(SALU_CYCLE_1)
	v_mov_b32_e32 v4, v1
	s_wait_kmcnt 0x0
	s_and_b32 s2, s2, 0xffff
	v_mad_co_u64_u32 v[2:3], null, s2, ttmp9, v[0:1]
                                        ; implicit-def: $vgpr0_vgpr1
	s_mov_b32 s2, exec_lo
	v_or_b32_e32 v5, s5, v3
	s_delay_alu instid0(VALU_DEP_1)
	v_cmpx_ne_u64_e32 0, v[4:5]
	s_wait_alu 0xfffe
	s_xor_b32 s3, exec_lo, s2
	s_cbranch_execz .LBB81_2
; %bb.1:
	s_ashr_i32 s6, s5, 31
	s_mov_b32 s17, 0
	s_mov_b32 s7, s6
	v_ashrrev_i32_e32 v8, 31, v3
	s_add_nc_u64 s[8:9], s[4:5], s[6:7]
	s_delay_alu instid0(SALU_CYCLE_1) | instskip(NEXT) | instid1(VALU_DEP_1)
	s_xor_b64 s[8:9], s[8:9], s[6:7]
	v_add_co_u32 v0, vcc_lo, v2, v8
	s_cvt_f32_u32 s2, s8
	s_cvt_f32_u32 s7, s9
	s_sub_nc_u64 s[12:13], 0, s[8:9]
	v_add_co_ci_u32_e64 v1, null, v3, v8, vcc_lo
	s_wait_alu 0xfffe
	s_fmamk_f32 s2, s7, 0x4f800000, s2
	v_xor_b32_e32 v9, v0, v8
	s_delay_alu instid0(VALU_DEP_2) | instskip(SKIP_2) | instid1(TRANS32_DEP_1)
	v_xor_b32_e32 v10, v1, v8
	s_wait_alu 0xfffe
	v_s_rcp_f32 s2, s2
	s_mul_f32 s2, s2, 0x5f7ffffc
	s_wait_alu 0xfffe
	s_delay_alu instid0(SALU_CYCLE_2) | instskip(NEXT) | instid1(SALU_CYCLE_3)
	s_mul_f32 s7, s2, 0x2f800000
	s_trunc_f32 s7, s7
	s_delay_alu instid0(SALU_CYCLE_3) | instskip(SKIP_2) | instid1(SALU_CYCLE_1)
	s_fmamk_f32 s2, s7, 0xcf800000, s2
	s_cvt_u32_f32 s11, s7
	s_wait_alu 0xfffe
	s_cvt_u32_f32 s10, s2
	s_delay_alu instid0(SALU_CYCLE_3) | instskip(NEXT) | instid1(SALU_CYCLE_1)
	s_mul_u64 s[14:15], s[12:13], s[10:11]
	s_mul_hi_u32 s19, s10, s15
	s_mul_i32 s18, s10, s15
	s_mul_hi_u32 s16, s10, s14
	s_mul_i32 s7, s11, s14
	s_add_nc_u64 s[18:19], s[16:17], s[18:19]
	s_mul_hi_u32 s2, s11, s14
	s_mul_hi_u32 s24, s11, s15
	s_add_co_u32 s7, s18, s7
	s_wait_alu 0xfffe
	s_add_co_ci_u32 s16, s19, s2
	s_mul_i32 s14, s11, s15
	s_add_co_ci_u32 s15, s24, 0
	s_delay_alu instid0(SALU_CYCLE_1) | instskip(NEXT) | instid1(SALU_CYCLE_1)
	s_add_nc_u64 s[14:15], s[16:17], s[14:15]
	s_add_co_u32 s10, s10, s14
	s_cselect_b32 s2, -1, 0
	s_wait_alu 0xfffe
	s_cmp_lg_u32 s2, 0
	s_add_co_ci_u32 s11, s11, s15
	s_delay_alu instid0(SALU_CYCLE_1) | instskip(NEXT) | instid1(SALU_CYCLE_1)
	s_mul_u64 s[12:13], s[12:13], s[10:11]
	s_mul_hi_u32 s15, s10, s13
	s_mul_i32 s14, s10, s13
	s_mul_hi_u32 s16, s10, s12
	s_mul_i32 s7, s11, s12
	s_add_nc_u64 s[14:15], s[16:17], s[14:15]
	s_mul_hi_u32 s2, s11, s12
	s_mul_hi_u32 s18, s11, s13
	s_add_co_u32 s7, s14, s7
	s_wait_alu 0xfffe
	s_add_co_ci_u32 s16, s15, s2
	s_mul_i32 s12, s11, s13
	s_add_co_ci_u32 s13, s18, 0
	s_delay_alu instid0(SALU_CYCLE_1) | instskip(NEXT) | instid1(SALU_CYCLE_1)
	s_add_nc_u64 s[12:13], s[16:17], s[12:13]
	s_add_co_u32 s2, s10, s12
	s_cselect_b32 s7, -1, 0
	s_wait_alu 0xfffe
	v_mul_hi_u32 v11, v9, s2
	s_cmp_lg_u32 s7, 0
	v_mad_co_u64_u32 v[4:5], null, v10, s2, 0
	s_add_co_ci_u32 s7, s11, s13
	s_delay_alu instid0(SALU_CYCLE_1) | instskip(SKIP_1) | instid1(VALU_DEP_2)
	v_mad_co_u64_u32 v[0:1], null, v9, s7, 0
	v_mad_co_u64_u32 v[6:7], null, v10, s7, 0
	v_add_co_u32 v0, vcc_lo, v11, v0
	s_wait_alu 0xfffd
	s_delay_alu instid0(VALU_DEP_3) | instskip(NEXT) | instid1(VALU_DEP_2)
	v_add_co_ci_u32_e64 v1, null, 0, v1, vcc_lo
	v_add_co_u32 v0, vcc_lo, v0, v4
	s_wait_alu 0xfffd
	s_delay_alu instid0(VALU_DEP_2) | instskip(SKIP_2) | instid1(VALU_DEP_2)
	v_add_co_ci_u32_e32 v0, vcc_lo, v1, v5, vcc_lo
	s_wait_alu 0xfffd
	v_add_co_ci_u32_e32 v1, vcc_lo, 0, v7, vcc_lo
	v_add_co_u32 v4, vcc_lo, v0, v6
	s_wait_alu 0xfffd
	s_delay_alu instid0(VALU_DEP_2) | instskip(NEXT) | instid1(VALU_DEP_2)
	v_add_co_ci_u32_e64 v5, null, 0, v1, vcc_lo
	v_mul_lo_u32 v6, s9, v4
	v_mad_co_u64_u32 v[0:1], null, s8, v4, 0
	s_delay_alu instid0(VALU_DEP_3) | instskip(NEXT) | instid1(VALU_DEP_2)
	v_mul_lo_u32 v7, s8, v5
	v_sub_co_u32 v0, vcc_lo, v9, v0
	s_delay_alu instid0(VALU_DEP_2) | instskip(SKIP_3) | instid1(VALU_DEP_3)
	v_add3_u32 v1, v1, v7, v6
	v_add_co_u32 v7, s2, v4, 2
	s_wait_alu 0xf1ff
	v_add_co_ci_u32_e64 v9, null, 0, v5, s2
	v_sub_nc_u32_e32 v6, v10, v1
	v_sub_co_u32 v11, s2, v0, s8
	s_wait_alu 0xfffd
	v_sub_co_ci_u32_e64 v1, null, v10, v1, vcc_lo
	s_delay_alu instid0(VALU_DEP_3) | instskip(NEXT) | instid1(VALU_DEP_3)
	v_subrev_co_ci_u32_e64 v6, null, s9, v6, vcc_lo
	v_cmp_le_u32_e32 vcc_lo, s8, v11
	s_wait_alu 0xf1ff
	s_delay_alu instid0(VALU_DEP_2) | instskip(SKIP_2) | instid1(VALU_DEP_2)
	v_subrev_co_ci_u32_e64 v6, null, 0, v6, s2
	s_wait_alu 0xfffd
	v_cndmask_b32_e64 v10, 0, -1, vcc_lo
	v_cmp_le_u32_e32 vcc_lo, s9, v6
	s_wait_alu 0xfffd
	v_cndmask_b32_e64 v11, 0, -1, vcc_lo
	v_cmp_le_u32_e32 vcc_lo, s8, v0
	;; [unrolled: 3-line block ×3, first 2 shown]
	s_wait_alu 0xfffd
	v_cndmask_b32_e64 v12, 0, -1, vcc_lo
	v_cmp_eq_u32_e32 vcc_lo, s9, v6
	s_wait_alu 0xfffd
	v_cndmask_b32_e32 v6, v11, v10, vcc_lo
	v_add_co_u32 v10, vcc_lo, v4, 1
	s_wait_alu 0xfffd
	v_add_co_ci_u32_e64 v11, null, 0, v5, vcc_lo
	v_cmp_eq_u32_e32 vcc_lo, s9, v1
	s_wait_alu 0xfffd
	v_cndmask_b32_e32 v0, v12, v0, vcc_lo
	v_cmp_ne_u32_e32 vcc_lo, 0, v6
	v_xor_b32_e32 v6, s6, v8
	s_wait_alu 0xfffd
	v_cndmask_b32_e32 v1, v11, v9, vcc_lo
	v_cmp_ne_u32_e64 s2, 0, v0
	v_cndmask_b32_e32 v0, v10, v7, vcc_lo
	s_wait_alu 0xf1ff
	s_delay_alu instid0(VALU_DEP_2) | instskip(NEXT) | instid1(VALU_DEP_2)
	v_cndmask_b32_e64 v1, v5, v1, s2
	v_cndmask_b32_e64 v0, v4, v0, s2
	s_delay_alu instid0(VALU_DEP_2) | instskip(NEXT) | instid1(VALU_DEP_2)
	v_xor_b32_e32 v1, v1, v6
	v_xor_b32_e32 v0, v0, v6
	s_delay_alu instid0(VALU_DEP_1) | instskip(SKIP_1) | instid1(VALU_DEP_3)
	v_sub_co_u32 v0, vcc_lo, v0, v6
	s_wait_alu 0xfffd
	v_sub_co_ci_u32_e64 v1, null, v1, v6, vcc_lo
.LBB81_2:
	s_wait_alu 0xfffe
	s_or_saveexec_b32 s2, s3
	s_load_b64 s[20:21], s[20:21], 0x0
	s_xor_b32 exec_lo, exec_lo, s2
	s_cbranch_execz .LBB81_4
; %bb.3:
	v_cvt_f32_u32_e32 v0, s4
	s_sub_co_i32 s3, 0, s4
	s_delay_alu instid0(VALU_DEP_1) | instskip(NEXT) | instid1(TRANS32_DEP_1)
	v_rcp_iflag_f32_e32 v0, v0
	v_mul_f32_e32 v0, 0x4f7ffffe, v0
	s_delay_alu instid0(VALU_DEP_1) | instskip(SKIP_1) | instid1(VALU_DEP_1)
	v_cvt_u32_f32_e32 v0, v0
	s_wait_alu 0xfffe
	v_mul_lo_u32 v1, s3, v0
	s_delay_alu instid0(VALU_DEP_1) | instskip(NEXT) | instid1(VALU_DEP_1)
	v_mul_hi_u32 v1, v0, v1
	v_add_nc_u32_e32 v0, v0, v1
	s_delay_alu instid0(VALU_DEP_1) | instskip(NEXT) | instid1(VALU_DEP_1)
	v_mul_hi_u32 v0, v2, v0
	v_mul_lo_u32 v1, v0, s4
	v_add_nc_u32_e32 v4, 1, v0
	s_delay_alu instid0(VALU_DEP_2) | instskip(NEXT) | instid1(VALU_DEP_1)
	v_sub_nc_u32_e32 v1, v2, v1
	v_subrev_nc_u32_e32 v5, s4, v1
	v_cmp_le_u32_e32 vcc_lo, s4, v1
	s_wait_alu 0xfffd
	s_delay_alu instid0(VALU_DEP_2) | instskip(NEXT) | instid1(VALU_DEP_1)
	v_dual_cndmask_b32 v1, v1, v5 :: v_dual_cndmask_b32 v0, v0, v4
	v_cmp_le_u32_e32 vcc_lo, s4, v1
	s_delay_alu instid0(VALU_DEP_2) | instskip(SKIP_1) | instid1(VALU_DEP_1)
	v_dual_mov_b32 v1, 0 :: v_dual_add_nc_u32 v4, 1, v0
	s_wait_alu 0xfffd
	v_cndmask_b32_e32 v0, v0, v4, vcc_lo
.LBB81_4:
	s_or_b32 exec_lo, exec_lo, s2
	s_load_b128 s[24:27], s[0:1], 0x20
	v_mul_lo_u32 v6, v1, s4
	s_delay_alu instid0(VALU_DEP_2) | instskip(SKIP_3) | instid1(VALU_DEP_2)
	v_mul_lo_u32 v7, v0, s5
	v_mad_co_u64_u32 v[4:5], null, v0, s4, 0
	s_wait_kmcnt 0x0
	v_cmp_gt_i64_e64 s2, s[20:21], v[0:1]
	v_add3_u32 v5, v5, v7, v6
	s_delay_alu instid0(VALU_DEP_3) | instskip(SKIP_1) | instid1(VALU_DEP_2)
	v_sub_co_u32 v4, vcc_lo, v2, v4
	s_wait_alu 0xfffd
	v_sub_co_ci_u32_e64 v5, null, v3, v5, vcc_lo
	s_delay_alu instid0(VALU_DEP_1)
	v_cmp_gt_i64_e32 vcc_lo, s[26:27], v[4:5]
	s_and_b32 s2, vcc_lo, s2
	s_wait_alu 0xfffe
	s_and_saveexec_b32 s3, s2
	s_cbranch_execz .LBB81_20
; %bb.5:
	s_load_b256 s[4:11], s[0:1], 0x38
	v_lshlrev_b64_e32 v[2:3], 2, v[0:1]
	s_load_b256 s[12:19], s[0:1], 0x0
	s_add_nc_u64 s[2:3], s[20:21], -1
                                        ; implicit-def: $vgpr18
	s_wait_kmcnt 0x0
	s_delay_alu instid0(VALU_DEP_1)
	v_add_co_u32 v6, vcc_lo, s10, v2
	s_wait_alu 0xfffd
	v_add_co_ci_u32_e64 v7, null, s11, v3, vcc_lo
	s_wait_alu 0xfffe
	v_cmp_ne_u64_e32 vcc_lo, s[2:3], v[0:1]
	global_load_b32 v2, v[6:7], off
	s_and_saveexec_b32 s2, vcc_lo
	s_wait_alu 0xfffe
	s_xor_b32 s2, exec_lo, s2
	s_cbranch_execz .LBB81_7
; %bb.6:
	global_load_b32 v18, v[6:7], off offset:4
.LBB81_7:
	s_wait_alu 0xfffe
	s_and_not1_saveexec_b32 s2, s2
	s_cbranch_execz .LBB81_9
; %bb.8:
	s_wait_loadcnt 0x0
	v_mov_b32_e32 v18, s24
.LBB81_9:
	s_wait_alu 0xfffe
	s_or_b32 exec_lo, exec_lo, s2
	v_mov_b32_e32 v6, 0
	v_lshlrev_b64_e32 v[4:5], 3, v[4:5]
	v_mov_b32_e32 v7, 0
	s_mov_b32 s2, exec_lo
	s_wait_loadcnt 0x0
	v_cmpx_lt_i32_e64 v2, v18
	s_cbranch_execz .LBB81_19
; %bb.10:
	s_load_b32 s0, s[0:1], 0x30
	v_ashrrev_i32_e32 v3, 31, v2
	v_add_co_u32 v19, vcc_lo, s14, v4
	s_wait_alu 0xfffd
	v_add_co_ci_u32_e64 v20, null, s15, v5, vcc_lo
	s_delay_alu instid0(VALU_DEP_3)
	v_lshlrev_b64_e32 v[10:11], 2, v[2:3]
	s_cmp_lg_u64 s[18:19], 0
	v_mov_b32_e32 v6, 0
	s_cselect_b32 s1, -1, 0
	s_cmp_lg_u64 s[6:7], 0
	v_mov_b32_e32 v7, 0
	v_add_co_u32 v8, vcc_lo, s12, v10
	s_wait_alu 0xfffd
	v_add_co_ci_u32_e64 v9, null, s13, v11, vcc_lo
	v_add_co_u32 v10, vcc_lo, s18, v10
	s_wait_alu 0xfffd
	v_add_co_ci_u32_e64 v11, null, s19, v11, vcc_lo
	s_cselect_b32 s3, -1, 0
	s_wait_kmcnt 0x0
	s_cmp_lg_u32 s0, 0
	s_mov_b32 s11, 0
	s_cselect_b32 s10, -1, 0
	s_branch .LBB81_12
.LBB81_11:                              ;   in Loop: Header=BB81_12 Depth=1
	s_wait_loadcnt 0x0
	s_delay_alu instid0(VALU_DEP_1) | instskip(SKIP_4) | instid1(VALU_DEP_3)
	v_fma_f64 v[6:7], v[12:13], v[16:17], v[6:7]
	v_add_nc_u32_e32 v2, 1, v2
	v_add_co_u32 v8, vcc_lo, v8, 4
	s_wait_alu 0xfffd
	v_add_co_ci_u32_e64 v9, null, 0, v9, vcc_lo
	v_cmp_ge_i32_e32 vcc_lo, v2, v18
	v_add_co_u32 v10, s0, v10, 4
	s_wait_alu 0xf1ff
	v_add_co_ci_u32_e64 v11, null, 0, v11, s0
	s_or_b32 s11, vcc_lo, s11
	s_wait_alu 0xfffe
	s_and_not1_b32 exec_lo, exec_lo, s11
	s_cbranch_execz .LBB81_18
.LBB81_12:                              ; =>This Inner Loop Header: Depth=1
	global_load_b32 v15, v[8:9], off
	s_wait_loadcnt 0x0
	v_ashrrev_i32_e32 v16, 31, v15
	s_delay_alu instid0(VALU_DEP_1) | instskip(NEXT) | instid1(VALU_DEP_1)
	v_lshlrev_b64_e32 v[12:13], 2, v[15:16]
	v_add_co_u32 v12, vcc_lo, s16, v12
	s_wait_alu 0xfffd
	s_delay_alu instid0(VALU_DEP_2)
	v_add_co_ci_u32_e64 v13, null, s17, v13, vcc_lo
	s_wait_alu 0xfffe
	s_and_not1_b32 vcc_lo, exec_lo, s1
	global_load_b32 v14, v[12:13], off
	s_wait_alu 0xfffe
	s_cbranch_vccnz .LBB81_17
; %bb.13:                               ;   in Loop: Header=BB81_12 Depth=1
	global_load_b32 v3, v[10:11], off
	s_wait_loadcnt 0x0
	v_cvt_f64_i32_e32 v[12:13], v3
	s_delay_alu instid0(VALU_DEP_1) | instskip(NEXT) | instid1(VALU_DEP_1)
	v_div_scale_f64 v[21:22], null, v[12:13], v[12:13], 1.0
	v_rcp_f64_e32 v[23:24], v[21:22]
	s_delay_alu instid0(TRANS32_DEP_1) | instskip(NEXT) | instid1(VALU_DEP_1)
	v_fma_f64 v[25:26], -v[21:22], v[23:24], 1.0
	v_fma_f64 v[23:24], v[23:24], v[25:26], v[23:24]
	s_delay_alu instid0(VALU_DEP_1) | instskip(NEXT) | instid1(VALU_DEP_1)
	v_fma_f64 v[25:26], -v[21:22], v[23:24], 1.0
	v_fma_f64 v[23:24], v[23:24], v[25:26], v[23:24]
	v_div_scale_f64 v[25:26], vcc_lo, 1.0, v[12:13], 1.0
	s_delay_alu instid0(VALU_DEP_1) | instskip(NEXT) | instid1(VALU_DEP_1)
	v_mul_f64_e32 v[27:28], v[25:26], v[23:24]
	v_fma_f64 v[21:22], -v[21:22], v[27:28], v[25:26]
	s_wait_alu 0xfffd
	s_delay_alu instid0(VALU_DEP_1) | instskip(NEXT) | instid1(VALU_DEP_1)
	v_div_fmas_f64 v[21:22], v[21:22], v[23:24], v[27:28]
	v_div_fixup_f64 v[12:13], v[21:22], v[12:13], 1.0
	s_and_not1_b32 vcc_lo, exec_lo, s3
	s_wait_alu 0xfffe
	s_cbranch_vccnz .LBB81_15
.LBB81_14:                              ;   in Loop: Header=BB81_12 Depth=1
	v_mul_lo_u32 v3, s9, v15
	v_mul_lo_u32 v17, s8, v16
	v_mad_co_u64_u32 v[15:16], null, s8, v15, 0
	s_delay_alu instid0(VALU_DEP_1) | instskip(NEXT) | instid1(VALU_DEP_1)
	v_add3_u32 v16, v16, v17, v3
	v_lshlrev_b64_e32 v[15:16], 3, v[15:16]
	s_delay_alu instid0(VALU_DEP_1) | instskip(SKIP_1) | instid1(VALU_DEP_2)
	v_add_co_u32 v15, vcc_lo, s6, v15
	s_wait_alu 0xfffd
	v_add_co_ci_u32_e64 v16, null, s7, v16, vcc_lo
	global_load_b64 v[15:16], v[15:16], off
	s_wait_loadcnt 0x0
	v_mul_f64_e32 v[12:13], v[12:13], v[15:16]
.LBB81_15:                              ;   in Loop: Header=BB81_12 Depth=1
	s_wait_loadcnt 0x0
	v_mul_lo_u32 v15, v14, s26
	s_delay_alu instid0(VALU_DEP_1) | instskip(NEXT) | instid1(VALU_DEP_1)
	v_ashrrev_i32_e32 v16, 31, v15
	v_lshlrev_b64_e32 v[15:16], 3, v[15:16]
	s_delay_alu instid0(VALU_DEP_1) | instskip(SKIP_1) | instid1(VALU_DEP_2)
	v_add_co_u32 v15, vcc_lo, v19, v15
	s_wait_alu 0xfffd
	v_add_co_ci_u32_e64 v16, null, v20, v16, vcc_lo
	s_and_not1_b32 vcc_lo, exec_lo, s10
	global_load_b64 v[16:17], v[15:16], off
	s_wait_alu 0xfffe
	s_cbranch_vccnz .LBB81_11
; %bb.16:                               ;   in Loop: Header=BB81_12 Depth=1
	v_ashrrev_i32_e32 v15, 31, v14
	s_delay_alu instid0(VALU_DEP_1) | instskip(NEXT) | instid1(VALU_DEP_1)
	v_lshlrev_b64_e32 v[14:15], 2, v[14:15]
	v_add_co_u32 v14, vcc_lo, s4, v14
	s_wait_alu 0xfffd
	s_delay_alu instid0(VALU_DEP_2) | instskip(SKIP_3) | instid1(VALU_DEP_1)
	v_add_co_ci_u32_e64 v15, null, s5, v15, vcc_lo
	global_load_b32 v3, v[14:15], off
	s_wait_loadcnt 0x0
	v_cvt_f64_i32_e32 v[14:15], v3
	v_div_scale_f64 v[21:22], null, v[14:15], v[14:15], v[16:17]
	s_delay_alu instid0(VALU_DEP_1) | instskip(NEXT) | instid1(TRANS32_DEP_1)
	v_rcp_f64_e32 v[23:24], v[21:22]
	v_fma_f64 v[25:26], -v[21:22], v[23:24], 1.0
	s_delay_alu instid0(VALU_DEP_1) | instskip(NEXT) | instid1(VALU_DEP_1)
	v_fma_f64 v[23:24], v[23:24], v[25:26], v[23:24]
	v_fma_f64 v[25:26], -v[21:22], v[23:24], 1.0
	s_delay_alu instid0(VALU_DEP_1) | instskip(SKIP_1) | instid1(VALU_DEP_1)
	v_fma_f64 v[23:24], v[23:24], v[25:26], v[23:24]
	v_div_scale_f64 v[25:26], vcc_lo, v[16:17], v[14:15], v[16:17]
	v_mul_f64_e32 v[27:28], v[25:26], v[23:24]
	s_delay_alu instid0(VALU_DEP_1) | instskip(SKIP_1) | instid1(VALU_DEP_1)
	v_fma_f64 v[21:22], -v[21:22], v[27:28], v[25:26]
	s_wait_alu 0xfffd
	v_div_fmas_f64 v[21:22], v[21:22], v[23:24], v[27:28]
	s_delay_alu instid0(VALU_DEP_1)
	v_div_fixup_f64 v[16:17], v[21:22], v[14:15], v[16:17]
	s_branch .LBB81_11
.LBB81_17:                              ;   in Loop: Header=BB81_12 Depth=1
	v_mov_b32_e32 v12, 0
	v_mov_b32_e32 v13, 0x3ff00000
	s_and_not1_b32 vcc_lo, exec_lo, s3
	s_wait_alu 0xfffe
	s_cbranch_vccz .LBB81_14
	s_branch .LBB81_15
.LBB81_18:
	s_or_b32 exec_lo, exec_lo, s11
.LBB81_19:
	s_wait_alu 0xfffe
	s_or_b32 exec_lo, exec_lo, s2
	v_mul_lo_u32 v2, v1, s26
	v_mul_lo_u32 v3, v0, s27
	v_mad_co_u64_u32 v[0:1], null, v0, s26, 0
	s_delay_alu instid0(VALU_DEP_1) | instskip(NEXT) | instid1(VALU_DEP_1)
	v_add3_u32 v1, v1, v3, v2
	v_lshlrev_b64_e32 v[0:1], 3, v[0:1]
	s_delay_alu instid0(VALU_DEP_1) | instskip(SKIP_1) | instid1(VALU_DEP_2)
	v_add_co_u32 v0, vcc_lo, s22, v0
	s_wait_alu 0xfffd
	v_add_co_ci_u32_e64 v1, null, s23, v1, vcc_lo
	s_delay_alu instid0(VALU_DEP_2) | instskip(SKIP_1) | instid1(VALU_DEP_2)
	v_add_co_u32 v0, vcc_lo, v0, v4
	s_wait_alu 0xfffd
	v_add_co_ci_u32_e64 v1, null, v1, v5, vcc_lo
	global_store_b64 v[0:1], v[6:7], off
.LBB81_20:
	s_endpgm
	.section	.rodata,"a",@progbits
	.p2align	6, 0x0
	.amdhsa_kernel _ZN2at6native12_GLOBAL__N_124compute_grad_weight_bagsIdiEEvPKT0_PKT_S5_S5_lliS5_S8_lS5_PKlPNS_14AccumulateTypeIS6_Lb1EE4typeEl
		.amdhsa_group_segment_fixed_size 0
		.amdhsa_private_segment_fixed_size 0
		.amdhsa_kernarg_size 368
		.amdhsa_user_sgpr_count 2
		.amdhsa_user_sgpr_dispatch_ptr 0
		.amdhsa_user_sgpr_queue_ptr 0
		.amdhsa_user_sgpr_kernarg_segment_ptr 1
		.amdhsa_user_sgpr_dispatch_id 0
		.amdhsa_user_sgpr_private_segment_size 0
		.amdhsa_wavefront_size32 1
		.amdhsa_uses_dynamic_stack 0
		.amdhsa_enable_private_segment 0
		.amdhsa_system_sgpr_workgroup_id_x 1
		.amdhsa_system_sgpr_workgroup_id_y 0
		.amdhsa_system_sgpr_workgroup_id_z 0
		.amdhsa_system_sgpr_workgroup_info 0
		.amdhsa_system_vgpr_workitem_id 0
		.amdhsa_next_free_vgpr 29
		.amdhsa_next_free_sgpr 28
		.amdhsa_reserve_vcc 1
		.amdhsa_float_round_mode_32 0
		.amdhsa_float_round_mode_16_64 0
		.amdhsa_float_denorm_mode_32 3
		.amdhsa_float_denorm_mode_16_64 3
		.amdhsa_fp16_overflow 0
		.amdhsa_workgroup_processor_mode 1
		.amdhsa_memory_ordered 1
		.amdhsa_forward_progress 1
		.amdhsa_inst_pref_size 17
		.amdhsa_round_robin_scheduling 0
		.amdhsa_exception_fp_ieee_invalid_op 0
		.amdhsa_exception_fp_denorm_src 0
		.amdhsa_exception_fp_ieee_div_zero 0
		.amdhsa_exception_fp_ieee_overflow 0
		.amdhsa_exception_fp_ieee_underflow 0
		.amdhsa_exception_fp_ieee_inexact 0
		.amdhsa_exception_int_div_zero 0
	.end_amdhsa_kernel
	.section	.text._ZN2at6native12_GLOBAL__N_124compute_grad_weight_bagsIdiEEvPKT0_PKT_S5_S5_lliS5_S8_lS5_PKlPNS_14AccumulateTypeIS6_Lb1EE4typeEl,"axG",@progbits,_ZN2at6native12_GLOBAL__N_124compute_grad_weight_bagsIdiEEvPKT0_PKT_S5_S5_lliS5_S8_lS5_PKlPNS_14AccumulateTypeIS6_Lb1EE4typeEl,comdat
.Lfunc_end81:
	.size	_ZN2at6native12_GLOBAL__N_124compute_grad_weight_bagsIdiEEvPKT0_PKT_S5_S5_lliS5_S8_lS5_PKlPNS_14AccumulateTypeIS6_Lb1EE4typeEl, .Lfunc_end81-_ZN2at6native12_GLOBAL__N_124compute_grad_weight_bagsIdiEEvPKT0_PKT_S5_S5_lliS5_S8_lS5_PKlPNS_14AccumulateTypeIS6_Lb1EE4typeEl
                                        ; -- End function
	.set _ZN2at6native12_GLOBAL__N_124compute_grad_weight_bagsIdiEEvPKT0_PKT_S5_S5_lliS5_S8_lS5_PKlPNS_14AccumulateTypeIS6_Lb1EE4typeEl.num_vgpr, 29
	.set _ZN2at6native12_GLOBAL__N_124compute_grad_weight_bagsIdiEEvPKT0_PKT_S5_S5_lliS5_S8_lS5_PKlPNS_14AccumulateTypeIS6_Lb1EE4typeEl.num_agpr, 0
	.set _ZN2at6native12_GLOBAL__N_124compute_grad_weight_bagsIdiEEvPKT0_PKT_S5_S5_lliS5_S8_lS5_PKlPNS_14AccumulateTypeIS6_Lb1EE4typeEl.numbered_sgpr, 28
	.set _ZN2at6native12_GLOBAL__N_124compute_grad_weight_bagsIdiEEvPKT0_PKT_S5_S5_lliS5_S8_lS5_PKlPNS_14AccumulateTypeIS6_Lb1EE4typeEl.num_named_barrier, 0
	.set _ZN2at6native12_GLOBAL__N_124compute_grad_weight_bagsIdiEEvPKT0_PKT_S5_S5_lliS5_S8_lS5_PKlPNS_14AccumulateTypeIS6_Lb1EE4typeEl.private_seg_size, 0
	.set _ZN2at6native12_GLOBAL__N_124compute_grad_weight_bagsIdiEEvPKT0_PKT_S5_S5_lliS5_S8_lS5_PKlPNS_14AccumulateTypeIS6_Lb1EE4typeEl.uses_vcc, 1
	.set _ZN2at6native12_GLOBAL__N_124compute_grad_weight_bagsIdiEEvPKT0_PKT_S5_S5_lliS5_S8_lS5_PKlPNS_14AccumulateTypeIS6_Lb1EE4typeEl.uses_flat_scratch, 0
	.set _ZN2at6native12_GLOBAL__N_124compute_grad_weight_bagsIdiEEvPKT0_PKT_S5_S5_lliS5_S8_lS5_PKlPNS_14AccumulateTypeIS6_Lb1EE4typeEl.has_dyn_sized_stack, 0
	.set _ZN2at6native12_GLOBAL__N_124compute_grad_weight_bagsIdiEEvPKT0_PKT_S5_S5_lliS5_S8_lS5_PKlPNS_14AccumulateTypeIS6_Lb1EE4typeEl.has_recursion, 0
	.set _ZN2at6native12_GLOBAL__N_124compute_grad_weight_bagsIdiEEvPKT0_PKT_S5_S5_lliS5_S8_lS5_PKlPNS_14AccumulateTypeIS6_Lb1EE4typeEl.has_indirect_call, 0
	.section	.AMDGPU.csdata,"",@progbits
; Kernel info:
; codeLenInByte = 2144
; TotalNumSgprs: 30
; NumVgprs: 29
; ScratchSize: 0
; MemoryBound: 0
; FloatMode: 240
; IeeeMode: 1
; LDSByteSize: 0 bytes/workgroup (compile time only)
; SGPRBlocks: 0
; VGPRBlocks: 3
; NumSGPRsForWavesPerEU: 30
; NumVGPRsForWavesPerEU: 29
; Occupancy: 16
; WaveLimiterHint : 1
; COMPUTE_PGM_RSRC2:SCRATCH_EN: 0
; COMPUTE_PGM_RSRC2:USER_SGPR: 2
; COMPUTE_PGM_RSRC2:TRAP_HANDLER: 0
; COMPUTE_PGM_RSRC2:TGID_X_EN: 1
; COMPUTE_PGM_RSRC2:TGID_Y_EN: 0
; COMPUTE_PGM_RSRC2:TGID_Z_EN: 0
; COMPUTE_PGM_RSRC2:TIDIG_COMP_CNT: 0
	.section	.text._ZN2at6native12_GLOBAL__N_119compute_grad_weightIdiEEvPKT0_PKT_S5_llS5_PKlPNS_14AccumulateTypeIS6_Lb1EE4typeEl,"axG",@progbits,_ZN2at6native12_GLOBAL__N_119compute_grad_weightIdiEEvPKT0_PKT_S5_llS5_PKlPNS_14AccumulateTypeIS6_Lb1EE4typeEl,comdat
	.globl	_ZN2at6native12_GLOBAL__N_119compute_grad_weightIdiEEvPKT0_PKT_S5_llS5_PKlPNS_14AccumulateTypeIS6_Lb1EE4typeEl ; -- Begin function _ZN2at6native12_GLOBAL__N_119compute_grad_weightIdiEEvPKT0_PKT_S5_llS5_PKlPNS_14AccumulateTypeIS6_Lb1EE4typeEl
	.p2align	8
	.type	_ZN2at6native12_GLOBAL__N_119compute_grad_weightIdiEEvPKT0_PKT_S5_llS5_PKlPNS_14AccumulateTypeIS6_Lb1EE4typeEl,@function
_ZN2at6native12_GLOBAL__N_119compute_grad_weightIdiEEvPKT0_PKT_S5_llS5_PKlPNS_14AccumulateTypeIS6_Lb1EE4typeEl: ; @_ZN2at6native12_GLOBAL__N_119compute_grad_weightIdiEEvPKT0_PKT_S5_llS5_PKlPNS_14AccumulateTypeIS6_Lb1EE4typeEl
; %bb.0:
	s_clause 0x2
	s_load_b32 s20, s[0:1], 0x54
	s_load_b64 s[2:3], s[0:1], 0x40
	s_load_b512 s[4:19], s[0:1], 0x0
	v_mov_b32_e32 v1, 0
	s_delay_alu instid0(VALU_DEP_1) | instskip(SKIP_2) | instid1(SALU_CYCLE_1)
	v_mov_b32_e32 v4, v1
	s_wait_kmcnt 0x0
	s_and_b32 s0, s20, 0xffff
	v_mad_co_u64_u32 v[2:3], null, s0, ttmp9, v[0:1]
                                        ; implicit-def: $vgpr0_vgpr1
	s_mov_b32 s0, exec_lo
	v_or_b32_e32 v5, s3, v3
	s_delay_alu instid0(VALU_DEP_1)
	v_cmpx_ne_u64_e32 0, v[4:5]
	s_wait_alu 0xfffe
	s_xor_b32 s1, exec_lo, s0
	s_cbranch_execz .LBB82_2
; %bb.1:
	s_ashr_i32 s20, s3, 31
	s_mov_b32 s31, 0
	s_mov_b32 s21, s20
	v_ashrrev_i32_e32 v8, 31, v3
	s_add_nc_u64 s[22:23], s[2:3], s[20:21]
	s_delay_alu instid0(SALU_CYCLE_1) | instskip(NEXT) | instid1(VALU_DEP_1)
	s_xor_b64 s[22:23], s[22:23], s[20:21]
	v_add_co_u32 v0, vcc_lo, v2, v8
	s_cvt_f32_u32 s0, s22
	s_cvt_f32_u32 s11, s23
	s_sub_nc_u64 s[26:27], 0, s[22:23]
	v_add_co_ci_u32_e64 v1, null, v3, v8, vcc_lo
	s_wait_alu 0xfffe
	s_fmamk_f32 s0, s11, 0x4f800000, s0
	v_xor_b32_e32 v9, v0, v8
	s_delay_alu instid0(VALU_DEP_2) | instskip(SKIP_2) | instid1(TRANS32_DEP_1)
	v_xor_b32_e32 v10, v1, v8
	s_wait_alu 0xfffe
	v_s_rcp_f32 s0, s0
	s_mul_f32 s0, s0, 0x5f7ffffc
	s_wait_alu 0xfffe
	s_delay_alu instid0(SALU_CYCLE_2) | instskip(NEXT) | instid1(SALU_CYCLE_3)
	s_mul_f32 s11, s0, 0x2f800000
	s_trunc_f32 s11, s11
	s_delay_alu instid0(SALU_CYCLE_3) | instskip(SKIP_2) | instid1(SALU_CYCLE_1)
	s_fmamk_f32 s0, s11, 0xcf800000, s0
	s_cvt_u32_f32 s25, s11
	s_wait_alu 0xfffe
	s_cvt_u32_f32 s24, s0
	s_delay_alu instid0(SALU_CYCLE_3) | instskip(NEXT) | instid1(SALU_CYCLE_1)
	s_mul_u64 s[28:29], s[26:27], s[24:25]
	s_mul_hi_u32 s35, s24, s29
	s_mul_i32 s34, s24, s29
	s_mul_hi_u32 s30, s24, s28
	s_mul_i32 s11, s25, s28
	s_add_nc_u64 s[34:35], s[30:31], s[34:35]
	s_mul_hi_u32 s0, s25, s28
	s_mul_hi_u32 s21, s25, s29
	s_add_co_u32 s11, s34, s11
	s_wait_alu 0xfffe
	s_add_co_ci_u32 s30, s35, s0
	s_mul_i32 s28, s25, s29
	s_add_co_ci_u32 s29, s21, 0
	s_delay_alu instid0(SALU_CYCLE_1) | instskip(NEXT) | instid1(SALU_CYCLE_1)
	s_add_nc_u64 s[28:29], s[30:31], s[28:29]
	s_add_co_u32 s24, s24, s28
	s_cselect_b32 s0, -1, 0
	s_wait_alu 0xfffe
	s_cmp_lg_u32 s0, 0
	s_add_co_ci_u32 s25, s25, s29
	s_delay_alu instid0(SALU_CYCLE_1) | instskip(NEXT) | instid1(SALU_CYCLE_1)
	s_mul_u64 s[26:27], s[26:27], s[24:25]
	s_mul_hi_u32 s29, s24, s27
	s_mul_i32 s28, s24, s27
	s_mul_hi_u32 s30, s24, s26
	s_mul_i32 s11, s25, s26
	s_add_nc_u64 s[28:29], s[30:31], s[28:29]
	s_mul_hi_u32 s0, s25, s26
	s_mul_hi_u32 s21, s25, s27
	s_add_co_u32 s11, s28, s11
	s_wait_alu 0xfffe
	s_add_co_ci_u32 s30, s29, s0
	s_mul_i32 s26, s25, s27
	s_add_co_ci_u32 s27, s21, 0
	s_delay_alu instid0(SALU_CYCLE_1) | instskip(NEXT) | instid1(SALU_CYCLE_1)
	s_add_nc_u64 s[26:27], s[30:31], s[26:27]
	s_add_co_u32 s0, s24, s26
	s_cselect_b32 s11, -1, 0
	s_wait_alu 0xfffe
	v_mul_hi_u32 v11, v9, s0
	s_cmp_lg_u32 s11, 0
	v_mad_co_u64_u32 v[4:5], null, v10, s0, 0
	s_add_co_ci_u32 s11, s25, s27
	s_delay_alu instid0(SALU_CYCLE_1) | instskip(SKIP_1) | instid1(VALU_DEP_2)
	v_mad_co_u64_u32 v[0:1], null, v9, s11, 0
	v_mad_co_u64_u32 v[6:7], null, v10, s11, 0
	v_add_co_u32 v0, vcc_lo, v11, v0
	s_wait_alu 0xfffd
	s_delay_alu instid0(VALU_DEP_3) | instskip(NEXT) | instid1(VALU_DEP_2)
	v_add_co_ci_u32_e64 v1, null, 0, v1, vcc_lo
	v_add_co_u32 v0, vcc_lo, v0, v4
	s_wait_alu 0xfffd
	s_delay_alu instid0(VALU_DEP_2) | instskip(SKIP_2) | instid1(VALU_DEP_2)
	v_add_co_ci_u32_e32 v0, vcc_lo, v1, v5, vcc_lo
	s_wait_alu 0xfffd
	v_add_co_ci_u32_e32 v1, vcc_lo, 0, v7, vcc_lo
	v_add_co_u32 v4, vcc_lo, v0, v6
	s_wait_alu 0xfffd
	s_delay_alu instid0(VALU_DEP_2) | instskip(NEXT) | instid1(VALU_DEP_2)
	v_add_co_ci_u32_e64 v5, null, 0, v1, vcc_lo
	v_mul_lo_u32 v6, s23, v4
	v_mad_co_u64_u32 v[0:1], null, s22, v4, 0
	s_delay_alu instid0(VALU_DEP_3) | instskip(NEXT) | instid1(VALU_DEP_2)
	v_mul_lo_u32 v7, s22, v5
	v_sub_co_u32 v0, vcc_lo, v9, v0
	s_delay_alu instid0(VALU_DEP_2) | instskip(SKIP_3) | instid1(VALU_DEP_3)
	v_add3_u32 v1, v1, v7, v6
	v_add_co_u32 v7, s0, v4, 2
	s_wait_alu 0xf1ff
	v_add_co_ci_u32_e64 v9, null, 0, v5, s0
	v_sub_nc_u32_e32 v6, v10, v1
	v_sub_co_u32 v11, s0, v0, s22
	s_wait_alu 0xfffd
	v_sub_co_ci_u32_e64 v1, null, v10, v1, vcc_lo
	s_delay_alu instid0(VALU_DEP_3) | instskip(NEXT) | instid1(VALU_DEP_3)
	v_subrev_co_ci_u32_e64 v6, null, s23, v6, vcc_lo
	v_cmp_le_u32_e32 vcc_lo, s22, v11
	s_wait_alu 0xf1ff
	s_delay_alu instid0(VALU_DEP_2) | instskip(SKIP_2) | instid1(VALU_DEP_2)
	v_subrev_co_ci_u32_e64 v6, null, 0, v6, s0
	s_wait_alu 0xfffd
	v_cndmask_b32_e64 v10, 0, -1, vcc_lo
	v_cmp_le_u32_e32 vcc_lo, s23, v6
	s_wait_alu 0xfffd
	v_cndmask_b32_e64 v11, 0, -1, vcc_lo
	v_cmp_le_u32_e32 vcc_lo, s22, v0
	;; [unrolled: 3-line block ×3, first 2 shown]
	s_wait_alu 0xfffd
	v_cndmask_b32_e64 v12, 0, -1, vcc_lo
	v_cmp_eq_u32_e32 vcc_lo, s23, v6
	s_wait_alu 0xfffd
	v_cndmask_b32_e32 v6, v11, v10, vcc_lo
	v_add_co_u32 v10, vcc_lo, v4, 1
	s_wait_alu 0xfffd
	v_add_co_ci_u32_e64 v11, null, 0, v5, vcc_lo
	v_cmp_eq_u32_e32 vcc_lo, s23, v1
	s_wait_alu 0xfffd
	v_cndmask_b32_e32 v0, v12, v0, vcc_lo
	v_cmp_ne_u32_e32 vcc_lo, 0, v6
	v_xor_b32_e32 v6, s20, v8
	s_wait_alu 0xfffd
	v_cndmask_b32_e32 v1, v11, v9, vcc_lo
	v_cmp_ne_u32_e64 s0, 0, v0
	v_cndmask_b32_e32 v0, v10, v7, vcc_lo
	s_wait_alu 0xf1ff
	s_delay_alu instid0(VALU_DEP_2) | instskip(NEXT) | instid1(VALU_DEP_2)
	v_cndmask_b32_e64 v1, v5, v1, s0
	v_cndmask_b32_e64 v0, v4, v0, s0
	s_delay_alu instid0(VALU_DEP_2) | instskip(NEXT) | instid1(VALU_DEP_2)
	v_xor_b32_e32 v1, v1, v6
	v_xor_b32_e32 v0, v0, v6
	s_delay_alu instid0(VALU_DEP_1) | instskip(SKIP_1) | instid1(VALU_DEP_3)
	v_sub_co_u32 v0, vcc_lo, v0, v6
	s_wait_alu 0xfffd
	v_sub_co_ci_u32_e64 v1, null, v1, v6, vcc_lo
.LBB82_2:
	s_wait_alu 0xfffe
	s_or_saveexec_b32 s0, s1
	s_load_b64 s[16:17], s[16:17], 0x0
	s_xor_b32 exec_lo, exec_lo, s0
	s_cbranch_execz .LBB82_4
; %bb.3:
	v_cvt_f32_u32_e32 v0, s2
	s_sub_co_i32 s1, 0, s2
	s_delay_alu instid0(VALU_DEP_1) | instskip(NEXT) | instid1(TRANS32_DEP_1)
	v_rcp_iflag_f32_e32 v0, v0
	v_mul_f32_e32 v0, 0x4f7ffffe, v0
	s_delay_alu instid0(VALU_DEP_1) | instskip(SKIP_1) | instid1(VALU_DEP_1)
	v_cvt_u32_f32_e32 v0, v0
	s_wait_alu 0xfffe
	v_mul_lo_u32 v1, s1, v0
	s_delay_alu instid0(VALU_DEP_1) | instskip(NEXT) | instid1(VALU_DEP_1)
	v_mul_hi_u32 v1, v0, v1
	v_add_nc_u32_e32 v0, v0, v1
	s_delay_alu instid0(VALU_DEP_1) | instskip(NEXT) | instid1(VALU_DEP_1)
	v_mul_hi_u32 v0, v2, v0
	v_mul_lo_u32 v1, v0, s2
	v_add_nc_u32_e32 v4, 1, v0
	s_delay_alu instid0(VALU_DEP_2) | instskip(NEXT) | instid1(VALU_DEP_1)
	v_sub_nc_u32_e32 v1, v2, v1
	v_subrev_nc_u32_e32 v5, s2, v1
	v_cmp_le_u32_e32 vcc_lo, s2, v1
	s_wait_alu 0xfffd
	s_delay_alu instid0(VALU_DEP_2) | instskip(NEXT) | instid1(VALU_DEP_1)
	v_dual_cndmask_b32 v1, v1, v5 :: v_dual_cndmask_b32 v0, v0, v4
	v_cmp_le_u32_e32 vcc_lo, s2, v1
	s_delay_alu instid0(VALU_DEP_2) | instskip(SKIP_1) | instid1(VALU_DEP_1)
	v_dual_mov_b32 v1, 0 :: v_dual_add_nc_u32 v4, 1, v0
	s_wait_alu 0xfffd
	v_cndmask_b32_e32 v0, v0, v4, vcc_lo
.LBB82_4:
	s_or_b32 exec_lo, exec_lo, s0
	s_delay_alu instid0(VALU_DEP_2) | instskip(NEXT) | instid1(VALU_DEP_2)
	v_mul_lo_u32 v6, v1, s2
	v_mul_lo_u32 v7, v0, s3
	v_mad_co_u64_u32 v[4:5], null, v0, s2, 0
	s_wait_kmcnt 0x0
	v_cmp_gt_i64_e64 s0, s[16:17], v[0:1]
	s_delay_alu instid0(VALU_DEP_2) | instskip(NEXT) | instid1(VALU_DEP_3)
	v_add3_u32 v5, v5, v7, v6
	v_sub_co_u32 v4, vcc_lo, v2, v4
	s_wait_alu 0xfffd
	s_delay_alu instid0(VALU_DEP_2) | instskip(NEXT) | instid1(VALU_DEP_1)
	v_sub_co_ci_u32_e64 v5, null, v3, v5, vcc_lo
	v_cmp_gt_i64_e32 vcc_lo, s[12:13], v[4:5]
	s_and_b32 s0, vcc_lo, s0
	s_wait_alu 0xfffe
	s_and_saveexec_b32 s1, s0
	s_cbranch_execz .LBB82_17
; %bb.5:
	v_lshlrev_b64_e32 v[2:3], 2, v[0:1]
	s_add_nc_u64 s[0:1], s[16:17], -1
                                        ; implicit-def: $vgpr14
	s_delay_alu instid0(VALU_DEP_1) | instskip(SKIP_1) | instid1(VALU_DEP_2)
	v_add_co_u32 v6, vcc_lo, s14, v2
	s_wait_alu 0xfffd
	v_add_co_ci_u32_e64 v7, null, s15, v3, vcc_lo
	s_wait_alu 0xfffe
	v_cmp_ne_u64_e32 vcc_lo, s[0:1], v[0:1]
	global_load_b32 v2, v[6:7], off
	s_and_saveexec_b32 s0, vcc_lo
	s_wait_alu 0xfffe
	s_xor_b32 s0, exec_lo, s0
	s_cbranch_execz .LBB82_7
; %bb.6:
	global_load_b32 v14, v[6:7], off offset:4
.LBB82_7:
	s_wait_alu 0xfffe
	s_and_not1_saveexec_b32 s0, s0
	s_cbranch_execz .LBB82_9
; %bb.8:
	s_wait_loadcnt 0x0
	v_mov_b32_e32 v14, s10
.LBB82_9:
	s_wait_alu 0xfffe
	s_or_b32 exec_lo, exec_lo, s0
	v_mov_b32_e32 v6, 0
	v_lshlrev_b64_e32 v[4:5], 3, v[4:5]
	v_mov_b32_e32 v7, 0
	s_mov_b32 s1, exec_lo
	s_wait_loadcnt 0x0
	v_cmpx_lt_i32_e64 v2, v14
	s_cbranch_execz .LBB82_16
; %bb.10:
	v_ashrrev_i32_e32 v3, 31, v2
	s_cmp_lg_u64 s[8:9], 0
	s_mov_b32 s3, 0
	s_cselect_b32 s2, -1, 0
	s_delay_alu instid0(VALU_DEP_1) | instskip(SKIP_3) | instid1(VALU_DEP_3)
	v_lshlrev_b64_e32 v[6:7], 2, v[2:3]
	v_add_co_u32 v3, vcc_lo, s6, v4
	s_wait_alu 0xfffd
	v_add_co_ci_u32_e64 v15, null, s7, v5, vcc_lo
	v_add_co_u32 v8, vcc_lo, s4, v6
	s_wait_alu 0xfffd
	v_add_co_ci_u32_e64 v9, null, s5, v7, vcc_lo
	;; [unrolled: 3-line block ×3, first 2 shown]
	v_mov_b32_e32 v6, 0
	v_mov_b32_e32 v7, 0
	s_branch .LBB82_13
.LBB82_11:                              ;   in Loop: Header=BB82_13 Depth=1
	global_load_b32 v12, v[10:11], off
	s_wait_loadcnt 0x0
	v_cvt_f64_i32_e32 v[12:13], v12
	s_delay_alu instid0(VALU_DEP_1) | instskip(NEXT) | instid1(VALU_DEP_1)
	v_div_scale_f64 v[17:18], null, v[12:13], v[12:13], 1.0
	v_rcp_f64_e32 v[19:20], v[17:18]
	s_delay_alu instid0(TRANS32_DEP_1) | instskip(NEXT) | instid1(VALU_DEP_1)
	v_fma_f64 v[21:22], -v[17:18], v[19:20], 1.0
	v_fma_f64 v[19:20], v[19:20], v[21:22], v[19:20]
	s_delay_alu instid0(VALU_DEP_1) | instskip(NEXT) | instid1(VALU_DEP_1)
	v_fma_f64 v[21:22], -v[17:18], v[19:20], 1.0
	v_fma_f64 v[19:20], v[19:20], v[21:22], v[19:20]
	v_div_scale_f64 v[21:22], vcc_lo, 1.0, v[12:13], 1.0
	s_delay_alu instid0(VALU_DEP_1) | instskip(NEXT) | instid1(VALU_DEP_1)
	v_mul_f64_e32 v[23:24], v[21:22], v[19:20]
	v_fma_f64 v[17:18], -v[17:18], v[23:24], v[21:22]
	s_wait_alu 0xfffd
	s_delay_alu instid0(VALU_DEP_1) | instskip(NEXT) | instid1(VALU_DEP_1)
	v_div_fmas_f64 v[17:18], v[17:18], v[19:20], v[23:24]
	v_div_fixup_f64 v[12:13], v[17:18], v[12:13], 1.0
.LBB82_12:                              ;   in Loop: Header=BB82_13 Depth=1
	s_wait_loadcnt 0x0
	v_ashrrev_i32_e32 v18, 31, v16
	v_mul_lo_u32 v19, s13, v16
	v_mad_co_u64_u32 v[16:17], null, s12, v16, 0
	v_add_nc_u32_e32 v2, 1, v2
	s_delay_alu instid0(VALU_DEP_4) | instskip(SKIP_3) | instid1(VALU_DEP_3)
	v_mul_lo_u32 v18, s12, v18
	v_add_co_u32 v10, s0, v10, 4
	s_wait_alu 0xf1ff
	v_add_co_ci_u32_e64 v11, null, 0, v11, s0
	v_add3_u32 v17, v17, v18, v19
	s_delay_alu instid0(VALU_DEP_1) | instskip(NEXT) | instid1(VALU_DEP_1)
	v_lshlrev_b64_e32 v[16:17], 3, v[16:17]
	v_add_co_u32 v16, vcc_lo, v3, v16
	s_wait_alu 0xfffd
	s_delay_alu instid0(VALU_DEP_2)
	v_add_co_ci_u32_e64 v17, null, v15, v17, vcc_lo
	v_add_co_u32 v8, vcc_lo, v8, 4
	s_wait_alu 0xfffd
	v_add_co_ci_u32_e64 v9, null, 0, v9, vcc_lo
	global_load_b64 v[16:17], v[16:17], off
	v_cmp_ge_i32_e32 vcc_lo, v2, v14
	s_or_b32 s3, vcc_lo, s3
	s_wait_loadcnt 0x0
	v_fma_f64 v[6:7], v[12:13], v[16:17], v[6:7]
	s_wait_alu 0xfffe
	s_and_not1_b32 exec_lo, exec_lo, s3
	s_cbranch_execz .LBB82_15
.LBB82_13:                              ; =>This Inner Loop Header: Depth=1
	global_load_b32 v16, v[8:9], off
	s_wait_alu 0xfffe
	s_and_not1_b32 vcc_lo, exec_lo, s2
	s_wait_alu 0xfffe
	s_cbranch_vccz .LBB82_11
; %bb.14:                               ;   in Loop: Header=BB82_13 Depth=1
	v_mov_b32_e32 v12, 0
	v_mov_b32_e32 v13, 0x3ff00000
	s_branch .LBB82_12
.LBB82_15:
	s_or_b32 exec_lo, exec_lo, s3
.LBB82_16:
	s_wait_alu 0xfffe
	s_or_b32 exec_lo, exec_lo, s1
	v_mul_lo_u32 v2, v1, s12
	v_mul_lo_u32 v3, v0, s13
	v_mad_co_u64_u32 v[0:1], null, v0, s12, 0
	s_delay_alu instid0(VALU_DEP_1) | instskip(NEXT) | instid1(VALU_DEP_1)
	v_add3_u32 v1, v1, v3, v2
	v_lshlrev_b64_e32 v[0:1], 3, v[0:1]
	s_delay_alu instid0(VALU_DEP_1) | instskip(SKIP_1) | instid1(VALU_DEP_2)
	v_add_co_u32 v0, vcc_lo, s18, v0
	s_wait_alu 0xfffd
	v_add_co_ci_u32_e64 v1, null, s19, v1, vcc_lo
	s_delay_alu instid0(VALU_DEP_2) | instskip(SKIP_1) | instid1(VALU_DEP_2)
	v_add_co_u32 v0, vcc_lo, v0, v4
	s_wait_alu 0xfffd
	v_add_co_ci_u32_e64 v1, null, v1, v5, vcc_lo
	global_store_b64 v[0:1], v[6:7], off
.LBB82_17:
	s_endpgm
	.section	.rodata,"a",@progbits
	.p2align	6, 0x0
	.amdhsa_kernel _ZN2at6native12_GLOBAL__N_119compute_grad_weightIdiEEvPKT0_PKT_S5_llS5_PKlPNS_14AccumulateTypeIS6_Lb1EE4typeEl
		.amdhsa_group_segment_fixed_size 0
		.amdhsa_private_segment_fixed_size 0
		.amdhsa_kernarg_size 328
		.amdhsa_user_sgpr_count 2
		.amdhsa_user_sgpr_dispatch_ptr 0
		.amdhsa_user_sgpr_queue_ptr 0
		.amdhsa_user_sgpr_kernarg_segment_ptr 1
		.amdhsa_user_sgpr_dispatch_id 0
		.amdhsa_user_sgpr_private_segment_size 0
		.amdhsa_wavefront_size32 1
		.amdhsa_uses_dynamic_stack 0
		.amdhsa_enable_private_segment 0
		.amdhsa_system_sgpr_workgroup_id_x 1
		.amdhsa_system_sgpr_workgroup_id_y 0
		.amdhsa_system_sgpr_workgroup_id_z 0
		.amdhsa_system_sgpr_workgroup_info 0
		.amdhsa_system_vgpr_workitem_id 0
		.amdhsa_next_free_vgpr 25
		.amdhsa_next_free_sgpr 36
		.amdhsa_reserve_vcc 1
		.amdhsa_float_round_mode_32 0
		.amdhsa_float_round_mode_16_64 0
		.amdhsa_float_denorm_mode_32 3
		.amdhsa_float_denorm_mode_16_64 3
		.amdhsa_fp16_overflow 0
		.amdhsa_workgroup_processor_mode 1
		.amdhsa_memory_ordered 1
		.amdhsa_forward_progress 1
		.amdhsa_inst_pref_size 14
		.amdhsa_round_robin_scheduling 0
		.amdhsa_exception_fp_ieee_invalid_op 0
		.amdhsa_exception_fp_denorm_src 0
		.amdhsa_exception_fp_ieee_div_zero 0
		.amdhsa_exception_fp_ieee_overflow 0
		.amdhsa_exception_fp_ieee_underflow 0
		.amdhsa_exception_fp_ieee_inexact 0
		.amdhsa_exception_int_div_zero 0
	.end_amdhsa_kernel
	.section	.text._ZN2at6native12_GLOBAL__N_119compute_grad_weightIdiEEvPKT0_PKT_S5_llS5_PKlPNS_14AccumulateTypeIS6_Lb1EE4typeEl,"axG",@progbits,_ZN2at6native12_GLOBAL__N_119compute_grad_weightIdiEEvPKT0_PKT_S5_llS5_PKlPNS_14AccumulateTypeIS6_Lb1EE4typeEl,comdat
.Lfunc_end82:
	.size	_ZN2at6native12_GLOBAL__N_119compute_grad_weightIdiEEvPKT0_PKT_S5_llS5_PKlPNS_14AccumulateTypeIS6_Lb1EE4typeEl, .Lfunc_end82-_ZN2at6native12_GLOBAL__N_119compute_grad_weightIdiEEvPKT0_PKT_S5_llS5_PKlPNS_14AccumulateTypeIS6_Lb1EE4typeEl
                                        ; -- End function
	.set _ZN2at6native12_GLOBAL__N_119compute_grad_weightIdiEEvPKT0_PKT_S5_llS5_PKlPNS_14AccumulateTypeIS6_Lb1EE4typeEl.num_vgpr, 25
	.set _ZN2at6native12_GLOBAL__N_119compute_grad_weightIdiEEvPKT0_PKT_S5_llS5_PKlPNS_14AccumulateTypeIS6_Lb1EE4typeEl.num_agpr, 0
	.set _ZN2at6native12_GLOBAL__N_119compute_grad_weightIdiEEvPKT0_PKT_S5_llS5_PKlPNS_14AccumulateTypeIS6_Lb1EE4typeEl.numbered_sgpr, 36
	.set _ZN2at6native12_GLOBAL__N_119compute_grad_weightIdiEEvPKT0_PKT_S5_llS5_PKlPNS_14AccumulateTypeIS6_Lb1EE4typeEl.num_named_barrier, 0
	.set _ZN2at6native12_GLOBAL__N_119compute_grad_weightIdiEEvPKT0_PKT_S5_llS5_PKlPNS_14AccumulateTypeIS6_Lb1EE4typeEl.private_seg_size, 0
	.set _ZN2at6native12_GLOBAL__N_119compute_grad_weightIdiEEvPKT0_PKT_S5_llS5_PKlPNS_14AccumulateTypeIS6_Lb1EE4typeEl.uses_vcc, 1
	.set _ZN2at6native12_GLOBAL__N_119compute_grad_weightIdiEEvPKT0_PKT_S5_llS5_PKlPNS_14AccumulateTypeIS6_Lb1EE4typeEl.uses_flat_scratch, 0
	.set _ZN2at6native12_GLOBAL__N_119compute_grad_weightIdiEEvPKT0_PKT_S5_llS5_PKlPNS_14AccumulateTypeIS6_Lb1EE4typeEl.has_dyn_sized_stack, 0
	.set _ZN2at6native12_GLOBAL__N_119compute_grad_weightIdiEEvPKT0_PKT_S5_llS5_PKlPNS_14AccumulateTypeIS6_Lb1EE4typeEl.has_recursion, 0
	.set _ZN2at6native12_GLOBAL__N_119compute_grad_weightIdiEEvPKT0_PKT_S5_llS5_PKlPNS_14AccumulateTypeIS6_Lb1EE4typeEl.has_indirect_call, 0
	.section	.AMDGPU.csdata,"",@progbits
; Kernel info:
; codeLenInByte = 1776
; TotalNumSgprs: 38
; NumVgprs: 25
; ScratchSize: 0
; MemoryBound: 0
; FloatMode: 240
; IeeeMode: 1
; LDSByteSize: 0 bytes/workgroup (compile time only)
; SGPRBlocks: 0
; VGPRBlocks: 3
; NumSGPRsForWavesPerEU: 38
; NumVGPRsForWavesPerEU: 25
; Occupancy: 16
; WaveLimiterHint : 1
; COMPUTE_PGM_RSRC2:SCRATCH_EN: 0
; COMPUTE_PGM_RSRC2:USER_SGPR: 2
; COMPUTE_PGM_RSRC2:TRAP_HANDLER: 0
; COMPUTE_PGM_RSRC2:TGID_X_EN: 1
; COMPUTE_PGM_RSRC2:TGID_Y_EN: 0
; COMPUTE_PGM_RSRC2:TGID_Z_EN: 0
; COMPUTE_PGM_RSRC2:TIDIG_COMP_CNT: 0
	.section	.text._ZN2at6native12_GLOBAL__N_115sum_and_scatterIdiEEvPKT0_PT_lS5_PKlPKNS_14AccumulateTypeIS6_Lb1EE4typeES5_S9_ll,"axG",@progbits,_ZN2at6native12_GLOBAL__N_115sum_and_scatterIdiEEvPKT0_PT_lS5_PKlPKNS_14AccumulateTypeIS6_Lb1EE4typeES5_S9_ll,comdat
	.globl	_ZN2at6native12_GLOBAL__N_115sum_and_scatterIdiEEvPKT0_PT_lS5_PKlPKNS_14AccumulateTypeIS6_Lb1EE4typeES5_S9_ll ; -- Begin function _ZN2at6native12_GLOBAL__N_115sum_and_scatterIdiEEvPKT0_PT_lS5_PKlPKNS_14AccumulateTypeIS6_Lb1EE4typeES5_S9_ll
	.p2align	8
	.type	_ZN2at6native12_GLOBAL__N_115sum_and_scatterIdiEEvPKT0_PT_lS5_PKlPKNS_14AccumulateTypeIS6_Lb1EE4typeES5_S9_ll,@function
_ZN2at6native12_GLOBAL__N_115sum_and_scatterIdiEEvPKT0_PT_lS5_PKlPKNS_14AccumulateTypeIS6_Lb1EE4typeES5_S9_ll: ; @_ZN2at6native12_GLOBAL__N_115sum_and_scatterIdiEEvPKT0_PT_lS5_PKlPKNS_14AccumulateTypeIS6_Lb1EE4typeES5_S9_ll
; %bb.0:
	s_clause 0x2
	s_load_b32 s2, s[0:1], 0x5c
	s_load_b128 s[20:23], s[0:1], 0x40
	s_load_b512 s[4:19], s[0:1], 0x0
	v_mov_b32_e32 v1, 0
                                        ; implicit-def: $vgpr6_vgpr7
	s_delay_alu instid0(VALU_DEP_1) | instskip(SKIP_2) | instid1(SALU_CYCLE_1)
	v_mov_b32_e32 v4, v1
	s_wait_kmcnt 0x0
	s_and_b32 s0, s2, 0xffff
	v_mad_co_u64_u32 v[2:3], null, s0, ttmp9, v[0:1]
	s_mov_b32 s0, exec_lo
	v_or_b32_e32 v5, s23, v3
	s_delay_alu instid0(VALU_DEP_1)
	v_cmpx_ne_u64_e32 0, v[4:5]
	s_wait_alu 0xfffe
	s_xor_b32 s1, exec_lo, s0
	s_cbranch_execz .LBB83_2
; %bb.1:
	s_ashr_i32 s2, s23, 31
	s_mov_b32 s35, 0
	s_mov_b32 s3, s2
	v_ashrrev_i32_e32 v8, 31, v3
	s_add_nc_u64 s[24:25], s[22:23], s[2:3]
	s_delay_alu instid0(SALU_CYCLE_1) | instskip(NEXT) | instid1(VALU_DEP_1)
	s_xor_b64 s[24:25], s[24:25], s[2:3]
	v_add_co_u32 v0, vcc_lo, v2, v8
	s_cvt_f32_u32 s0, s24
	s_cvt_f32_u32 s3, s25
	s_sub_nc_u64 s[28:29], 0, s[24:25]
	v_add_co_ci_u32_e64 v1, null, v3, v8, vcc_lo
	s_wait_alu 0xfffe
	s_fmamk_f32 s0, s3, 0x4f800000, s0
	v_xor_b32_e32 v9, v0, v8
	s_delay_alu instid0(VALU_DEP_2) | instskip(SKIP_2) | instid1(TRANS32_DEP_1)
	v_xor_b32_e32 v10, v1, v8
	s_wait_alu 0xfffe
	v_s_rcp_f32 s0, s0
	s_mul_f32 s0, s0, 0x5f7ffffc
	s_wait_alu 0xfffe
	s_delay_alu instid0(SALU_CYCLE_2) | instskip(NEXT) | instid1(SALU_CYCLE_3)
	s_mul_f32 s3, s0, 0x2f800000
	s_trunc_f32 s3, s3
	s_delay_alu instid0(SALU_CYCLE_3) | instskip(SKIP_2) | instid1(SALU_CYCLE_1)
	s_fmamk_f32 s0, s3, 0xcf800000, s0
	s_cvt_u32_f32 s27, s3
	s_wait_alu 0xfffe
	s_cvt_u32_f32 s26, s0
	s_delay_alu instid0(SALU_CYCLE_3) | instskip(NEXT) | instid1(SALU_CYCLE_1)
	s_mul_u64 s[30:31], s[28:29], s[26:27]
	s_mul_hi_u32 s37, s26, s31
	s_mul_i32 s36, s26, s31
	s_mul_hi_u32 s34, s26, s30
	s_mul_i32 s3, s27, s30
	s_add_nc_u64 s[36:37], s[34:35], s[36:37]
	s_mul_hi_u32 s0, s27, s30
	s_mul_hi_u32 s33, s27, s31
	s_add_co_u32 s3, s36, s3
	s_wait_alu 0xfffe
	s_add_co_ci_u32 s34, s37, s0
	s_mul_i32 s30, s27, s31
	s_add_co_ci_u32 s31, s33, 0
	s_delay_alu instid0(SALU_CYCLE_1) | instskip(NEXT) | instid1(SALU_CYCLE_1)
	s_add_nc_u64 s[30:31], s[34:35], s[30:31]
	s_add_co_u32 s26, s26, s30
	s_cselect_b32 s0, -1, 0
	s_wait_alu 0xfffe
	s_cmp_lg_u32 s0, 0
	s_add_co_ci_u32 s27, s27, s31
	s_delay_alu instid0(SALU_CYCLE_1) | instskip(NEXT) | instid1(SALU_CYCLE_1)
	s_mul_u64 s[28:29], s[28:29], s[26:27]
	s_mul_hi_u32 s31, s26, s29
	s_mul_i32 s30, s26, s29
	s_mul_hi_u32 s34, s26, s28
	s_mul_i32 s3, s27, s28
	s_add_nc_u64 s[30:31], s[34:35], s[30:31]
	s_mul_hi_u32 s0, s27, s28
	s_mul_hi_u32 s33, s27, s29
	s_add_co_u32 s3, s30, s3
	s_wait_alu 0xfffe
	s_add_co_ci_u32 s34, s31, s0
	s_mul_i32 s28, s27, s29
	s_add_co_ci_u32 s29, s33, 0
	s_delay_alu instid0(SALU_CYCLE_1) | instskip(NEXT) | instid1(SALU_CYCLE_1)
	s_add_nc_u64 s[28:29], s[34:35], s[28:29]
	s_add_co_u32 s0, s26, s28
	s_cselect_b32 s3, -1, 0
	s_wait_alu 0xfffe
	v_mul_hi_u32 v11, v9, s0
	s_cmp_lg_u32 s3, 0
	v_mad_co_u64_u32 v[4:5], null, v10, s0, 0
	s_add_co_ci_u32 s3, s27, s29
	s_delay_alu instid0(SALU_CYCLE_1) | instskip(SKIP_1) | instid1(VALU_DEP_2)
	v_mad_co_u64_u32 v[0:1], null, v9, s3, 0
	v_mad_co_u64_u32 v[6:7], null, v10, s3, 0
	v_add_co_u32 v0, vcc_lo, v11, v0
	s_wait_alu 0xfffd
	s_delay_alu instid0(VALU_DEP_3) | instskip(NEXT) | instid1(VALU_DEP_2)
	v_add_co_ci_u32_e64 v1, null, 0, v1, vcc_lo
	v_add_co_u32 v0, vcc_lo, v0, v4
	s_wait_alu 0xfffd
	s_delay_alu instid0(VALU_DEP_2) | instskip(SKIP_2) | instid1(VALU_DEP_2)
	v_add_co_ci_u32_e32 v0, vcc_lo, v1, v5, vcc_lo
	s_wait_alu 0xfffd
	v_add_co_ci_u32_e32 v1, vcc_lo, 0, v7, vcc_lo
	v_add_co_u32 v4, vcc_lo, v0, v6
	s_wait_alu 0xfffd
	s_delay_alu instid0(VALU_DEP_2) | instskip(NEXT) | instid1(VALU_DEP_2)
	v_add_co_ci_u32_e64 v5, null, 0, v1, vcc_lo
	v_mul_lo_u32 v6, s25, v4
	v_mad_co_u64_u32 v[0:1], null, s24, v4, 0
	s_delay_alu instid0(VALU_DEP_3) | instskip(NEXT) | instid1(VALU_DEP_2)
	v_mul_lo_u32 v7, s24, v5
	v_sub_co_u32 v0, vcc_lo, v9, v0
	s_delay_alu instid0(VALU_DEP_2) | instskip(SKIP_3) | instid1(VALU_DEP_3)
	v_add3_u32 v1, v1, v7, v6
	v_add_co_u32 v7, s0, v4, 2
	s_wait_alu 0xf1ff
	v_add_co_ci_u32_e64 v9, null, 0, v5, s0
	v_sub_nc_u32_e32 v6, v10, v1
	v_sub_co_u32 v11, s0, v0, s24
	s_wait_alu 0xfffd
	v_sub_co_ci_u32_e64 v1, null, v10, v1, vcc_lo
	s_delay_alu instid0(VALU_DEP_3) | instskip(NEXT) | instid1(VALU_DEP_3)
	v_subrev_co_ci_u32_e64 v6, null, s25, v6, vcc_lo
	v_cmp_le_u32_e32 vcc_lo, s24, v11
	s_wait_alu 0xf1ff
	s_delay_alu instid0(VALU_DEP_2) | instskip(SKIP_2) | instid1(VALU_DEP_2)
	v_subrev_co_ci_u32_e64 v6, null, 0, v6, s0
	s_wait_alu 0xfffd
	v_cndmask_b32_e64 v10, 0, -1, vcc_lo
	v_cmp_le_u32_e32 vcc_lo, s25, v6
	s_wait_alu 0xfffd
	v_cndmask_b32_e64 v11, 0, -1, vcc_lo
	v_cmp_le_u32_e32 vcc_lo, s24, v0
	;; [unrolled: 3-line block ×3, first 2 shown]
	s_wait_alu 0xfffd
	v_cndmask_b32_e64 v12, 0, -1, vcc_lo
	v_cmp_eq_u32_e32 vcc_lo, s25, v6
	s_wait_alu 0xfffd
	v_cndmask_b32_e32 v6, v11, v10, vcc_lo
	v_add_co_u32 v10, vcc_lo, v4, 1
	s_wait_alu 0xfffd
	v_add_co_ci_u32_e64 v11, null, 0, v5, vcc_lo
	v_cmp_eq_u32_e32 vcc_lo, s25, v1
	s_wait_alu 0xfffd
	v_cndmask_b32_e32 v0, v12, v0, vcc_lo
	v_cmp_ne_u32_e32 vcc_lo, 0, v6
	s_wait_alu 0xfffd
	v_cndmask_b32_e32 v1, v11, v9, vcc_lo
	s_delay_alu instid0(VALU_DEP_3) | instskip(SKIP_3) | instid1(VALU_DEP_3)
	v_cmp_ne_u32_e64 s0, 0, v0
	v_cndmask_b32_e32 v0, v10, v7, vcc_lo
	v_xor_b32_e32 v7, s2, v8
	s_wait_alu 0xf1ff
	v_cndmask_b32_e64 v1, v5, v1, s0
	s_delay_alu instid0(VALU_DEP_3) | instskip(NEXT) | instid1(VALU_DEP_2)
	v_cndmask_b32_e64 v0, v4, v0, s0
	v_xor_b32_e32 v1, v1, v7
	s_delay_alu instid0(VALU_DEP_2) | instskip(NEXT) | instid1(VALU_DEP_1)
	v_xor_b32_e32 v0, v0, v7
	v_sub_co_u32 v6, vcc_lo, v0, v7
	s_wait_alu 0xfffd
	s_delay_alu instid0(VALU_DEP_3)
	v_sub_co_ci_u32_e64 v7, null, v1, v7, vcc_lo
.LBB83_2:
	s_wait_alu 0xfffe
	s_or_saveexec_b32 s0, s1
	s_load_b64 s[2:3], s[12:13], 0x0
	s_xor_b32 exec_lo, exec_lo, s0
	s_cbranch_execz .LBB83_4
; %bb.3:
	v_cvt_f32_u32_e32 v0, s22
	s_sub_co_i32 s1, 0, s22
	v_mov_b32_e32 v7, 0
	s_delay_alu instid0(VALU_DEP_2) | instskip(NEXT) | instid1(TRANS32_DEP_1)
	v_rcp_iflag_f32_e32 v0, v0
	v_mul_f32_e32 v0, 0x4f7ffffe, v0
	s_delay_alu instid0(VALU_DEP_1) | instskip(SKIP_1) | instid1(VALU_DEP_1)
	v_cvt_u32_f32_e32 v0, v0
	s_wait_alu 0xfffe
	v_mul_lo_u32 v1, s1, v0
	s_delay_alu instid0(VALU_DEP_1) | instskip(NEXT) | instid1(VALU_DEP_1)
	v_mul_hi_u32 v1, v0, v1
	v_add_nc_u32_e32 v0, v0, v1
	s_delay_alu instid0(VALU_DEP_1) | instskip(NEXT) | instid1(VALU_DEP_1)
	v_mul_hi_u32 v0, v2, v0
	v_mul_lo_u32 v1, v0, s22
	v_add_nc_u32_e32 v4, 1, v0
	s_delay_alu instid0(VALU_DEP_2) | instskip(NEXT) | instid1(VALU_DEP_1)
	v_sub_nc_u32_e32 v1, v2, v1
	v_subrev_nc_u32_e32 v5, s22, v1
	v_cmp_le_u32_e32 vcc_lo, s22, v1
	s_wait_alu 0xfffd
	s_delay_alu instid0(VALU_DEP_2) | instskip(NEXT) | instid1(VALU_DEP_1)
	v_dual_cndmask_b32 v1, v1, v5 :: v_dual_cndmask_b32 v0, v0, v4
	v_cmp_le_u32_e32 vcc_lo, s22, v1
	s_delay_alu instid0(VALU_DEP_2) | instskip(SKIP_1) | instid1(VALU_DEP_1)
	v_add_nc_u32_e32 v4, 1, v0
	s_wait_alu 0xfffd
	v_cndmask_b32_e32 v6, v0, v4, vcc_lo
.LBB83_4:
	s_or_b32 exec_lo, exec_lo, s0
	v_mul_lo_u32 v0, v7, s22
	s_delay_alu instid0(VALU_DEP_2) | instskip(SKIP_3) | instid1(VALU_DEP_2)
	v_mul_lo_u32 v1, v6, s23
	v_mad_co_u64_u32 v[8:9], null, v6, s22, 0
	s_wait_kmcnt 0x0
	v_cmp_gt_i64_e64 s0, s[2:3], v[6:7]
	v_add3_u32 v9, v9, v1, v0
	s_delay_alu instid0(VALU_DEP_3) | instskip(SKIP_1) | instid1(VALU_DEP_2)
	v_sub_co_u32 v0, vcc_lo, v2, v8
	s_wait_alu 0xfffd
	v_sub_co_ci_u32_e64 v1, null, v3, v9, vcc_lo
	s_delay_alu instid0(VALU_DEP_1)
	v_cmp_gt_i64_e32 vcc_lo, s[8:9], v[0:1]
	s_and_b32 s0, vcc_lo, s0
	s_wait_alu 0xfffe
	s_and_saveexec_b32 s1, s0
	s_cbranch_execz .LBB83_13
; %bb.5:
	v_lshlrev_b64_e32 v[4:5], 2, v[6:7]
	s_load_b64 s[0:1], s[18:19], 0x0
	s_add_nc_u64 s[2:3], s[2:3], -1
	s_delay_alu instid0(VALU_DEP_1) | instskip(SKIP_1) | instid1(VALU_DEP_2)
	v_add_co_u32 v10, vcc_lo, s16, v4
	s_wait_alu 0xfffd
	v_add_co_ci_u32_e64 v11, null, s17, v5, vcc_lo
	global_load_b32 v12, v[10:11], off
	s_wait_kmcnt 0x0
	v_mov_b32_e32 v13, s0
	s_mov_b32 s0, exec_lo
	s_wait_alu 0xfffe
	v_cmpx_ne_u64_e64 s[2:3], v[6:7]
	s_xor_b32 s0, exec_lo, s0
	s_cbranch_execz .LBB83_7
; %bb.6:
	global_load_b32 v13, v[10:11], off offset:4
.LBB83_7:
	s_wait_alu 0xfffe
	s_and_not1_saveexec_b32 s0, s0
	s_wait_alu 0xfffe
	s_or_b32 exec_lo, exec_lo, s0
	v_mov_b32_e32 v6, 0
	v_mov_b32_e32 v7, 0
	s_mov_b32 s1, exec_lo
	s_wait_loadcnt 0x0
	v_cmpx_lt_i32_e64 v12, v13
	s_cbranch_execz .LBB83_11
; %bb.8:
	v_ashrrev_i32_e32 v10, 31, v12
	v_mul_lo_u32 v11, s9, v12
	v_mad_co_u64_u32 v[6:7], null, s8, v12, 0
	v_lshlrev_b64_e32 v[2:3], 3, v[2:3]
	s_delay_alu instid0(VALU_DEP_4) | instskip(SKIP_3) | instid1(VALU_DEP_2)
	v_mul_lo_u32 v10, s8, v10
	v_lshlrev_b64_e32 v[8:9], 3, v[8:9]
	s_lshl_b64 s[2:3], s[8:9], 3
	s_mov_b32 s12, 0
	v_add3_u32 v7, v7, v10, v11
	s_delay_alu instid0(VALU_DEP_1) | instskip(NEXT) | instid1(VALU_DEP_1)
	v_lshlrev_b64_e32 v[6:7], 3, v[6:7]
	v_add_co_u32 v2, vcc_lo, v6, v2
	s_wait_alu 0xfffd
	s_delay_alu instid0(VALU_DEP_2) | instskip(SKIP_1) | instid1(VALU_DEP_3)
	v_add_co_ci_u32_e64 v3, null, v7, v3, vcc_lo
	v_mov_b32_e32 v6, 0
	v_sub_co_u32 v2, vcc_lo, v2, v8
	s_wait_alu 0xfffd
	s_delay_alu instid0(VALU_DEP_3) | instskip(SKIP_1) | instid1(VALU_DEP_3)
	v_sub_co_ci_u32_e64 v3, null, v3, v9, vcc_lo
	v_mov_b32_e32 v7, 0
	v_add_co_u32 v2, vcc_lo, s14, v2
	s_wait_alu 0xfffd
	s_delay_alu instid0(VALU_DEP_3)
	v_add_co_ci_u32_e64 v3, null, s15, v3, vcc_lo
.LBB83_9:                               ; =>This Inner Loop Header: Depth=1
	global_load_b64 v[8:9], v[2:3], off
	v_add_nc_u32_e32 v12, 1, v12
	s_wait_alu 0xfffe
	v_add_co_u32 v2, s0, v2, s2
	s_wait_alu 0xf1ff
	v_add_co_ci_u32_e64 v3, null, s3, v3, s0
	v_cmp_ge_i32_e32 vcc_lo, v12, v13
	s_or_b32 s12, vcc_lo, s12
	s_wait_loadcnt 0x0
	v_add_f64_e32 v[6:7], v[6:7], v[8:9]
	s_and_not1_b32 exec_lo, exec_lo, s12
	s_cbranch_execnz .LBB83_9
; %bb.10:
	s_or_b32 exec_lo, exec_lo, s12
.LBB83_11:
	s_wait_alu 0xfffe
	s_or_b32 exec_lo, exec_lo, s1
	v_add_co_u32 v2, vcc_lo, s10, v4
	s_wait_alu 0xfffd
	v_add_co_ci_u32_e64 v3, null, s11, v5, vcc_lo
	global_load_b32 v2, v[2:3], off
	s_wait_loadcnt 0x0
	v_ashrrev_i32_e32 v3, 31, v2
	s_delay_alu instid0(VALU_DEP_1) | instskip(NEXT) | instid1(VALU_DEP_1)
	v_lshlrev_b64_e32 v[2:3], 2, v[2:3]
	v_add_co_u32 v2, vcc_lo, s4, v2
	s_wait_alu 0xfffd
	s_delay_alu instid0(VALU_DEP_2) | instskip(SKIP_3) | instid1(VALU_DEP_1)
	v_add_co_ci_u32_e64 v3, null, s5, v3, vcc_lo
	global_load_b32 v2, v[2:3], off
	s_wait_loadcnt 0x0
	v_ashrrev_i32_e32 v3, 31, v2
	v_cmp_ne_u64_e32 vcc_lo, s[20:21], v[2:3]
	s_and_b32 exec_lo, exec_lo, vcc_lo
	s_cbranch_execz .LBB83_13
; %bb.12:
	v_mul_lo_u32 v4, s9, v2
	v_mul_lo_u32 v5, s8, v3
	v_mad_co_u64_u32 v[2:3], null, s8, v2, 0
	v_lshlrev_b64_e32 v[0:1], 3, v[0:1]
	s_delay_alu instid0(VALU_DEP_2) | instskip(NEXT) | instid1(VALU_DEP_1)
	v_add3_u32 v3, v3, v5, v4
	v_lshlrev_b64_e32 v[2:3], 3, v[2:3]
	s_delay_alu instid0(VALU_DEP_1) | instskip(SKIP_1) | instid1(VALU_DEP_2)
	v_add_co_u32 v2, vcc_lo, s6, v2
	s_wait_alu 0xfffd
	v_add_co_ci_u32_e64 v3, null, s7, v3, vcc_lo
	s_delay_alu instid0(VALU_DEP_2) | instskip(SKIP_1) | instid1(VALU_DEP_2)
	v_add_co_u32 v0, vcc_lo, v2, v0
	s_wait_alu 0xfffd
	v_add_co_ci_u32_e64 v1, null, v3, v1, vcc_lo
	global_store_b64 v[0:1], v[6:7], off
.LBB83_13:
	s_endpgm
	.section	.rodata,"a",@progbits
	.p2align	6, 0x0
	.amdhsa_kernel _ZN2at6native12_GLOBAL__N_115sum_and_scatterIdiEEvPKT0_PT_lS5_PKlPKNS_14AccumulateTypeIS6_Lb1EE4typeES5_S9_ll
		.amdhsa_group_segment_fixed_size 0
		.amdhsa_private_segment_fixed_size 0
		.amdhsa_kernarg_size 336
		.amdhsa_user_sgpr_count 2
		.amdhsa_user_sgpr_dispatch_ptr 0
		.amdhsa_user_sgpr_queue_ptr 0
		.amdhsa_user_sgpr_kernarg_segment_ptr 1
		.amdhsa_user_sgpr_dispatch_id 0
		.amdhsa_user_sgpr_private_segment_size 0
		.amdhsa_wavefront_size32 1
		.amdhsa_uses_dynamic_stack 0
		.amdhsa_enable_private_segment 0
		.amdhsa_system_sgpr_workgroup_id_x 1
		.amdhsa_system_sgpr_workgroup_id_y 0
		.amdhsa_system_sgpr_workgroup_id_z 0
		.amdhsa_system_sgpr_workgroup_info 0
		.amdhsa_system_vgpr_workitem_id 0
		.amdhsa_next_free_vgpr 14
		.amdhsa_next_free_sgpr 38
		.amdhsa_reserve_vcc 1
		.amdhsa_float_round_mode_32 0
		.amdhsa_float_round_mode_16_64 0
		.amdhsa_float_denorm_mode_32 3
		.amdhsa_float_denorm_mode_16_64 3
		.amdhsa_fp16_overflow 0
		.amdhsa_workgroup_processor_mode 1
		.amdhsa_memory_ordered 1
		.amdhsa_forward_progress 1
		.amdhsa_inst_pref_size 14
		.amdhsa_round_robin_scheduling 0
		.amdhsa_exception_fp_ieee_invalid_op 0
		.amdhsa_exception_fp_denorm_src 0
		.amdhsa_exception_fp_ieee_div_zero 0
		.amdhsa_exception_fp_ieee_overflow 0
		.amdhsa_exception_fp_ieee_underflow 0
		.amdhsa_exception_fp_ieee_inexact 0
		.amdhsa_exception_int_div_zero 0
	.end_amdhsa_kernel
	.section	.text._ZN2at6native12_GLOBAL__N_115sum_and_scatterIdiEEvPKT0_PT_lS5_PKlPKNS_14AccumulateTypeIS6_Lb1EE4typeES5_S9_ll,"axG",@progbits,_ZN2at6native12_GLOBAL__N_115sum_and_scatterIdiEEvPKT0_PT_lS5_PKlPKNS_14AccumulateTypeIS6_Lb1EE4typeES5_S9_ll,comdat
.Lfunc_end83:
	.size	_ZN2at6native12_GLOBAL__N_115sum_and_scatterIdiEEvPKT0_PT_lS5_PKlPKNS_14AccumulateTypeIS6_Lb1EE4typeES5_S9_ll, .Lfunc_end83-_ZN2at6native12_GLOBAL__N_115sum_and_scatterIdiEEvPKT0_PT_lS5_PKlPKNS_14AccumulateTypeIS6_Lb1EE4typeES5_S9_ll
                                        ; -- End function
	.set _ZN2at6native12_GLOBAL__N_115sum_and_scatterIdiEEvPKT0_PT_lS5_PKlPKNS_14AccumulateTypeIS6_Lb1EE4typeES5_S9_ll.num_vgpr, 14
	.set _ZN2at6native12_GLOBAL__N_115sum_and_scatterIdiEEvPKT0_PT_lS5_PKlPKNS_14AccumulateTypeIS6_Lb1EE4typeES5_S9_ll.num_agpr, 0
	.set _ZN2at6native12_GLOBAL__N_115sum_and_scatterIdiEEvPKT0_PT_lS5_PKlPKNS_14AccumulateTypeIS6_Lb1EE4typeES5_S9_ll.numbered_sgpr, 38
	.set _ZN2at6native12_GLOBAL__N_115sum_and_scatterIdiEEvPKT0_PT_lS5_PKlPKNS_14AccumulateTypeIS6_Lb1EE4typeES5_S9_ll.num_named_barrier, 0
	.set _ZN2at6native12_GLOBAL__N_115sum_and_scatterIdiEEvPKT0_PT_lS5_PKlPKNS_14AccumulateTypeIS6_Lb1EE4typeES5_S9_ll.private_seg_size, 0
	.set _ZN2at6native12_GLOBAL__N_115sum_and_scatterIdiEEvPKT0_PT_lS5_PKlPKNS_14AccumulateTypeIS6_Lb1EE4typeES5_S9_ll.uses_vcc, 1
	.set _ZN2at6native12_GLOBAL__N_115sum_and_scatterIdiEEvPKT0_PT_lS5_PKlPKNS_14AccumulateTypeIS6_Lb1EE4typeES5_S9_ll.uses_flat_scratch, 0
	.set _ZN2at6native12_GLOBAL__N_115sum_and_scatterIdiEEvPKT0_PT_lS5_PKlPKNS_14AccumulateTypeIS6_Lb1EE4typeES5_S9_ll.has_dyn_sized_stack, 0
	.set _ZN2at6native12_GLOBAL__N_115sum_and_scatterIdiEEvPKT0_PT_lS5_PKlPKNS_14AccumulateTypeIS6_Lb1EE4typeES5_S9_ll.has_recursion, 0
	.set _ZN2at6native12_GLOBAL__N_115sum_and_scatterIdiEEvPKT0_PT_lS5_PKlPKNS_14AccumulateTypeIS6_Lb1EE4typeES5_S9_ll.has_indirect_call, 0
	.section	.AMDGPU.csdata,"",@progbits
; Kernel info:
; codeLenInByte = 1668
; TotalNumSgprs: 40
; NumVgprs: 14
; ScratchSize: 0
; MemoryBound: 0
; FloatMode: 240
; IeeeMode: 1
; LDSByteSize: 0 bytes/workgroup (compile time only)
; SGPRBlocks: 0
; VGPRBlocks: 1
; NumSGPRsForWavesPerEU: 40
; NumVGPRsForWavesPerEU: 14
; Occupancy: 16
; WaveLimiterHint : 1
; COMPUTE_PGM_RSRC2:SCRATCH_EN: 0
; COMPUTE_PGM_RSRC2:USER_SGPR: 2
; COMPUTE_PGM_RSRC2:TRAP_HANDLER: 0
; COMPUTE_PGM_RSRC2:TGID_X_EN: 1
; COMPUTE_PGM_RSRC2:TGID_Y_EN: 0
; COMPUTE_PGM_RSRC2:TGID_Z_EN: 0
; COMPUTE_PGM_RSRC2:TIDIG_COMP_CNT: 0
	.section	.text._ZN2at6native12_GLOBAL__N_137compute_grad_weight_atomic_accumulateIffiEEvPKT1_PKT_S5_llS5_PKlS5_S5_S5_PT0_ll,"axG",@progbits,_ZN2at6native12_GLOBAL__N_137compute_grad_weight_atomic_accumulateIffiEEvPKT1_PKT_S5_llS5_PKlS5_S5_S5_PT0_ll,comdat
	.globl	_ZN2at6native12_GLOBAL__N_137compute_grad_weight_atomic_accumulateIffiEEvPKT1_PKT_S5_llS5_PKlS5_S5_S5_PT0_ll ; -- Begin function _ZN2at6native12_GLOBAL__N_137compute_grad_weight_atomic_accumulateIffiEEvPKT1_PKT_S5_llS5_PKlS5_S5_S5_PT0_ll
	.p2align	8
	.type	_ZN2at6native12_GLOBAL__N_137compute_grad_weight_atomic_accumulateIffiEEvPKT1_PKT_S5_llS5_PKlS5_S5_S5_PT0_ll,@function
_ZN2at6native12_GLOBAL__N_137compute_grad_weight_atomic_accumulateIffiEEvPKT1_PKT_S5_llS5_PKlS5_S5_S5_PT0_ll: ; @_ZN2at6native12_GLOBAL__N_137compute_grad_weight_atomic_accumulateIffiEEvPKT1_PKT_S5_llS5_PKlS5_S5_S5_PT0_ll
; %bb.0:
	s_clause 0x1
	s_load_b32 s2, s[0:1], 0x74
	s_load_b64 s[20:21], s[0:1], 0x60
	v_mov_b32_e32 v2, 0
	s_wait_kmcnt 0x0
	s_and_b32 s2, s2, 0xffff
	s_delay_alu instid0(SALU_CYCLE_1) | instskip(NEXT) | instid1(VALU_DEP_1)
	v_mad_co_u64_u32 v[0:1], null, ttmp9, s2, v[0:1]
	v_ashrrev_i32_e32 v1, 31, v0
	s_delay_alu instid0(VALU_DEP_1) | instskip(NEXT) | instid1(VALU_DEP_1)
	v_or_b32_e32 v3, s21, v1
	v_cmp_ne_u64_e32 vcc_lo, 0, v[2:3]
                                        ; implicit-def: $vgpr2_vgpr3
	s_and_saveexec_b32 s2, vcc_lo
	s_wait_alu 0xfffe
	s_xor_b32 s3, exec_lo, s2
	s_cbranch_execz .LBB84_2
; %bb.1:
	s_ashr_i32 s4, s21, 31
	s_mov_b32 s15, 0
	s_mov_b32 s5, s4
	v_ashrrev_i32_e32 v8, 31, v1
	s_add_nc_u64 s[6:7], s[20:21], s[4:5]
	s_delay_alu instid0(SALU_CYCLE_1) | instskip(NEXT) | instid1(VALU_DEP_1)
	s_xor_b64 s[6:7], s[6:7], s[4:5]
	v_add_co_u32 v2, vcc_lo, v0, v8
	s_cvt_f32_u32 s2, s6
	s_cvt_f32_u32 s5, s7
	s_sub_nc_u64 s[10:11], 0, s[6:7]
	v_add_co_ci_u32_e64 v3, null, v1, v8, vcc_lo
	s_wait_alu 0xfffe
	s_fmamk_f32 s2, s5, 0x4f800000, s2
	v_xor_b32_e32 v9, v2, v8
	s_delay_alu instid0(VALU_DEP_2) | instskip(SKIP_2) | instid1(TRANS32_DEP_1)
	v_xor_b32_e32 v10, v3, v8
	s_wait_alu 0xfffe
	v_s_rcp_f32 s2, s2
	s_mul_f32 s2, s2, 0x5f7ffffc
	s_wait_alu 0xfffe
	s_delay_alu instid0(SALU_CYCLE_2) | instskip(NEXT) | instid1(SALU_CYCLE_3)
	s_mul_f32 s5, s2, 0x2f800000
	s_trunc_f32 s5, s5
	s_delay_alu instid0(SALU_CYCLE_3) | instskip(SKIP_2) | instid1(SALU_CYCLE_1)
	s_fmamk_f32 s2, s5, 0xcf800000, s2
	s_cvt_u32_f32 s9, s5
	s_wait_alu 0xfffe
	s_cvt_u32_f32 s8, s2
	s_delay_alu instid0(SALU_CYCLE_3) | instskip(NEXT) | instid1(SALU_CYCLE_1)
	s_mul_u64 s[12:13], s[10:11], s[8:9]
	s_mul_hi_u32 s17, s8, s13
	s_mul_i32 s16, s8, s13
	s_mul_hi_u32 s14, s8, s12
	s_mul_i32 s5, s9, s12
	s_add_nc_u64 s[16:17], s[14:15], s[16:17]
	s_mul_hi_u32 s2, s9, s12
	s_mul_hi_u32 s18, s9, s13
	s_add_co_u32 s5, s16, s5
	s_wait_alu 0xfffe
	s_add_co_ci_u32 s14, s17, s2
	s_mul_i32 s12, s9, s13
	s_add_co_ci_u32 s13, s18, 0
	s_delay_alu instid0(SALU_CYCLE_1) | instskip(NEXT) | instid1(SALU_CYCLE_1)
	s_add_nc_u64 s[12:13], s[14:15], s[12:13]
	s_add_co_u32 s8, s8, s12
	s_cselect_b32 s2, -1, 0
	s_wait_alu 0xfffe
	s_cmp_lg_u32 s2, 0
	s_add_co_ci_u32 s9, s9, s13
	s_delay_alu instid0(SALU_CYCLE_1) | instskip(NEXT) | instid1(SALU_CYCLE_1)
	s_mul_u64 s[10:11], s[10:11], s[8:9]
	s_mul_hi_u32 s13, s8, s11
	s_mul_i32 s12, s8, s11
	s_mul_hi_u32 s14, s8, s10
	s_mul_i32 s5, s9, s10
	s_add_nc_u64 s[12:13], s[14:15], s[12:13]
	s_mul_hi_u32 s2, s9, s10
	s_mul_hi_u32 s16, s9, s11
	s_add_co_u32 s5, s12, s5
	s_wait_alu 0xfffe
	s_add_co_ci_u32 s14, s13, s2
	s_mul_i32 s10, s9, s11
	s_add_co_ci_u32 s11, s16, 0
	s_delay_alu instid0(SALU_CYCLE_1) | instskip(NEXT) | instid1(SALU_CYCLE_1)
	s_add_nc_u64 s[10:11], s[14:15], s[10:11]
	s_add_co_u32 s2, s8, s10
	s_cselect_b32 s5, -1, 0
	s_wait_alu 0xfffe
	v_mul_hi_u32 v11, v9, s2
	s_cmp_lg_u32 s5, 0
	v_mad_co_u64_u32 v[4:5], null, v10, s2, 0
	s_add_co_ci_u32 s5, s9, s11
	s_delay_alu instid0(SALU_CYCLE_1) | instskip(SKIP_1) | instid1(VALU_DEP_2)
	v_mad_co_u64_u32 v[2:3], null, v9, s5, 0
	v_mad_co_u64_u32 v[6:7], null, v10, s5, 0
	v_add_co_u32 v2, vcc_lo, v11, v2
	s_wait_alu 0xfffd
	s_delay_alu instid0(VALU_DEP_3) | instskip(NEXT) | instid1(VALU_DEP_2)
	v_add_co_ci_u32_e64 v3, null, 0, v3, vcc_lo
	v_add_co_u32 v2, vcc_lo, v2, v4
	s_wait_alu 0xfffd
	s_delay_alu instid0(VALU_DEP_2) | instskip(SKIP_2) | instid1(VALU_DEP_2)
	v_add_co_ci_u32_e32 v2, vcc_lo, v3, v5, vcc_lo
	s_wait_alu 0xfffd
	v_add_co_ci_u32_e32 v3, vcc_lo, 0, v7, vcc_lo
	v_add_co_u32 v4, vcc_lo, v2, v6
	s_wait_alu 0xfffd
	s_delay_alu instid0(VALU_DEP_2) | instskip(NEXT) | instid1(VALU_DEP_2)
	v_add_co_ci_u32_e64 v5, null, 0, v3, vcc_lo
	v_mul_lo_u32 v6, s7, v4
	v_mad_co_u64_u32 v[2:3], null, s6, v4, 0
	s_delay_alu instid0(VALU_DEP_3) | instskip(NEXT) | instid1(VALU_DEP_2)
	v_mul_lo_u32 v7, s6, v5
	v_sub_co_u32 v2, vcc_lo, v9, v2
	s_delay_alu instid0(VALU_DEP_2) | instskip(SKIP_3) | instid1(VALU_DEP_3)
	v_add3_u32 v3, v3, v7, v6
	v_add_co_u32 v7, s2, v4, 2
	s_wait_alu 0xf1ff
	v_add_co_ci_u32_e64 v9, null, 0, v5, s2
	v_sub_nc_u32_e32 v6, v10, v3
	v_sub_co_u32 v11, s2, v2, s6
	s_wait_alu 0xfffd
	v_sub_co_ci_u32_e64 v3, null, v10, v3, vcc_lo
	s_delay_alu instid0(VALU_DEP_3) | instskip(NEXT) | instid1(VALU_DEP_3)
	v_subrev_co_ci_u32_e64 v6, null, s7, v6, vcc_lo
	v_cmp_le_u32_e32 vcc_lo, s6, v11
	s_wait_alu 0xf1ff
	s_delay_alu instid0(VALU_DEP_2) | instskip(SKIP_2) | instid1(VALU_DEP_2)
	v_subrev_co_ci_u32_e64 v6, null, 0, v6, s2
	s_wait_alu 0xfffd
	v_cndmask_b32_e64 v10, 0, -1, vcc_lo
	v_cmp_le_u32_e32 vcc_lo, s7, v6
	s_wait_alu 0xfffd
	v_cndmask_b32_e64 v11, 0, -1, vcc_lo
	v_cmp_le_u32_e32 vcc_lo, s6, v2
	;; [unrolled: 3-line block ×3, first 2 shown]
	s_wait_alu 0xfffd
	v_cndmask_b32_e64 v12, 0, -1, vcc_lo
	v_cmp_eq_u32_e32 vcc_lo, s7, v6
	s_wait_alu 0xfffd
	v_cndmask_b32_e32 v6, v11, v10, vcc_lo
	v_add_co_u32 v10, vcc_lo, v4, 1
	s_wait_alu 0xfffd
	v_add_co_ci_u32_e64 v11, null, 0, v5, vcc_lo
	v_cmp_eq_u32_e32 vcc_lo, s7, v3
	s_wait_alu 0xfffd
	v_cndmask_b32_e32 v2, v12, v2, vcc_lo
	v_cmp_ne_u32_e32 vcc_lo, 0, v6
	v_xor_b32_e32 v6, s4, v8
	s_wait_alu 0xfffd
	v_cndmask_b32_e32 v3, v11, v9, vcc_lo
	v_cmp_ne_u32_e64 s2, 0, v2
	v_cndmask_b32_e32 v2, v10, v7, vcc_lo
	s_wait_alu 0xf1ff
	s_delay_alu instid0(VALU_DEP_2) | instskip(NEXT) | instid1(VALU_DEP_2)
	v_cndmask_b32_e64 v3, v5, v3, s2
	v_cndmask_b32_e64 v2, v4, v2, s2
	s_delay_alu instid0(VALU_DEP_2) | instskip(NEXT) | instid1(VALU_DEP_2)
	v_xor_b32_e32 v3, v3, v6
	v_xor_b32_e32 v2, v2, v6
	s_delay_alu instid0(VALU_DEP_1) | instskip(SKIP_1) | instid1(VALU_DEP_3)
	v_sub_co_u32 v2, vcc_lo, v2, v6
	s_wait_alu 0xfffd
	v_sub_co_ci_u32_e64 v3, null, v3, v6, vcc_lo
.LBB84_2:
	s_wait_alu 0xfffe
	s_or_saveexec_b32 s2, s3
	s_load_b512 s[4:19], s[0:1], 0x0
	s_xor_b32 exec_lo, exec_lo, s2
	s_cbranch_execz .LBB84_4
; %bb.3:
	v_cvt_f32_u32_e32 v2, s20
	s_sub_co_i32 s3, 0, s20
	s_delay_alu instid0(VALU_DEP_1) | instskip(NEXT) | instid1(TRANS32_DEP_1)
	v_rcp_iflag_f32_e32 v2, v2
	v_mul_f32_e32 v2, 0x4f7ffffe, v2
	s_delay_alu instid0(VALU_DEP_1) | instskip(SKIP_1) | instid1(VALU_DEP_1)
	v_cvt_u32_f32_e32 v2, v2
	s_wait_alu 0xfffe
	v_mul_lo_u32 v3, s3, v2
	s_delay_alu instid0(VALU_DEP_1) | instskip(NEXT) | instid1(VALU_DEP_1)
	v_mul_hi_u32 v3, v2, v3
	v_add_nc_u32_e32 v2, v2, v3
	s_delay_alu instid0(VALU_DEP_1) | instskip(NEXT) | instid1(VALU_DEP_1)
	v_mul_hi_u32 v2, v0, v2
	v_mul_lo_u32 v3, v2, s20
	v_add_nc_u32_e32 v4, 1, v2
	s_delay_alu instid0(VALU_DEP_2) | instskip(NEXT) | instid1(VALU_DEP_1)
	v_sub_nc_u32_e32 v3, v0, v3
	v_subrev_nc_u32_e32 v5, s20, v3
	v_cmp_le_u32_e32 vcc_lo, s20, v3
	s_wait_alu 0xfffd
	s_delay_alu instid0(VALU_DEP_2) | instskip(NEXT) | instid1(VALU_DEP_1)
	v_dual_cndmask_b32 v3, v3, v5 :: v_dual_cndmask_b32 v2, v2, v4
	v_cmp_le_u32_e32 vcc_lo, s20, v3
	s_delay_alu instid0(VALU_DEP_2) | instskip(SKIP_1) | instid1(VALU_DEP_1)
	v_dual_mov_b32 v3, 0 :: v_dual_add_nc_u32 v4, 1, v2
	s_wait_alu 0xfffd
	v_cndmask_b32_e32 v2, v2, v4, vcc_lo
.LBB84_4:
	s_or_b32 exec_lo, exec_lo, s2
	s_delay_alu instid0(VALU_DEP_2) | instskip(NEXT) | instid1(VALU_DEP_2)
	v_mul_lo_u32 v5, v3, s20
	v_mul_lo_u32 v6, v2, s21
	v_mad_co_u64_u32 v[3:4], null, v2, s20, 0
	s_mov_b32 s2, exec_lo
	v_add3_u32 v4, v4, v6, v5
	v_sub_co_u32 v5, vcc_lo, v0, v3
	s_wait_alu 0xfffd
	s_delay_alu instid0(VALU_DEP_2) | instskip(SKIP_1) | instid1(VALU_DEP_1)
	v_sub_co_ci_u32_e64 v6, null, v1, v4, vcc_lo
	s_wait_kmcnt 0x0
	v_cmpx_gt_i64_e64 s[12:13], v[5:6]
	s_cbranch_execz .LBB84_19
; %bb.5:
	s_load_b64 s[2:3], s[16:17], 0x0
	v_ashrrev_i32_e32 v3, 31, v2
	s_wait_kmcnt 0x0
	s_delay_alu instid0(VALU_DEP_1)
	v_cmp_gt_i64_e32 vcc_lo, s[2:3], v[2:3]
	s_and_b32 exec_lo, exec_lo, vcc_lo
	s_cbranch_execz .LBB84_19
; %bb.6:
	v_lshlrev_b64_e32 v[0:1], 2, v[2:3]
	s_add_nc_u64 s[2:3], s[2:3], -1
                                        ; implicit-def: $vgpr10
	s_delay_alu instid0(VALU_DEP_1) | instskip(SKIP_1) | instid1(VALU_DEP_2)
	v_add_co_u32 v7, vcc_lo, s14, v0
	s_wait_alu 0xfffd
	v_add_co_ci_u32_e64 v8, null, s15, v1, vcc_lo
	s_wait_alu 0xfffe
	v_cmp_ne_u64_e32 vcc_lo, s[2:3], v[2:3]
	global_load_b32 v4, v[7:8], off
	s_and_saveexec_b32 s2, vcc_lo
	s_wait_alu 0xfffe
	s_xor_b32 s2, exec_lo, s2
	s_cbranch_execz .LBB84_8
; %bb.7:
	v_dual_mov_b32 v7, 0 :: v_dual_add_nc_u32 v8, 1, v2
	s_delay_alu instid0(VALU_DEP_1) | instskip(NEXT) | instid1(VALU_DEP_1)
	v_ashrrev_i64 v[2:3], 30, v[7:8]
	v_add_co_u32 v2, vcc_lo, s14, v2
	s_wait_alu 0xfffd
	s_delay_alu instid0(VALU_DEP_2)
	v_add_co_ci_u32_e64 v3, null, s15, v3, vcc_lo
	global_load_b32 v10, v[2:3], off
.LBB84_8:
	s_wait_alu 0xfffe
	s_or_saveexec_b32 s2, s2
	s_load_b256 s[20:27], s[0:1], 0x40
	s_xor_b32 exec_lo, exec_lo, s2
	s_cbranch_execz .LBB84_10
; %bb.9:
	s_wait_loadcnt 0x0
	v_mov_b32_e32 v10, s10
.LBB84_10:
	s_or_b32 exec_lo, exec_lo, s2
	v_lshlrev_b64_e32 v[2:3], 2, v[5:6]
	v_mov_b32_e32 v9, 0
	s_mov_b32 s1, exec_lo
	s_wait_loadcnt 0x0
	v_cmpx_lt_i32_e64 v4, v10
	s_cbranch_execz .LBB84_17
; %bb.11:
	v_ashrrev_i32_e32 v5, 31, v4
	v_add_co_u32 v11, vcc_lo, s6, v2
	s_wait_alu 0xfffd
	v_add_co_ci_u32_e64 v12, null, s7, v3, vcc_lo
	s_delay_alu instid0(VALU_DEP_3) | instskip(SKIP_4) | instid1(VALU_DEP_2)
	v_lshlrev_b64_e32 v[7:8], 2, v[4:5]
	v_mov_b32_e32 v9, 0
	s_cmp_lg_u64 s[8:9], 0
	s_mov_b32 s3, 0
	s_cselect_b32 s2, -1, 0
	v_add_co_u32 v5, vcc_lo, s4, v7
	s_wait_alu 0xfffd
	v_add_co_ci_u32_e64 v6, null, s5, v8, vcc_lo
	v_add_co_u32 v7, vcc_lo, s8, v7
	s_wait_alu 0xfffd
	v_add_co_ci_u32_e64 v8, null, s9, v8, vcc_lo
	s_branch .LBB84_14
.LBB84_12:                              ;   in Loop: Header=BB84_14 Depth=1
	global_load_b32 v13, v[7:8], off
	s_wait_loadcnt 0x0
	v_cvt_f32_i32_e32 v13, v13
	s_delay_alu instid0(VALU_DEP_1) | instskip(NEXT) | instid1(VALU_DEP_1)
	v_div_scale_f32 v15, null, v13, v13, 1.0
	v_rcp_f32_e32 v16, v15
	s_delay_alu instid0(TRANS32_DEP_1) | instskip(NEXT) | instid1(VALU_DEP_1)
	v_fma_f32 v17, -v15, v16, 1.0
	v_fmac_f32_e32 v16, v17, v16
	v_div_scale_f32 v17, vcc_lo, 1.0, v13, 1.0
	s_delay_alu instid0(VALU_DEP_1) | instskip(NEXT) | instid1(VALU_DEP_1)
	v_mul_f32_e32 v18, v17, v16
	v_fma_f32 v19, -v15, v18, v17
	s_delay_alu instid0(VALU_DEP_1) | instskip(NEXT) | instid1(VALU_DEP_1)
	v_fmac_f32_e32 v18, v19, v16
	v_fma_f32 v15, -v15, v18, v17
	s_wait_alu 0xfffd
	s_delay_alu instid0(VALU_DEP_1) | instskip(NEXT) | instid1(VALU_DEP_1)
	v_div_fmas_f32 v15, v15, v16, v18
	v_div_fixup_f32 v13, v15, v13, 1.0
.LBB84_13:                              ;   in Loop: Header=BB84_14 Depth=1
	s_wait_loadcnt 0x0
	v_ashrrev_i32_e32 v16, 31, v14
	v_mul_lo_u32 v17, s13, v14
	v_mad_co_u64_u32 v[14:15], null, s12, v14, 0
	v_add_co_u32 v7, s0, v7, 4
	s_delay_alu instid0(VALU_DEP_4) | instskip(SKIP_2) | instid1(VALU_DEP_2)
	v_mul_lo_u32 v16, s12, v16
	s_wait_alu 0xf1ff
	v_add_co_ci_u32_e64 v8, null, 0, v8, s0
	v_add3_u32 v15, v15, v16, v17
	s_delay_alu instid0(VALU_DEP_1) | instskip(NEXT) | instid1(VALU_DEP_1)
	v_lshlrev_b64_e32 v[14:15], 2, v[14:15]
	v_add_co_u32 v14, vcc_lo, v11, v14
	s_wait_alu 0xfffd
	s_delay_alu instid0(VALU_DEP_2)
	v_add_co_ci_u32_e64 v15, null, v12, v15, vcc_lo
	v_add_co_u32 v5, vcc_lo, v5, 4
	s_wait_alu 0xfffd
	v_add_co_ci_u32_e64 v6, null, 0, v6, vcc_lo
	global_load_b32 v14, v[14:15], off
	s_wait_loadcnt 0x0
	v_dual_fmac_f32 v9, v13, v14 :: v_dual_add_nc_u32 v4, 1, v4
	s_delay_alu instid0(VALU_DEP_1)
	v_cmp_ge_i32_e32 vcc_lo, v4, v10
	s_or_b32 s3, vcc_lo, s3
	s_wait_alu 0xfffe
	s_and_not1_b32 exec_lo, exec_lo, s3
	s_cbranch_execz .LBB84_16
.LBB84_14:                              ; =>This Inner Loop Header: Depth=1
	global_load_b32 v14, v[5:6], off
	s_wait_alu 0xfffe
	s_and_not1_b32 vcc_lo, exec_lo, s2
	s_wait_alu 0xfffe
	s_cbranch_vccz .LBB84_12
; %bb.15:                               ;   in Loop: Header=BB84_14 Depth=1
	v_mov_b32_e32 v13, 1.0
	s_branch .LBB84_13
.LBB84_16:
	s_or_b32 exec_lo, exec_lo, s3
.LBB84_17:
	s_wait_alu 0xfffe
	s_or_b32 exec_lo, exec_lo, s1
	s_wait_kmcnt 0x0
	v_add_co_u32 v0, vcc_lo, s20, v0
	s_wait_alu 0xfffd
	v_add_co_ci_u32_e64 v1, null, s21, v1, vcc_lo
	global_load_b32 v0, v[0:1], off
	s_wait_loadcnt 0x0
	v_ashrrev_i32_e32 v1, 31, v0
	s_delay_alu instid0(VALU_DEP_1) | instskip(NEXT) | instid1(VALU_DEP_1)
	v_lshlrev_b64_e32 v[0:1], 2, v[0:1]
	v_add_co_u32 v0, vcc_lo, s22, v0
	s_wait_alu 0xfffd
	s_delay_alu instid0(VALU_DEP_2) | instskip(SKIP_3) | instid1(VALU_DEP_1)
	v_add_co_ci_u32_e64 v1, null, s23, v1, vcc_lo
	global_load_b32 v0, v[0:1], off
	s_wait_loadcnt 0x0
	v_ashrrev_i32_e32 v1, 31, v0
	v_lshlrev_b64_e32 v[0:1], 2, v[0:1]
	s_delay_alu instid0(VALU_DEP_1) | instskip(SKIP_1) | instid1(VALU_DEP_2)
	v_add_co_u32 v0, vcc_lo, s18, v0
	s_wait_alu 0xfffd
	v_add_co_ci_u32_e64 v1, null, s19, v1, vcc_lo
	global_load_b32 v0, v[0:1], off
	s_wait_loadcnt 0x0
	v_ashrrev_i32_e32 v1, 31, v0
	s_delay_alu instid0(VALU_DEP_1)
	v_cmp_ne_u64_e32 vcc_lo, s[26:27], v[0:1]
	s_and_b32 exec_lo, exec_lo, vcc_lo
	s_cbranch_execz .LBB84_19
; %bb.18:
	v_mul_lo_u32 v4, s13, v0
	v_mul_lo_u32 v5, s12, v1
	v_mad_co_u64_u32 v[0:1], null, s12, v0, 0
	s_delay_alu instid0(VALU_DEP_1) | instskip(NEXT) | instid1(VALU_DEP_1)
	v_add3_u32 v1, v1, v5, v4
	v_lshlrev_b64_e32 v[0:1], 2, v[0:1]
	s_delay_alu instid0(VALU_DEP_1) | instskip(SKIP_1) | instid1(VALU_DEP_2)
	v_add_co_u32 v0, vcc_lo, s24, v0
	s_wait_alu 0xfffd
	v_add_co_ci_u32_e64 v1, null, s25, v1, vcc_lo
	s_delay_alu instid0(VALU_DEP_2) | instskip(SKIP_1) | instid1(VALU_DEP_2)
	v_add_co_u32 v0, vcc_lo, v0, v2
	s_wait_alu 0xfffd
	v_add_co_ci_u32_e64 v1, null, v1, v3, vcc_lo
	global_atomic_add_f32 v[0:1], v9, off scope:SCOPE_DEV
.LBB84_19:
	s_endpgm
	.section	.rodata,"a",@progbits
	.p2align	6, 0x0
	.amdhsa_kernel _ZN2at6native12_GLOBAL__N_137compute_grad_weight_atomic_accumulateIffiEEvPKT1_PKT_S5_llS5_PKlS5_S5_S5_PT0_ll
		.amdhsa_group_segment_fixed_size 0
		.amdhsa_private_segment_fixed_size 0
		.amdhsa_kernarg_size 360
		.amdhsa_user_sgpr_count 2
		.amdhsa_user_sgpr_dispatch_ptr 0
		.amdhsa_user_sgpr_queue_ptr 0
		.amdhsa_user_sgpr_kernarg_segment_ptr 1
		.amdhsa_user_sgpr_dispatch_id 0
		.amdhsa_user_sgpr_private_segment_size 0
		.amdhsa_wavefront_size32 1
		.amdhsa_uses_dynamic_stack 0
		.amdhsa_enable_private_segment 0
		.amdhsa_system_sgpr_workgroup_id_x 1
		.amdhsa_system_sgpr_workgroup_id_y 0
		.amdhsa_system_sgpr_workgroup_id_z 0
		.amdhsa_system_sgpr_workgroup_info 0
		.amdhsa_system_vgpr_workitem_id 0
		.amdhsa_next_free_vgpr 20
		.amdhsa_next_free_sgpr 28
		.amdhsa_reserve_vcc 1
		.amdhsa_float_round_mode_32 0
		.amdhsa_float_round_mode_16_64 0
		.amdhsa_float_denorm_mode_32 3
		.amdhsa_float_denorm_mode_16_64 3
		.amdhsa_fp16_overflow 0
		.amdhsa_workgroup_processor_mode 1
		.amdhsa_memory_ordered 1
		.amdhsa_forward_progress 1
		.amdhsa_inst_pref_size 16
		.amdhsa_round_robin_scheduling 0
		.amdhsa_exception_fp_ieee_invalid_op 0
		.amdhsa_exception_fp_denorm_src 0
		.amdhsa_exception_fp_ieee_div_zero 0
		.amdhsa_exception_fp_ieee_overflow 0
		.amdhsa_exception_fp_ieee_underflow 0
		.amdhsa_exception_fp_ieee_inexact 0
		.amdhsa_exception_int_div_zero 0
	.end_amdhsa_kernel
	.section	.text._ZN2at6native12_GLOBAL__N_137compute_grad_weight_atomic_accumulateIffiEEvPKT1_PKT_S5_llS5_PKlS5_S5_S5_PT0_ll,"axG",@progbits,_ZN2at6native12_GLOBAL__N_137compute_grad_weight_atomic_accumulateIffiEEvPKT1_PKT_S5_llS5_PKlS5_S5_S5_PT0_ll,comdat
.Lfunc_end84:
	.size	_ZN2at6native12_GLOBAL__N_137compute_grad_weight_atomic_accumulateIffiEEvPKT1_PKT_S5_llS5_PKlS5_S5_S5_PT0_ll, .Lfunc_end84-_ZN2at6native12_GLOBAL__N_137compute_grad_weight_atomic_accumulateIffiEEvPKT1_PKT_S5_llS5_PKlS5_S5_S5_PT0_ll
                                        ; -- End function
	.set _ZN2at6native12_GLOBAL__N_137compute_grad_weight_atomic_accumulateIffiEEvPKT1_PKT_S5_llS5_PKlS5_S5_S5_PT0_ll.num_vgpr, 20
	.set _ZN2at6native12_GLOBAL__N_137compute_grad_weight_atomic_accumulateIffiEEvPKT1_PKT_S5_llS5_PKlS5_S5_S5_PT0_ll.num_agpr, 0
	.set _ZN2at6native12_GLOBAL__N_137compute_grad_weight_atomic_accumulateIffiEEvPKT1_PKT_S5_llS5_PKlS5_S5_S5_PT0_ll.numbered_sgpr, 28
	.set _ZN2at6native12_GLOBAL__N_137compute_grad_weight_atomic_accumulateIffiEEvPKT1_PKT_S5_llS5_PKlS5_S5_S5_PT0_ll.num_named_barrier, 0
	.set _ZN2at6native12_GLOBAL__N_137compute_grad_weight_atomic_accumulateIffiEEvPKT1_PKT_S5_llS5_PKlS5_S5_S5_PT0_ll.private_seg_size, 0
	.set _ZN2at6native12_GLOBAL__N_137compute_grad_weight_atomic_accumulateIffiEEvPKT1_PKT_S5_llS5_PKlS5_S5_S5_PT0_ll.uses_vcc, 1
	.set _ZN2at6native12_GLOBAL__N_137compute_grad_weight_atomic_accumulateIffiEEvPKT1_PKT_S5_llS5_PKlS5_S5_S5_PT0_ll.uses_flat_scratch, 0
	.set _ZN2at6native12_GLOBAL__N_137compute_grad_weight_atomic_accumulateIffiEEvPKT1_PKT_S5_llS5_PKlS5_S5_S5_PT0_ll.has_dyn_sized_stack, 0
	.set _ZN2at6native12_GLOBAL__N_137compute_grad_weight_atomic_accumulateIffiEEvPKT1_PKT_S5_llS5_PKlS5_S5_S5_PT0_ll.has_recursion, 0
	.set _ZN2at6native12_GLOBAL__N_137compute_grad_weight_atomic_accumulateIffiEEvPKT1_PKT_S5_llS5_PKlS5_S5_S5_PT0_ll.has_indirect_call, 0
	.section	.AMDGPU.csdata,"",@progbits
; Kernel info:
; codeLenInByte = 1972
; TotalNumSgprs: 30
; NumVgprs: 20
; ScratchSize: 0
; MemoryBound: 0
; FloatMode: 240
; IeeeMode: 1
; LDSByteSize: 0 bytes/workgroup (compile time only)
; SGPRBlocks: 0
; VGPRBlocks: 2
; NumSGPRsForWavesPerEU: 30
; NumVGPRsForWavesPerEU: 20
; Occupancy: 16
; WaveLimiterHint : 1
; COMPUTE_PGM_RSRC2:SCRATCH_EN: 0
; COMPUTE_PGM_RSRC2:USER_SGPR: 2
; COMPUTE_PGM_RSRC2:TRAP_HANDLER: 0
; COMPUTE_PGM_RSRC2:TGID_X_EN: 1
; COMPUTE_PGM_RSRC2:TGID_Y_EN: 0
; COMPUTE_PGM_RSRC2:TGID_Z_EN: 0
; COMPUTE_PGM_RSRC2:TIDIG_COMP_CNT: 0
	.section	.text._ZN2at6native12_GLOBAL__N_124compute_grad_weight_bagsIfiEEvPKT0_PKT_S5_S5_lliS5_S8_lS5_PKlPNS_14AccumulateTypeIS6_Lb1EE4typeEl,"axG",@progbits,_ZN2at6native12_GLOBAL__N_124compute_grad_weight_bagsIfiEEvPKT0_PKT_S5_S5_lliS5_S8_lS5_PKlPNS_14AccumulateTypeIS6_Lb1EE4typeEl,comdat
	.globl	_ZN2at6native12_GLOBAL__N_124compute_grad_weight_bagsIfiEEvPKT0_PKT_S5_S5_lliS5_S8_lS5_PKlPNS_14AccumulateTypeIS6_Lb1EE4typeEl ; -- Begin function _ZN2at6native12_GLOBAL__N_124compute_grad_weight_bagsIfiEEvPKT0_PKT_S5_S5_lliS5_S8_lS5_PKlPNS_14AccumulateTypeIS6_Lb1EE4typeEl
	.p2align	8
	.type	_ZN2at6native12_GLOBAL__N_124compute_grad_weight_bagsIfiEEvPKT0_PKT_S5_S5_lliS5_S8_lS5_PKlPNS_14AccumulateTypeIS6_Lb1EE4typeEl,@function
_ZN2at6native12_GLOBAL__N_124compute_grad_weight_bagsIfiEEvPKT0_PKT_S5_S5_lliS5_S8_lS5_PKlPNS_14AccumulateTypeIS6_Lb1EE4typeEl: ; @_ZN2at6native12_GLOBAL__N_124compute_grad_weight_bagsIfiEEvPKT0_PKT_S5_S5_lliS5_S8_lS5_PKlPNS_14AccumulateTypeIS6_Lb1EE4typeEl
; %bb.0:
	s_clause 0x2
	s_load_b32 s2, s[0:1], 0x7c
	s_load_b64 s[4:5], s[0:1], 0x68
	s_load_b128 s[20:23], s[0:1], 0x58
	v_mov_b32_e32 v1, 0
	s_delay_alu instid0(VALU_DEP_1) | instskip(SKIP_2) | instid1(SALU_CYCLE_1)
	v_mov_b32_e32 v4, v1
	s_wait_kmcnt 0x0
	s_and_b32 s2, s2, 0xffff
	v_mad_co_u64_u32 v[2:3], null, s2, ttmp9, v[0:1]
                                        ; implicit-def: $vgpr0_vgpr1
	s_mov_b32 s2, exec_lo
	v_or_b32_e32 v5, s5, v3
	s_delay_alu instid0(VALU_DEP_1)
	v_cmpx_ne_u64_e32 0, v[4:5]
	s_wait_alu 0xfffe
	s_xor_b32 s3, exec_lo, s2
	s_cbranch_execz .LBB85_2
; %bb.1:
	s_ashr_i32 s6, s5, 31
	s_mov_b32 s17, 0
	s_mov_b32 s7, s6
	v_ashrrev_i32_e32 v8, 31, v3
	s_add_nc_u64 s[8:9], s[4:5], s[6:7]
	s_delay_alu instid0(SALU_CYCLE_1) | instskip(NEXT) | instid1(VALU_DEP_1)
	s_xor_b64 s[8:9], s[8:9], s[6:7]
	v_add_co_u32 v0, vcc_lo, v2, v8
	s_cvt_f32_u32 s2, s8
	s_cvt_f32_u32 s7, s9
	s_sub_nc_u64 s[12:13], 0, s[8:9]
	v_add_co_ci_u32_e64 v1, null, v3, v8, vcc_lo
	s_wait_alu 0xfffe
	s_fmamk_f32 s2, s7, 0x4f800000, s2
	v_xor_b32_e32 v9, v0, v8
	s_delay_alu instid0(VALU_DEP_2) | instskip(SKIP_2) | instid1(TRANS32_DEP_1)
	v_xor_b32_e32 v10, v1, v8
	s_wait_alu 0xfffe
	v_s_rcp_f32 s2, s2
	s_mul_f32 s2, s2, 0x5f7ffffc
	s_wait_alu 0xfffe
	s_delay_alu instid0(SALU_CYCLE_2) | instskip(NEXT) | instid1(SALU_CYCLE_3)
	s_mul_f32 s7, s2, 0x2f800000
	s_trunc_f32 s7, s7
	s_delay_alu instid0(SALU_CYCLE_3) | instskip(SKIP_2) | instid1(SALU_CYCLE_1)
	s_fmamk_f32 s2, s7, 0xcf800000, s2
	s_cvt_u32_f32 s11, s7
	s_wait_alu 0xfffe
	s_cvt_u32_f32 s10, s2
	s_delay_alu instid0(SALU_CYCLE_3) | instskip(NEXT) | instid1(SALU_CYCLE_1)
	s_mul_u64 s[14:15], s[12:13], s[10:11]
	s_mul_hi_u32 s19, s10, s15
	s_mul_i32 s18, s10, s15
	s_mul_hi_u32 s16, s10, s14
	s_mul_i32 s7, s11, s14
	s_add_nc_u64 s[18:19], s[16:17], s[18:19]
	s_mul_hi_u32 s2, s11, s14
	s_mul_hi_u32 s24, s11, s15
	s_add_co_u32 s7, s18, s7
	s_wait_alu 0xfffe
	s_add_co_ci_u32 s16, s19, s2
	s_mul_i32 s14, s11, s15
	s_add_co_ci_u32 s15, s24, 0
	s_delay_alu instid0(SALU_CYCLE_1) | instskip(NEXT) | instid1(SALU_CYCLE_1)
	s_add_nc_u64 s[14:15], s[16:17], s[14:15]
	s_add_co_u32 s10, s10, s14
	s_cselect_b32 s2, -1, 0
	s_wait_alu 0xfffe
	s_cmp_lg_u32 s2, 0
	s_add_co_ci_u32 s11, s11, s15
	s_delay_alu instid0(SALU_CYCLE_1) | instskip(NEXT) | instid1(SALU_CYCLE_1)
	s_mul_u64 s[12:13], s[12:13], s[10:11]
	s_mul_hi_u32 s15, s10, s13
	s_mul_i32 s14, s10, s13
	s_mul_hi_u32 s16, s10, s12
	s_mul_i32 s7, s11, s12
	s_add_nc_u64 s[14:15], s[16:17], s[14:15]
	s_mul_hi_u32 s2, s11, s12
	s_mul_hi_u32 s18, s11, s13
	s_add_co_u32 s7, s14, s7
	s_wait_alu 0xfffe
	s_add_co_ci_u32 s16, s15, s2
	s_mul_i32 s12, s11, s13
	s_add_co_ci_u32 s13, s18, 0
	s_delay_alu instid0(SALU_CYCLE_1) | instskip(NEXT) | instid1(SALU_CYCLE_1)
	s_add_nc_u64 s[12:13], s[16:17], s[12:13]
	s_add_co_u32 s2, s10, s12
	s_cselect_b32 s7, -1, 0
	s_wait_alu 0xfffe
	v_mul_hi_u32 v11, v9, s2
	s_cmp_lg_u32 s7, 0
	v_mad_co_u64_u32 v[4:5], null, v10, s2, 0
	s_add_co_ci_u32 s7, s11, s13
	s_delay_alu instid0(SALU_CYCLE_1) | instskip(SKIP_1) | instid1(VALU_DEP_2)
	v_mad_co_u64_u32 v[0:1], null, v9, s7, 0
	v_mad_co_u64_u32 v[6:7], null, v10, s7, 0
	v_add_co_u32 v0, vcc_lo, v11, v0
	s_wait_alu 0xfffd
	s_delay_alu instid0(VALU_DEP_3) | instskip(NEXT) | instid1(VALU_DEP_2)
	v_add_co_ci_u32_e64 v1, null, 0, v1, vcc_lo
	v_add_co_u32 v0, vcc_lo, v0, v4
	s_wait_alu 0xfffd
	s_delay_alu instid0(VALU_DEP_2) | instskip(SKIP_2) | instid1(VALU_DEP_2)
	v_add_co_ci_u32_e32 v0, vcc_lo, v1, v5, vcc_lo
	s_wait_alu 0xfffd
	v_add_co_ci_u32_e32 v1, vcc_lo, 0, v7, vcc_lo
	v_add_co_u32 v4, vcc_lo, v0, v6
	s_wait_alu 0xfffd
	s_delay_alu instid0(VALU_DEP_2) | instskip(NEXT) | instid1(VALU_DEP_2)
	v_add_co_ci_u32_e64 v5, null, 0, v1, vcc_lo
	v_mul_lo_u32 v6, s9, v4
	v_mad_co_u64_u32 v[0:1], null, s8, v4, 0
	s_delay_alu instid0(VALU_DEP_3) | instskip(NEXT) | instid1(VALU_DEP_2)
	v_mul_lo_u32 v7, s8, v5
	v_sub_co_u32 v0, vcc_lo, v9, v0
	s_delay_alu instid0(VALU_DEP_2) | instskip(SKIP_3) | instid1(VALU_DEP_3)
	v_add3_u32 v1, v1, v7, v6
	v_add_co_u32 v7, s2, v4, 2
	s_wait_alu 0xf1ff
	v_add_co_ci_u32_e64 v9, null, 0, v5, s2
	v_sub_nc_u32_e32 v6, v10, v1
	v_sub_co_u32 v11, s2, v0, s8
	s_wait_alu 0xfffd
	v_sub_co_ci_u32_e64 v1, null, v10, v1, vcc_lo
	s_delay_alu instid0(VALU_DEP_3) | instskip(NEXT) | instid1(VALU_DEP_3)
	v_subrev_co_ci_u32_e64 v6, null, s9, v6, vcc_lo
	v_cmp_le_u32_e32 vcc_lo, s8, v11
	s_wait_alu 0xf1ff
	s_delay_alu instid0(VALU_DEP_2) | instskip(SKIP_2) | instid1(VALU_DEP_2)
	v_subrev_co_ci_u32_e64 v6, null, 0, v6, s2
	s_wait_alu 0xfffd
	v_cndmask_b32_e64 v10, 0, -1, vcc_lo
	v_cmp_le_u32_e32 vcc_lo, s9, v6
	s_wait_alu 0xfffd
	v_cndmask_b32_e64 v11, 0, -1, vcc_lo
	v_cmp_le_u32_e32 vcc_lo, s8, v0
	;; [unrolled: 3-line block ×3, first 2 shown]
	s_wait_alu 0xfffd
	v_cndmask_b32_e64 v12, 0, -1, vcc_lo
	v_cmp_eq_u32_e32 vcc_lo, s9, v6
	s_wait_alu 0xfffd
	v_cndmask_b32_e32 v6, v11, v10, vcc_lo
	v_add_co_u32 v10, vcc_lo, v4, 1
	s_wait_alu 0xfffd
	v_add_co_ci_u32_e64 v11, null, 0, v5, vcc_lo
	v_cmp_eq_u32_e32 vcc_lo, s9, v1
	s_wait_alu 0xfffd
	v_cndmask_b32_e32 v0, v12, v0, vcc_lo
	v_cmp_ne_u32_e32 vcc_lo, 0, v6
	v_xor_b32_e32 v6, s6, v8
	s_wait_alu 0xfffd
	v_cndmask_b32_e32 v1, v11, v9, vcc_lo
	v_cmp_ne_u32_e64 s2, 0, v0
	v_cndmask_b32_e32 v0, v10, v7, vcc_lo
	s_wait_alu 0xf1ff
	s_delay_alu instid0(VALU_DEP_2) | instskip(NEXT) | instid1(VALU_DEP_2)
	v_cndmask_b32_e64 v1, v5, v1, s2
	v_cndmask_b32_e64 v0, v4, v0, s2
	s_delay_alu instid0(VALU_DEP_2) | instskip(NEXT) | instid1(VALU_DEP_2)
	v_xor_b32_e32 v1, v1, v6
	v_xor_b32_e32 v0, v0, v6
	s_delay_alu instid0(VALU_DEP_1) | instskip(SKIP_1) | instid1(VALU_DEP_3)
	v_sub_co_u32 v0, vcc_lo, v0, v6
	s_wait_alu 0xfffd
	v_sub_co_ci_u32_e64 v1, null, v1, v6, vcc_lo
.LBB85_2:
	s_wait_alu 0xfffe
	s_or_saveexec_b32 s2, s3
	s_load_b64 s[20:21], s[20:21], 0x0
	s_xor_b32 exec_lo, exec_lo, s2
	s_cbranch_execz .LBB85_4
; %bb.3:
	v_cvt_f32_u32_e32 v0, s4
	s_sub_co_i32 s3, 0, s4
	s_delay_alu instid0(VALU_DEP_1) | instskip(NEXT) | instid1(TRANS32_DEP_1)
	v_rcp_iflag_f32_e32 v0, v0
	v_mul_f32_e32 v0, 0x4f7ffffe, v0
	s_delay_alu instid0(VALU_DEP_1) | instskip(SKIP_1) | instid1(VALU_DEP_1)
	v_cvt_u32_f32_e32 v0, v0
	s_wait_alu 0xfffe
	v_mul_lo_u32 v1, s3, v0
	s_delay_alu instid0(VALU_DEP_1) | instskip(NEXT) | instid1(VALU_DEP_1)
	v_mul_hi_u32 v1, v0, v1
	v_add_nc_u32_e32 v0, v0, v1
	s_delay_alu instid0(VALU_DEP_1) | instskip(NEXT) | instid1(VALU_DEP_1)
	v_mul_hi_u32 v0, v2, v0
	v_mul_lo_u32 v1, v0, s4
	v_add_nc_u32_e32 v4, 1, v0
	s_delay_alu instid0(VALU_DEP_2) | instskip(NEXT) | instid1(VALU_DEP_1)
	v_sub_nc_u32_e32 v1, v2, v1
	v_subrev_nc_u32_e32 v5, s4, v1
	v_cmp_le_u32_e32 vcc_lo, s4, v1
	s_wait_alu 0xfffd
	s_delay_alu instid0(VALU_DEP_2) | instskip(NEXT) | instid1(VALU_DEP_1)
	v_dual_cndmask_b32 v1, v1, v5 :: v_dual_cndmask_b32 v0, v0, v4
	v_cmp_le_u32_e32 vcc_lo, s4, v1
	s_delay_alu instid0(VALU_DEP_2) | instskip(SKIP_1) | instid1(VALU_DEP_1)
	v_dual_mov_b32 v1, 0 :: v_dual_add_nc_u32 v4, 1, v0
	s_wait_alu 0xfffd
	v_cndmask_b32_e32 v0, v0, v4, vcc_lo
.LBB85_4:
	s_or_b32 exec_lo, exec_lo, s2
	s_load_b128 s[24:27], s[0:1], 0x20
	v_mul_lo_u32 v6, v1, s4
	s_delay_alu instid0(VALU_DEP_2) | instskip(SKIP_3) | instid1(VALU_DEP_2)
	v_mul_lo_u32 v7, v0, s5
	v_mad_co_u64_u32 v[4:5], null, v0, s4, 0
	s_wait_kmcnt 0x0
	v_cmp_gt_i64_e64 s2, s[20:21], v[0:1]
	v_add3_u32 v5, v5, v7, v6
	s_delay_alu instid0(VALU_DEP_3) | instskip(SKIP_1) | instid1(VALU_DEP_2)
	v_sub_co_u32 v4, vcc_lo, v2, v4
	s_wait_alu 0xfffd
	v_sub_co_ci_u32_e64 v5, null, v3, v5, vcc_lo
	s_delay_alu instid0(VALU_DEP_1)
	v_cmp_gt_i64_e32 vcc_lo, s[26:27], v[4:5]
	s_and_b32 s2, vcc_lo, s2
	s_wait_alu 0xfffe
	s_and_saveexec_b32 s3, s2
	s_cbranch_execz .LBB85_20
; %bb.5:
	s_load_b256 s[4:11], s[0:1], 0x38
	v_lshlrev_b64_e32 v[2:3], 2, v[0:1]
	s_load_b256 s[12:19], s[0:1], 0x0
	s_add_nc_u64 s[2:3], s[20:21], -1
                                        ; implicit-def: $vgpr13
	s_wait_kmcnt 0x0
	s_delay_alu instid0(VALU_DEP_1)
	v_add_co_u32 v6, vcc_lo, s10, v2
	s_wait_alu 0xfffd
	v_add_co_ci_u32_e64 v7, null, s11, v3, vcc_lo
	s_wait_alu 0xfffe
	v_cmp_ne_u64_e32 vcc_lo, s[2:3], v[0:1]
	global_load_b32 v2, v[6:7], off
	s_and_saveexec_b32 s2, vcc_lo
	s_wait_alu 0xfffe
	s_xor_b32 s2, exec_lo, s2
	s_cbranch_execz .LBB85_7
; %bb.6:
	global_load_b32 v13, v[6:7], off offset:4
.LBB85_7:
	s_wait_alu 0xfffe
	s_and_not1_saveexec_b32 s2, s2
	s_cbranch_execz .LBB85_9
; %bb.8:
	s_wait_loadcnt 0x0
	v_mov_b32_e32 v13, s24
.LBB85_9:
	s_wait_alu 0xfffe
	s_or_b32 exec_lo, exec_lo, s2
	v_lshlrev_b64_e32 v[4:5], 2, v[4:5]
	v_mov_b32_e32 v3, 0
	s_mov_b32 s2, exec_lo
	s_wait_loadcnt 0x0
	v_cmpx_lt_i32_e64 v2, v13
	s_cbranch_execz .LBB85_19
; %bb.10:
	s_load_b32 s0, s[0:1], 0x30
	v_ashrrev_i32_e32 v3, 31, v2
	v_add_co_u32 v14, vcc_lo, s14, v4
	s_wait_alu 0xfffd
	v_add_co_ci_u32_e64 v15, null, s15, v5, vcc_lo
	s_delay_alu instid0(VALU_DEP_3)
	v_lshlrev_b64_e32 v[8:9], 2, v[2:3]
	s_cmp_lg_u64 s[18:19], 0
	v_mov_b32_e32 v3, 0
	s_cselect_b32 s1, -1, 0
	s_cmp_lg_u64 s[6:7], 0
	s_mov_b32 s11, 0
	v_add_co_u32 v6, vcc_lo, s12, v8
	s_wait_alu 0xfffd
	v_add_co_ci_u32_e64 v7, null, s13, v9, vcc_lo
	v_add_co_u32 v8, vcc_lo, s18, v8
	s_wait_alu 0xfffd
	v_add_co_ci_u32_e64 v9, null, s19, v9, vcc_lo
	s_cselect_b32 s3, -1, 0
	s_wait_kmcnt 0x0
	s_cmp_lg_u32 s0, 0
	s_cselect_b32 s10, -1, 0
	s_branch .LBB85_12
.LBB85_11:                              ;   in Loop: Header=BB85_12 Depth=1
	s_wait_loadcnt 0x0
	s_delay_alu instid0(VALU_DEP_1) | instskip(SKIP_3) | instid1(VALU_DEP_3)
	v_dual_fmac_f32 v3, v16, v12 :: v_dual_add_nc_u32 v2, 1, v2
	v_add_co_u32 v6, vcc_lo, v6, 4
	s_wait_alu 0xfffd
	v_add_co_ci_u32_e64 v7, null, 0, v7, vcc_lo
	v_cmp_ge_i32_e32 vcc_lo, v2, v13
	v_add_co_u32 v8, s0, v8, 4
	s_wait_alu 0xf1ff
	v_add_co_ci_u32_e64 v9, null, 0, v9, s0
	s_or_b32 s11, vcc_lo, s11
	s_wait_alu 0xfffe
	s_and_not1_b32 exec_lo, exec_lo, s11
	s_cbranch_execz .LBB85_18
.LBB85_12:                              ; =>This Inner Loop Header: Depth=1
	global_load_b32 v11, v[6:7], off
	s_wait_loadcnt 0x0
	v_ashrrev_i32_e32 v12, 31, v11
	s_delay_alu instid0(VALU_DEP_1) | instskip(NEXT) | instid1(VALU_DEP_1)
	v_lshlrev_b64_e32 v[16:17], 2, v[11:12]
	v_add_co_u32 v16, vcc_lo, s16, v16
	s_wait_alu 0xfffd
	s_delay_alu instid0(VALU_DEP_2)
	v_add_co_ci_u32_e64 v17, null, s17, v17, vcc_lo
	s_wait_alu 0xfffe
	s_and_not1_b32 vcc_lo, exec_lo, s1
	global_load_b32 v10, v[16:17], off
	s_wait_alu 0xfffe
	s_cbranch_vccnz .LBB85_17
; %bb.13:                               ;   in Loop: Header=BB85_12 Depth=1
	global_load_b32 v16, v[8:9], off
	s_wait_loadcnt 0x0
	v_cvt_f64_i32_e32 v[16:17], v16
	s_delay_alu instid0(VALU_DEP_1) | instskip(NEXT) | instid1(VALU_DEP_1)
	v_div_scale_f64 v[18:19], null, v[16:17], v[16:17], 1.0
	v_rcp_f64_e32 v[20:21], v[18:19]
	s_delay_alu instid0(TRANS32_DEP_1) | instskip(NEXT) | instid1(VALU_DEP_1)
	v_fma_f64 v[22:23], -v[18:19], v[20:21], 1.0
	v_fma_f64 v[20:21], v[20:21], v[22:23], v[20:21]
	s_delay_alu instid0(VALU_DEP_1) | instskip(NEXT) | instid1(VALU_DEP_1)
	v_fma_f64 v[22:23], -v[18:19], v[20:21], 1.0
	v_fma_f64 v[20:21], v[20:21], v[22:23], v[20:21]
	v_div_scale_f64 v[22:23], vcc_lo, 1.0, v[16:17], 1.0
	s_delay_alu instid0(VALU_DEP_1) | instskip(NEXT) | instid1(VALU_DEP_1)
	v_mul_f64_e32 v[24:25], v[22:23], v[20:21]
	v_fma_f64 v[18:19], -v[18:19], v[24:25], v[22:23]
	s_wait_alu 0xfffd
	s_delay_alu instid0(VALU_DEP_1) | instskip(NEXT) | instid1(VALU_DEP_1)
	v_div_fmas_f64 v[18:19], v[18:19], v[20:21], v[24:25]
	v_div_fixup_f64 v[16:17], v[18:19], v[16:17], 1.0
	s_delay_alu instid0(VALU_DEP_1)
	v_cvt_f32_f64_e32 v16, v[16:17]
	s_and_not1_b32 vcc_lo, exec_lo, s3
	s_wait_alu 0xfffe
	s_cbranch_vccnz .LBB85_15
.LBB85_14:                              ;   in Loop: Header=BB85_12 Depth=1
	v_mul_lo_u32 v17, s9, v11
	v_mul_lo_u32 v18, s8, v12
	v_mad_co_u64_u32 v[11:12], null, s8, v11, 0
	s_delay_alu instid0(VALU_DEP_1) | instskip(NEXT) | instid1(VALU_DEP_1)
	v_add3_u32 v12, v12, v18, v17
	v_lshlrev_b64_e32 v[11:12], 2, v[11:12]
	s_delay_alu instid0(VALU_DEP_1) | instskip(SKIP_1) | instid1(VALU_DEP_2)
	v_add_co_u32 v11, vcc_lo, s6, v11
	s_wait_alu 0xfffd
	v_add_co_ci_u32_e64 v12, null, s7, v12, vcc_lo
	global_load_b32 v11, v[11:12], off
	s_wait_loadcnt 0x0
	v_mul_f32_e32 v16, v16, v11
.LBB85_15:                              ;   in Loop: Header=BB85_12 Depth=1
	s_wait_loadcnt 0x0
	v_mul_lo_u32 v11, v10, s26
	s_delay_alu instid0(VALU_DEP_1) | instskip(NEXT) | instid1(VALU_DEP_1)
	v_ashrrev_i32_e32 v12, 31, v11
	v_lshlrev_b64_e32 v[11:12], 2, v[11:12]
	s_delay_alu instid0(VALU_DEP_1) | instskip(SKIP_1) | instid1(VALU_DEP_2)
	v_add_co_u32 v11, vcc_lo, v14, v11
	s_wait_alu 0xfffd
	v_add_co_ci_u32_e64 v12, null, v15, v12, vcc_lo
	s_and_not1_b32 vcc_lo, exec_lo, s10
	global_load_b32 v12, v[11:12], off
	s_wait_alu 0xfffe
	s_cbranch_vccnz .LBB85_11
; %bb.16:                               ;   in Loop: Header=BB85_12 Depth=1
	v_ashrrev_i32_e32 v11, 31, v10
	s_delay_alu instid0(VALU_DEP_1) | instskip(NEXT) | instid1(VALU_DEP_1)
	v_lshlrev_b64_e32 v[10:11], 2, v[10:11]
	v_add_co_u32 v10, vcc_lo, s4, v10
	s_wait_alu 0xfffd
	s_delay_alu instid0(VALU_DEP_2) | instskip(SKIP_3) | instid1(VALU_DEP_1)
	v_add_co_ci_u32_e64 v11, null, s5, v11, vcc_lo
	global_load_b32 v10, v[10:11], off
	s_wait_loadcnt 0x0
	v_cvt_f32_i32_e32 v10, v10
	v_div_scale_f32 v11, null, v10, v10, v12
	s_delay_alu instid0(VALU_DEP_1) | instskip(NEXT) | instid1(TRANS32_DEP_1)
	v_rcp_f32_e32 v17, v11
	v_fma_f32 v18, -v11, v17, 1.0
	s_delay_alu instid0(VALU_DEP_1) | instskip(SKIP_1) | instid1(VALU_DEP_1)
	v_fmac_f32_e32 v17, v18, v17
	v_div_scale_f32 v18, vcc_lo, v12, v10, v12
	v_mul_f32_e32 v19, v18, v17
	s_delay_alu instid0(VALU_DEP_1) | instskip(NEXT) | instid1(VALU_DEP_1)
	v_fma_f32 v20, -v11, v19, v18
	v_fmac_f32_e32 v19, v20, v17
	s_delay_alu instid0(VALU_DEP_1) | instskip(SKIP_1) | instid1(VALU_DEP_1)
	v_fma_f32 v11, -v11, v19, v18
	s_wait_alu 0xfffd
	v_div_fmas_f32 v11, v11, v17, v19
	s_delay_alu instid0(VALU_DEP_1)
	v_div_fixup_f32 v12, v11, v10, v12
	s_branch .LBB85_11
.LBB85_17:                              ;   in Loop: Header=BB85_12 Depth=1
	v_mov_b32_e32 v16, 1.0
	s_and_not1_b32 vcc_lo, exec_lo, s3
	s_wait_alu 0xfffe
	s_cbranch_vccz .LBB85_14
	s_branch .LBB85_15
.LBB85_18:
	s_or_b32 exec_lo, exec_lo, s11
.LBB85_19:
	s_wait_alu 0xfffe
	s_or_b32 exec_lo, exec_lo, s2
	v_mul_lo_u32 v2, v1, s26
	v_mul_lo_u32 v6, v0, s27
	v_mad_co_u64_u32 v[0:1], null, v0, s26, 0
	s_delay_alu instid0(VALU_DEP_1) | instskip(NEXT) | instid1(VALU_DEP_1)
	v_add3_u32 v1, v1, v6, v2
	v_lshlrev_b64_e32 v[0:1], 2, v[0:1]
	s_delay_alu instid0(VALU_DEP_1) | instskip(SKIP_1) | instid1(VALU_DEP_2)
	v_add_co_u32 v0, vcc_lo, s22, v0
	s_wait_alu 0xfffd
	v_add_co_ci_u32_e64 v1, null, s23, v1, vcc_lo
	s_delay_alu instid0(VALU_DEP_2) | instskip(SKIP_1) | instid1(VALU_DEP_2)
	v_add_co_u32 v0, vcc_lo, v0, v4
	s_wait_alu 0xfffd
	v_add_co_ci_u32_e64 v1, null, v1, v5, vcc_lo
	global_store_b32 v[0:1], v3, off
.LBB85_20:
	s_endpgm
	.section	.rodata,"a",@progbits
	.p2align	6, 0x0
	.amdhsa_kernel _ZN2at6native12_GLOBAL__N_124compute_grad_weight_bagsIfiEEvPKT0_PKT_S5_S5_lliS5_S8_lS5_PKlPNS_14AccumulateTypeIS6_Lb1EE4typeEl
		.amdhsa_group_segment_fixed_size 0
		.amdhsa_private_segment_fixed_size 0
		.amdhsa_kernarg_size 368
		.amdhsa_user_sgpr_count 2
		.amdhsa_user_sgpr_dispatch_ptr 0
		.amdhsa_user_sgpr_queue_ptr 0
		.amdhsa_user_sgpr_kernarg_segment_ptr 1
		.amdhsa_user_sgpr_dispatch_id 0
		.amdhsa_user_sgpr_private_segment_size 0
		.amdhsa_wavefront_size32 1
		.amdhsa_uses_dynamic_stack 0
		.amdhsa_enable_private_segment 0
		.amdhsa_system_sgpr_workgroup_id_x 1
		.amdhsa_system_sgpr_workgroup_id_y 0
		.amdhsa_system_sgpr_workgroup_id_z 0
		.amdhsa_system_sgpr_workgroup_info 0
		.amdhsa_system_vgpr_workitem_id 0
		.amdhsa_next_free_vgpr 26
		.amdhsa_next_free_sgpr 28
		.amdhsa_reserve_vcc 1
		.amdhsa_float_round_mode_32 0
		.amdhsa_float_round_mode_16_64 0
		.amdhsa_float_denorm_mode_32 3
		.amdhsa_float_denorm_mode_16_64 3
		.amdhsa_fp16_overflow 0
		.amdhsa_workgroup_processor_mode 1
		.amdhsa_memory_ordered 1
		.amdhsa_forward_progress 1
		.amdhsa_inst_pref_size 17
		.amdhsa_round_robin_scheduling 0
		.amdhsa_exception_fp_ieee_invalid_op 0
		.amdhsa_exception_fp_denorm_src 0
		.amdhsa_exception_fp_ieee_div_zero 0
		.amdhsa_exception_fp_ieee_overflow 0
		.amdhsa_exception_fp_ieee_underflow 0
		.amdhsa_exception_fp_ieee_inexact 0
		.amdhsa_exception_int_div_zero 0
	.end_amdhsa_kernel
	.section	.text._ZN2at6native12_GLOBAL__N_124compute_grad_weight_bagsIfiEEvPKT0_PKT_S5_S5_lliS5_S8_lS5_PKlPNS_14AccumulateTypeIS6_Lb1EE4typeEl,"axG",@progbits,_ZN2at6native12_GLOBAL__N_124compute_grad_weight_bagsIfiEEvPKT0_PKT_S5_S5_lliS5_S8_lS5_PKlPNS_14AccumulateTypeIS6_Lb1EE4typeEl,comdat
.Lfunc_end85:
	.size	_ZN2at6native12_GLOBAL__N_124compute_grad_weight_bagsIfiEEvPKT0_PKT_S5_S5_lliS5_S8_lS5_PKlPNS_14AccumulateTypeIS6_Lb1EE4typeEl, .Lfunc_end85-_ZN2at6native12_GLOBAL__N_124compute_grad_weight_bagsIfiEEvPKT0_PKT_S5_S5_lliS5_S8_lS5_PKlPNS_14AccumulateTypeIS6_Lb1EE4typeEl
                                        ; -- End function
	.set _ZN2at6native12_GLOBAL__N_124compute_grad_weight_bagsIfiEEvPKT0_PKT_S5_S5_lliS5_S8_lS5_PKlPNS_14AccumulateTypeIS6_Lb1EE4typeEl.num_vgpr, 26
	.set _ZN2at6native12_GLOBAL__N_124compute_grad_weight_bagsIfiEEvPKT0_PKT_S5_S5_lliS5_S8_lS5_PKlPNS_14AccumulateTypeIS6_Lb1EE4typeEl.num_agpr, 0
	.set _ZN2at6native12_GLOBAL__N_124compute_grad_weight_bagsIfiEEvPKT0_PKT_S5_S5_lliS5_S8_lS5_PKlPNS_14AccumulateTypeIS6_Lb1EE4typeEl.numbered_sgpr, 28
	.set _ZN2at6native12_GLOBAL__N_124compute_grad_weight_bagsIfiEEvPKT0_PKT_S5_S5_lliS5_S8_lS5_PKlPNS_14AccumulateTypeIS6_Lb1EE4typeEl.num_named_barrier, 0
	.set _ZN2at6native12_GLOBAL__N_124compute_grad_weight_bagsIfiEEvPKT0_PKT_S5_S5_lliS5_S8_lS5_PKlPNS_14AccumulateTypeIS6_Lb1EE4typeEl.private_seg_size, 0
	.set _ZN2at6native12_GLOBAL__N_124compute_grad_weight_bagsIfiEEvPKT0_PKT_S5_S5_lliS5_S8_lS5_PKlPNS_14AccumulateTypeIS6_Lb1EE4typeEl.uses_vcc, 1
	.set _ZN2at6native12_GLOBAL__N_124compute_grad_weight_bagsIfiEEvPKT0_PKT_S5_S5_lliS5_S8_lS5_PKlPNS_14AccumulateTypeIS6_Lb1EE4typeEl.uses_flat_scratch, 0
	.set _ZN2at6native12_GLOBAL__N_124compute_grad_weight_bagsIfiEEvPKT0_PKT_S5_S5_lliS5_S8_lS5_PKlPNS_14AccumulateTypeIS6_Lb1EE4typeEl.has_dyn_sized_stack, 0
	.set _ZN2at6native12_GLOBAL__N_124compute_grad_weight_bagsIfiEEvPKT0_PKT_S5_S5_lliS5_S8_lS5_PKlPNS_14AccumulateTypeIS6_Lb1EE4typeEl.has_recursion, 0
	.set _ZN2at6native12_GLOBAL__N_124compute_grad_weight_bagsIfiEEvPKT0_PKT_S5_S5_lliS5_S8_lS5_PKlPNS_14AccumulateTypeIS6_Lb1EE4typeEl.has_indirect_call, 0
	.section	.AMDGPU.csdata,"",@progbits
; Kernel info:
; codeLenInByte = 2124
; TotalNumSgprs: 30
; NumVgprs: 26
; ScratchSize: 0
; MemoryBound: 0
; FloatMode: 240
; IeeeMode: 1
; LDSByteSize: 0 bytes/workgroup (compile time only)
; SGPRBlocks: 0
; VGPRBlocks: 3
; NumSGPRsForWavesPerEU: 30
; NumVGPRsForWavesPerEU: 26
; Occupancy: 16
; WaveLimiterHint : 1
; COMPUTE_PGM_RSRC2:SCRATCH_EN: 0
; COMPUTE_PGM_RSRC2:USER_SGPR: 2
; COMPUTE_PGM_RSRC2:TRAP_HANDLER: 0
; COMPUTE_PGM_RSRC2:TGID_X_EN: 1
; COMPUTE_PGM_RSRC2:TGID_Y_EN: 0
; COMPUTE_PGM_RSRC2:TGID_Z_EN: 0
; COMPUTE_PGM_RSRC2:TIDIG_COMP_CNT: 0
	.section	.text._ZN2at6native12_GLOBAL__N_119compute_grad_weightIfiEEvPKT0_PKT_S5_llS5_PKlPNS_14AccumulateTypeIS6_Lb1EE4typeEl,"axG",@progbits,_ZN2at6native12_GLOBAL__N_119compute_grad_weightIfiEEvPKT0_PKT_S5_llS5_PKlPNS_14AccumulateTypeIS6_Lb1EE4typeEl,comdat
	.globl	_ZN2at6native12_GLOBAL__N_119compute_grad_weightIfiEEvPKT0_PKT_S5_llS5_PKlPNS_14AccumulateTypeIS6_Lb1EE4typeEl ; -- Begin function _ZN2at6native12_GLOBAL__N_119compute_grad_weightIfiEEvPKT0_PKT_S5_llS5_PKlPNS_14AccumulateTypeIS6_Lb1EE4typeEl
	.p2align	8
	.type	_ZN2at6native12_GLOBAL__N_119compute_grad_weightIfiEEvPKT0_PKT_S5_llS5_PKlPNS_14AccumulateTypeIS6_Lb1EE4typeEl,@function
_ZN2at6native12_GLOBAL__N_119compute_grad_weightIfiEEvPKT0_PKT_S5_llS5_PKlPNS_14AccumulateTypeIS6_Lb1EE4typeEl: ; @_ZN2at6native12_GLOBAL__N_119compute_grad_weightIfiEEvPKT0_PKT_S5_llS5_PKlPNS_14AccumulateTypeIS6_Lb1EE4typeEl
; %bb.0:
	s_clause 0x2
	s_load_b32 s20, s[0:1], 0x54
	s_load_b64 s[2:3], s[0:1], 0x40
	s_load_b512 s[4:19], s[0:1], 0x0
	v_mov_b32_e32 v1, 0
	s_delay_alu instid0(VALU_DEP_1) | instskip(SKIP_2) | instid1(SALU_CYCLE_1)
	v_mov_b32_e32 v4, v1
	s_wait_kmcnt 0x0
	s_and_b32 s0, s20, 0xffff
	v_mad_co_u64_u32 v[2:3], null, s0, ttmp9, v[0:1]
                                        ; implicit-def: $vgpr0_vgpr1
	s_mov_b32 s0, exec_lo
	v_or_b32_e32 v5, s3, v3
	s_delay_alu instid0(VALU_DEP_1)
	v_cmpx_ne_u64_e32 0, v[4:5]
	s_wait_alu 0xfffe
	s_xor_b32 s1, exec_lo, s0
	s_cbranch_execz .LBB86_2
; %bb.1:
	s_ashr_i32 s20, s3, 31
	s_mov_b32 s31, 0
	s_mov_b32 s21, s20
	v_ashrrev_i32_e32 v8, 31, v3
	s_add_nc_u64 s[22:23], s[2:3], s[20:21]
	s_delay_alu instid0(SALU_CYCLE_1) | instskip(NEXT) | instid1(VALU_DEP_1)
	s_xor_b64 s[22:23], s[22:23], s[20:21]
	v_add_co_u32 v0, vcc_lo, v2, v8
	s_cvt_f32_u32 s0, s22
	s_cvt_f32_u32 s11, s23
	s_sub_nc_u64 s[26:27], 0, s[22:23]
	v_add_co_ci_u32_e64 v1, null, v3, v8, vcc_lo
	s_wait_alu 0xfffe
	s_fmamk_f32 s0, s11, 0x4f800000, s0
	v_xor_b32_e32 v9, v0, v8
	s_delay_alu instid0(VALU_DEP_2) | instskip(SKIP_2) | instid1(TRANS32_DEP_1)
	v_xor_b32_e32 v10, v1, v8
	s_wait_alu 0xfffe
	v_s_rcp_f32 s0, s0
	s_mul_f32 s0, s0, 0x5f7ffffc
	s_wait_alu 0xfffe
	s_delay_alu instid0(SALU_CYCLE_2) | instskip(NEXT) | instid1(SALU_CYCLE_3)
	s_mul_f32 s11, s0, 0x2f800000
	s_trunc_f32 s11, s11
	s_delay_alu instid0(SALU_CYCLE_3) | instskip(SKIP_2) | instid1(SALU_CYCLE_1)
	s_fmamk_f32 s0, s11, 0xcf800000, s0
	s_cvt_u32_f32 s25, s11
	s_wait_alu 0xfffe
	s_cvt_u32_f32 s24, s0
	s_delay_alu instid0(SALU_CYCLE_3) | instskip(NEXT) | instid1(SALU_CYCLE_1)
	s_mul_u64 s[28:29], s[26:27], s[24:25]
	s_mul_hi_u32 s35, s24, s29
	s_mul_i32 s34, s24, s29
	s_mul_hi_u32 s30, s24, s28
	s_mul_i32 s11, s25, s28
	s_add_nc_u64 s[34:35], s[30:31], s[34:35]
	s_mul_hi_u32 s0, s25, s28
	s_mul_hi_u32 s21, s25, s29
	s_add_co_u32 s11, s34, s11
	s_wait_alu 0xfffe
	s_add_co_ci_u32 s30, s35, s0
	s_mul_i32 s28, s25, s29
	s_add_co_ci_u32 s29, s21, 0
	s_delay_alu instid0(SALU_CYCLE_1) | instskip(NEXT) | instid1(SALU_CYCLE_1)
	s_add_nc_u64 s[28:29], s[30:31], s[28:29]
	s_add_co_u32 s24, s24, s28
	s_cselect_b32 s0, -1, 0
	s_wait_alu 0xfffe
	s_cmp_lg_u32 s0, 0
	s_add_co_ci_u32 s25, s25, s29
	s_delay_alu instid0(SALU_CYCLE_1) | instskip(NEXT) | instid1(SALU_CYCLE_1)
	s_mul_u64 s[26:27], s[26:27], s[24:25]
	s_mul_hi_u32 s29, s24, s27
	s_mul_i32 s28, s24, s27
	s_mul_hi_u32 s30, s24, s26
	s_mul_i32 s11, s25, s26
	s_add_nc_u64 s[28:29], s[30:31], s[28:29]
	s_mul_hi_u32 s0, s25, s26
	s_mul_hi_u32 s21, s25, s27
	s_add_co_u32 s11, s28, s11
	s_wait_alu 0xfffe
	s_add_co_ci_u32 s30, s29, s0
	s_mul_i32 s26, s25, s27
	s_add_co_ci_u32 s27, s21, 0
	s_delay_alu instid0(SALU_CYCLE_1) | instskip(NEXT) | instid1(SALU_CYCLE_1)
	s_add_nc_u64 s[26:27], s[30:31], s[26:27]
	s_add_co_u32 s0, s24, s26
	s_cselect_b32 s11, -1, 0
	s_wait_alu 0xfffe
	v_mul_hi_u32 v11, v9, s0
	s_cmp_lg_u32 s11, 0
	v_mad_co_u64_u32 v[4:5], null, v10, s0, 0
	s_add_co_ci_u32 s11, s25, s27
	s_delay_alu instid0(SALU_CYCLE_1) | instskip(SKIP_1) | instid1(VALU_DEP_2)
	v_mad_co_u64_u32 v[0:1], null, v9, s11, 0
	v_mad_co_u64_u32 v[6:7], null, v10, s11, 0
	v_add_co_u32 v0, vcc_lo, v11, v0
	s_wait_alu 0xfffd
	s_delay_alu instid0(VALU_DEP_3) | instskip(NEXT) | instid1(VALU_DEP_2)
	v_add_co_ci_u32_e64 v1, null, 0, v1, vcc_lo
	v_add_co_u32 v0, vcc_lo, v0, v4
	s_wait_alu 0xfffd
	s_delay_alu instid0(VALU_DEP_2) | instskip(SKIP_2) | instid1(VALU_DEP_2)
	v_add_co_ci_u32_e32 v0, vcc_lo, v1, v5, vcc_lo
	s_wait_alu 0xfffd
	v_add_co_ci_u32_e32 v1, vcc_lo, 0, v7, vcc_lo
	v_add_co_u32 v4, vcc_lo, v0, v6
	s_wait_alu 0xfffd
	s_delay_alu instid0(VALU_DEP_2) | instskip(NEXT) | instid1(VALU_DEP_2)
	v_add_co_ci_u32_e64 v5, null, 0, v1, vcc_lo
	v_mul_lo_u32 v6, s23, v4
	v_mad_co_u64_u32 v[0:1], null, s22, v4, 0
	s_delay_alu instid0(VALU_DEP_3) | instskip(NEXT) | instid1(VALU_DEP_2)
	v_mul_lo_u32 v7, s22, v5
	v_sub_co_u32 v0, vcc_lo, v9, v0
	s_delay_alu instid0(VALU_DEP_2) | instskip(SKIP_3) | instid1(VALU_DEP_3)
	v_add3_u32 v1, v1, v7, v6
	v_add_co_u32 v7, s0, v4, 2
	s_wait_alu 0xf1ff
	v_add_co_ci_u32_e64 v9, null, 0, v5, s0
	v_sub_nc_u32_e32 v6, v10, v1
	v_sub_co_u32 v11, s0, v0, s22
	s_wait_alu 0xfffd
	v_sub_co_ci_u32_e64 v1, null, v10, v1, vcc_lo
	s_delay_alu instid0(VALU_DEP_3) | instskip(NEXT) | instid1(VALU_DEP_3)
	v_subrev_co_ci_u32_e64 v6, null, s23, v6, vcc_lo
	v_cmp_le_u32_e32 vcc_lo, s22, v11
	s_wait_alu 0xf1ff
	s_delay_alu instid0(VALU_DEP_2) | instskip(SKIP_2) | instid1(VALU_DEP_2)
	v_subrev_co_ci_u32_e64 v6, null, 0, v6, s0
	s_wait_alu 0xfffd
	v_cndmask_b32_e64 v10, 0, -1, vcc_lo
	v_cmp_le_u32_e32 vcc_lo, s23, v6
	s_wait_alu 0xfffd
	v_cndmask_b32_e64 v11, 0, -1, vcc_lo
	v_cmp_le_u32_e32 vcc_lo, s22, v0
	;; [unrolled: 3-line block ×3, first 2 shown]
	s_wait_alu 0xfffd
	v_cndmask_b32_e64 v12, 0, -1, vcc_lo
	v_cmp_eq_u32_e32 vcc_lo, s23, v6
	s_wait_alu 0xfffd
	v_cndmask_b32_e32 v6, v11, v10, vcc_lo
	v_add_co_u32 v10, vcc_lo, v4, 1
	s_wait_alu 0xfffd
	v_add_co_ci_u32_e64 v11, null, 0, v5, vcc_lo
	v_cmp_eq_u32_e32 vcc_lo, s23, v1
	s_wait_alu 0xfffd
	v_cndmask_b32_e32 v0, v12, v0, vcc_lo
	v_cmp_ne_u32_e32 vcc_lo, 0, v6
	v_xor_b32_e32 v6, s20, v8
	s_wait_alu 0xfffd
	v_cndmask_b32_e32 v1, v11, v9, vcc_lo
	v_cmp_ne_u32_e64 s0, 0, v0
	v_cndmask_b32_e32 v0, v10, v7, vcc_lo
	s_wait_alu 0xf1ff
	s_delay_alu instid0(VALU_DEP_2) | instskip(NEXT) | instid1(VALU_DEP_2)
	v_cndmask_b32_e64 v1, v5, v1, s0
	v_cndmask_b32_e64 v0, v4, v0, s0
	s_delay_alu instid0(VALU_DEP_2) | instskip(NEXT) | instid1(VALU_DEP_2)
	v_xor_b32_e32 v1, v1, v6
	v_xor_b32_e32 v0, v0, v6
	s_delay_alu instid0(VALU_DEP_1) | instskip(SKIP_1) | instid1(VALU_DEP_3)
	v_sub_co_u32 v0, vcc_lo, v0, v6
	s_wait_alu 0xfffd
	v_sub_co_ci_u32_e64 v1, null, v1, v6, vcc_lo
.LBB86_2:
	s_wait_alu 0xfffe
	s_or_saveexec_b32 s0, s1
	s_load_b64 s[16:17], s[16:17], 0x0
	s_xor_b32 exec_lo, exec_lo, s0
	s_cbranch_execz .LBB86_4
; %bb.3:
	v_cvt_f32_u32_e32 v0, s2
	s_sub_co_i32 s1, 0, s2
	s_delay_alu instid0(VALU_DEP_1) | instskip(NEXT) | instid1(TRANS32_DEP_1)
	v_rcp_iflag_f32_e32 v0, v0
	v_mul_f32_e32 v0, 0x4f7ffffe, v0
	s_delay_alu instid0(VALU_DEP_1) | instskip(SKIP_1) | instid1(VALU_DEP_1)
	v_cvt_u32_f32_e32 v0, v0
	s_wait_alu 0xfffe
	v_mul_lo_u32 v1, s1, v0
	s_delay_alu instid0(VALU_DEP_1) | instskip(NEXT) | instid1(VALU_DEP_1)
	v_mul_hi_u32 v1, v0, v1
	v_add_nc_u32_e32 v0, v0, v1
	s_delay_alu instid0(VALU_DEP_1) | instskip(NEXT) | instid1(VALU_DEP_1)
	v_mul_hi_u32 v0, v2, v0
	v_mul_lo_u32 v1, v0, s2
	v_add_nc_u32_e32 v4, 1, v0
	s_delay_alu instid0(VALU_DEP_2) | instskip(NEXT) | instid1(VALU_DEP_1)
	v_sub_nc_u32_e32 v1, v2, v1
	v_subrev_nc_u32_e32 v5, s2, v1
	v_cmp_le_u32_e32 vcc_lo, s2, v1
	s_wait_alu 0xfffd
	s_delay_alu instid0(VALU_DEP_2) | instskip(NEXT) | instid1(VALU_DEP_1)
	v_dual_cndmask_b32 v1, v1, v5 :: v_dual_cndmask_b32 v0, v0, v4
	v_cmp_le_u32_e32 vcc_lo, s2, v1
	s_delay_alu instid0(VALU_DEP_2) | instskip(SKIP_1) | instid1(VALU_DEP_1)
	v_dual_mov_b32 v1, 0 :: v_dual_add_nc_u32 v4, 1, v0
	s_wait_alu 0xfffd
	v_cndmask_b32_e32 v0, v0, v4, vcc_lo
.LBB86_4:
	s_or_b32 exec_lo, exec_lo, s0
	s_delay_alu instid0(VALU_DEP_2) | instskip(NEXT) | instid1(VALU_DEP_2)
	v_mul_lo_u32 v6, v1, s2
	v_mul_lo_u32 v7, v0, s3
	v_mad_co_u64_u32 v[4:5], null, v0, s2, 0
	s_wait_kmcnt 0x0
	v_cmp_gt_i64_e64 s0, s[16:17], v[0:1]
	s_delay_alu instid0(VALU_DEP_2) | instskip(NEXT) | instid1(VALU_DEP_3)
	v_add3_u32 v5, v5, v7, v6
	v_sub_co_u32 v4, vcc_lo, v2, v4
	s_wait_alu 0xfffd
	s_delay_alu instid0(VALU_DEP_2) | instskip(NEXT) | instid1(VALU_DEP_1)
	v_sub_co_ci_u32_e64 v5, null, v3, v5, vcc_lo
	v_cmp_gt_i64_e32 vcc_lo, s[12:13], v[4:5]
	s_and_b32 s0, vcc_lo, s0
	s_wait_alu 0xfffe
	s_and_saveexec_b32 s1, s0
	s_cbranch_execz .LBB86_17
; %bb.5:
	v_lshlrev_b64_e32 v[2:3], 2, v[0:1]
	s_add_nc_u64 s[0:1], s[16:17], -1
                                        ; implicit-def: $vgpr10
	s_delay_alu instid0(VALU_DEP_1) | instskip(SKIP_1) | instid1(VALU_DEP_2)
	v_add_co_u32 v6, vcc_lo, s14, v2
	s_wait_alu 0xfffd
	v_add_co_ci_u32_e64 v7, null, s15, v3, vcc_lo
	s_wait_alu 0xfffe
	v_cmp_ne_u64_e32 vcc_lo, s[0:1], v[0:1]
	global_load_b32 v2, v[6:7], off
	s_and_saveexec_b32 s0, vcc_lo
	s_wait_alu 0xfffe
	s_xor_b32 s0, exec_lo, s0
	s_cbranch_execz .LBB86_7
; %bb.6:
	global_load_b32 v10, v[6:7], off offset:4
.LBB86_7:
	s_wait_alu 0xfffe
	s_and_not1_saveexec_b32 s0, s0
	s_cbranch_execz .LBB86_9
; %bb.8:
	s_wait_loadcnt 0x0
	v_mov_b32_e32 v10, s10
.LBB86_9:
	s_wait_alu 0xfffe
	s_or_b32 exec_lo, exec_lo, s0
	v_lshlrev_b64_e32 v[4:5], 2, v[4:5]
	v_mov_b32_e32 v3, 0
	s_mov_b32 s1, exec_lo
	s_wait_loadcnt 0x0
	v_cmpx_lt_i32_e64 v2, v10
	s_cbranch_execz .LBB86_16
; %bb.10:
	v_ashrrev_i32_e32 v3, 31, v2
	v_add_co_u32 v11, vcc_lo, s6, v4
	s_wait_alu 0xfffd
	v_add_co_ci_u32_e64 v12, null, s7, v5, vcc_lo
	s_delay_alu instid0(VALU_DEP_3) | instskip(SKIP_4) | instid1(VALU_DEP_2)
	v_lshlrev_b64_e32 v[8:9], 2, v[2:3]
	v_mov_b32_e32 v3, 0
	s_cmp_lg_u64 s[8:9], 0
	s_mov_b32 s3, 0
	s_cselect_b32 s2, -1, 0
	v_add_co_u32 v6, vcc_lo, s4, v8
	s_wait_alu 0xfffd
	v_add_co_ci_u32_e64 v7, null, s5, v9, vcc_lo
	v_add_co_u32 v8, vcc_lo, s8, v8
	s_wait_alu 0xfffd
	v_add_co_ci_u32_e64 v9, null, s9, v9, vcc_lo
	s_branch .LBB86_13
.LBB86_11:                              ;   in Loop: Header=BB86_13 Depth=1
	global_load_b32 v13, v[8:9], off
	s_wait_loadcnt 0x0
	v_cvt_f32_i32_e32 v13, v13
	s_delay_alu instid0(VALU_DEP_1) | instskip(NEXT) | instid1(VALU_DEP_1)
	v_div_scale_f32 v15, null, v13, v13, 1.0
	v_rcp_f32_e32 v16, v15
	s_delay_alu instid0(TRANS32_DEP_1) | instskip(NEXT) | instid1(VALU_DEP_1)
	v_fma_f32 v17, -v15, v16, 1.0
	v_fmac_f32_e32 v16, v17, v16
	v_div_scale_f32 v17, vcc_lo, 1.0, v13, 1.0
	s_delay_alu instid0(VALU_DEP_1) | instskip(NEXT) | instid1(VALU_DEP_1)
	v_mul_f32_e32 v18, v17, v16
	v_fma_f32 v19, -v15, v18, v17
	s_delay_alu instid0(VALU_DEP_1) | instskip(NEXT) | instid1(VALU_DEP_1)
	v_fmac_f32_e32 v18, v19, v16
	v_fma_f32 v15, -v15, v18, v17
	s_wait_alu 0xfffd
	s_delay_alu instid0(VALU_DEP_1) | instskip(NEXT) | instid1(VALU_DEP_1)
	v_div_fmas_f32 v15, v15, v16, v18
	v_div_fixup_f32 v13, v15, v13, 1.0
.LBB86_12:                              ;   in Loop: Header=BB86_13 Depth=1
	s_wait_loadcnt 0x0
	v_ashrrev_i32_e32 v16, 31, v14
	v_mul_lo_u32 v17, s13, v14
	v_mad_co_u64_u32 v[14:15], null, s12, v14, 0
	v_add_nc_u32_e32 v2, 1, v2
	s_delay_alu instid0(VALU_DEP_4) | instskip(SKIP_3) | instid1(VALU_DEP_3)
	v_mul_lo_u32 v16, s12, v16
	v_add_co_u32 v8, s0, v8, 4
	s_wait_alu 0xf1ff
	v_add_co_ci_u32_e64 v9, null, 0, v9, s0
	v_add3_u32 v15, v15, v16, v17
	s_delay_alu instid0(VALU_DEP_1) | instskip(NEXT) | instid1(VALU_DEP_1)
	v_lshlrev_b64_e32 v[14:15], 2, v[14:15]
	v_add_co_u32 v14, vcc_lo, v11, v14
	s_wait_alu 0xfffd
	s_delay_alu instid0(VALU_DEP_2)
	v_add_co_ci_u32_e64 v15, null, v12, v15, vcc_lo
	v_add_co_u32 v6, vcc_lo, v6, 4
	s_wait_alu 0xfffd
	v_add_co_ci_u32_e64 v7, null, 0, v7, vcc_lo
	global_load_b32 v14, v[14:15], off
	v_cmp_ge_i32_e32 vcc_lo, v2, v10
	s_or_b32 s3, vcc_lo, s3
	s_wait_loadcnt 0x0
	v_fmac_f32_e32 v3, v13, v14
	s_wait_alu 0xfffe
	s_and_not1_b32 exec_lo, exec_lo, s3
	s_cbranch_execz .LBB86_15
.LBB86_13:                              ; =>This Inner Loop Header: Depth=1
	global_load_b32 v14, v[6:7], off
	s_wait_alu 0xfffe
	s_and_not1_b32 vcc_lo, exec_lo, s2
	s_wait_alu 0xfffe
	s_cbranch_vccz .LBB86_11
; %bb.14:                               ;   in Loop: Header=BB86_13 Depth=1
	v_mov_b32_e32 v13, 1.0
	s_branch .LBB86_12
.LBB86_15:
	s_or_b32 exec_lo, exec_lo, s3
.LBB86_16:
	s_wait_alu 0xfffe
	s_or_b32 exec_lo, exec_lo, s1
	v_mul_lo_u32 v2, v1, s12
	v_mul_lo_u32 v6, v0, s13
	v_mad_co_u64_u32 v[0:1], null, v0, s12, 0
	s_delay_alu instid0(VALU_DEP_1) | instskip(NEXT) | instid1(VALU_DEP_1)
	v_add3_u32 v1, v1, v6, v2
	v_lshlrev_b64_e32 v[0:1], 2, v[0:1]
	s_delay_alu instid0(VALU_DEP_1) | instskip(SKIP_1) | instid1(VALU_DEP_2)
	v_add_co_u32 v0, vcc_lo, s18, v0
	s_wait_alu 0xfffd
	v_add_co_ci_u32_e64 v1, null, s19, v1, vcc_lo
	s_delay_alu instid0(VALU_DEP_2) | instskip(SKIP_1) | instid1(VALU_DEP_2)
	v_add_co_u32 v0, vcc_lo, v0, v4
	s_wait_alu 0xfffd
	v_add_co_ci_u32_e64 v1, null, v1, v5, vcc_lo
	global_store_b32 v[0:1], v3, off
.LBB86_17:
	s_endpgm
	.section	.rodata,"a",@progbits
	.p2align	6, 0x0
	.amdhsa_kernel _ZN2at6native12_GLOBAL__N_119compute_grad_weightIfiEEvPKT0_PKT_S5_llS5_PKlPNS_14AccumulateTypeIS6_Lb1EE4typeEl
		.amdhsa_group_segment_fixed_size 0
		.amdhsa_private_segment_fixed_size 0
		.amdhsa_kernarg_size 328
		.amdhsa_user_sgpr_count 2
		.amdhsa_user_sgpr_dispatch_ptr 0
		.amdhsa_user_sgpr_queue_ptr 0
		.amdhsa_user_sgpr_kernarg_segment_ptr 1
		.amdhsa_user_sgpr_dispatch_id 0
		.amdhsa_user_sgpr_private_segment_size 0
		.amdhsa_wavefront_size32 1
		.amdhsa_uses_dynamic_stack 0
		.amdhsa_enable_private_segment 0
		.amdhsa_system_sgpr_workgroup_id_x 1
		.amdhsa_system_sgpr_workgroup_id_y 0
		.amdhsa_system_sgpr_workgroup_id_z 0
		.amdhsa_system_sgpr_workgroup_info 0
		.amdhsa_system_vgpr_workitem_id 0
		.amdhsa_next_free_vgpr 20
		.amdhsa_next_free_sgpr 36
		.amdhsa_reserve_vcc 1
		.amdhsa_float_round_mode_32 0
		.amdhsa_float_round_mode_16_64 0
		.amdhsa_float_denorm_mode_32 3
		.amdhsa_float_denorm_mode_16_64 3
		.amdhsa_fp16_overflow 0
		.amdhsa_workgroup_processor_mode 1
		.amdhsa_memory_ordered 1
		.amdhsa_forward_progress 1
		.amdhsa_inst_pref_size 14
		.amdhsa_round_robin_scheduling 0
		.amdhsa_exception_fp_ieee_invalid_op 0
		.amdhsa_exception_fp_denorm_src 0
		.amdhsa_exception_fp_ieee_div_zero 0
		.amdhsa_exception_fp_ieee_overflow 0
		.amdhsa_exception_fp_ieee_underflow 0
		.amdhsa_exception_fp_ieee_inexact 0
		.amdhsa_exception_int_div_zero 0
	.end_amdhsa_kernel
	.section	.text._ZN2at6native12_GLOBAL__N_119compute_grad_weightIfiEEvPKT0_PKT_S5_llS5_PKlPNS_14AccumulateTypeIS6_Lb1EE4typeEl,"axG",@progbits,_ZN2at6native12_GLOBAL__N_119compute_grad_weightIfiEEvPKT0_PKT_S5_llS5_PKlPNS_14AccumulateTypeIS6_Lb1EE4typeEl,comdat
.Lfunc_end86:
	.size	_ZN2at6native12_GLOBAL__N_119compute_grad_weightIfiEEvPKT0_PKT_S5_llS5_PKlPNS_14AccumulateTypeIS6_Lb1EE4typeEl, .Lfunc_end86-_ZN2at6native12_GLOBAL__N_119compute_grad_weightIfiEEvPKT0_PKT_S5_llS5_PKlPNS_14AccumulateTypeIS6_Lb1EE4typeEl
                                        ; -- End function
	.set _ZN2at6native12_GLOBAL__N_119compute_grad_weightIfiEEvPKT0_PKT_S5_llS5_PKlPNS_14AccumulateTypeIS6_Lb1EE4typeEl.num_vgpr, 20
	.set _ZN2at6native12_GLOBAL__N_119compute_grad_weightIfiEEvPKT0_PKT_S5_llS5_PKlPNS_14AccumulateTypeIS6_Lb1EE4typeEl.num_agpr, 0
	.set _ZN2at6native12_GLOBAL__N_119compute_grad_weightIfiEEvPKT0_PKT_S5_llS5_PKlPNS_14AccumulateTypeIS6_Lb1EE4typeEl.numbered_sgpr, 36
	.set _ZN2at6native12_GLOBAL__N_119compute_grad_weightIfiEEvPKT0_PKT_S5_llS5_PKlPNS_14AccumulateTypeIS6_Lb1EE4typeEl.num_named_barrier, 0
	.set _ZN2at6native12_GLOBAL__N_119compute_grad_weightIfiEEvPKT0_PKT_S5_llS5_PKlPNS_14AccumulateTypeIS6_Lb1EE4typeEl.private_seg_size, 0
	.set _ZN2at6native12_GLOBAL__N_119compute_grad_weightIfiEEvPKT0_PKT_S5_llS5_PKlPNS_14AccumulateTypeIS6_Lb1EE4typeEl.uses_vcc, 1
	.set _ZN2at6native12_GLOBAL__N_119compute_grad_weightIfiEEvPKT0_PKT_S5_llS5_PKlPNS_14AccumulateTypeIS6_Lb1EE4typeEl.uses_flat_scratch, 0
	.set _ZN2at6native12_GLOBAL__N_119compute_grad_weightIfiEEvPKT0_PKT_S5_llS5_PKlPNS_14AccumulateTypeIS6_Lb1EE4typeEl.has_dyn_sized_stack, 0
	.set _ZN2at6native12_GLOBAL__N_119compute_grad_weightIfiEEvPKT0_PKT_S5_llS5_PKlPNS_14AccumulateTypeIS6_Lb1EE4typeEl.has_recursion, 0
	.set _ZN2at6native12_GLOBAL__N_119compute_grad_weightIfiEEvPKT0_PKT_S5_llS5_PKlPNS_14AccumulateTypeIS6_Lb1EE4typeEl.has_indirect_call, 0
	.section	.AMDGPU.csdata,"",@progbits
; Kernel info:
; codeLenInByte = 1748
; TotalNumSgprs: 38
; NumVgprs: 20
; ScratchSize: 0
; MemoryBound: 0
; FloatMode: 240
; IeeeMode: 1
; LDSByteSize: 0 bytes/workgroup (compile time only)
; SGPRBlocks: 0
; VGPRBlocks: 2
; NumSGPRsForWavesPerEU: 38
; NumVGPRsForWavesPerEU: 20
; Occupancy: 16
; WaveLimiterHint : 1
; COMPUTE_PGM_RSRC2:SCRATCH_EN: 0
; COMPUTE_PGM_RSRC2:USER_SGPR: 2
; COMPUTE_PGM_RSRC2:TRAP_HANDLER: 0
; COMPUTE_PGM_RSRC2:TGID_X_EN: 1
; COMPUTE_PGM_RSRC2:TGID_Y_EN: 0
; COMPUTE_PGM_RSRC2:TGID_Z_EN: 0
; COMPUTE_PGM_RSRC2:TIDIG_COMP_CNT: 0
	.section	.text._ZN2at6native12_GLOBAL__N_115sum_and_scatterIfiEEvPKT0_PT_lS5_PKlPKNS_14AccumulateTypeIS6_Lb1EE4typeES5_S9_ll,"axG",@progbits,_ZN2at6native12_GLOBAL__N_115sum_and_scatterIfiEEvPKT0_PT_lS5_PKlPKNS_14AccumulateTypeIS6_Lb1EE4typeES5_S9_ll,comdat
	.globl	_ZN2at6native12_GLOBAL__N_115sum_and_scatterIfiEEvPKT0_PT_lS5_PKlPKNS_14AccumulateTypeIS6_Lb1EE4typeES5_S9_ll ; -- Begin function _ZN2at6native12_GLOBAL__N_115sum_and_scatterIfiEEvPKT0_PT_lS5_PKlPKNS_14AccumulateTypeIS6_Lb1EE4typeES5_S9_ll
	.p2align	8
	.type	_ZN2at6native12_GLOBAL__N_115sum_and_scatterIfiEEvPKT0_PT_lS5_PKlPKNS_14AccumulateTypeIS6_Lb1EE4typeES5_S9_ll,@function
_ZN2at6native12_GLOBAL__N_115sum_and_scatterIfiEEvPKT0_PT_lS5_PKlPKNS_14AccumulateTypeIS6_Lb1EE4typeES5_S9_ll: ; @_ZN2at6native12_GLOBAL__N_115sum_and_scatterIfiEEvPKT0_PT_lS5_PKlPKNS_14AccumulateTypeIS6_Lb1EE4typeES5_S9_ll
; %bb.0:
	s_clause 0x2
	s_load_b32 s2, s[0:1], 0x5c
	s_load_b128 s[20:23], s[0:1], 0x40
	s_load_b512 s[4:19], s[0:1], 0x0
	v_mov_b32_e32 v1, 0
                                        ; implicit-def: $vgpr8_vgpr9
	s_delay_alu instid0(VALU_DEP_1) | instskip(SKIP_2) | instid1(SALU_CYCLE_1)
	v_mov_b32_e32 v4, v1
	s_wait_kmcnt 0x0
	s_and_b32 s0, s2, 0xffff
	v_mad_co_u64_u32 v[2:3], null, s0, ttmp9, v[0:1]
	s_mov_b32 s0, exec_lo
	v_or_b32_e32 v5, s23, v3
	s_delay_alu instid0(VALU_DEP_1)
	v_cmpx_ne_u64_e32 0, v[4:5]
	s_wait_alu 0xfffe
	s_xor_b32 s1, exec_lo, s0
	s_cbranch_execz .LBB87_2
; %bb.1:
	s_ashr_i32 s2, s23, 31
	s_mov_b32 s35, 0
	s_mov_b32 s3, s2
	v_ashrrev_i32_e32 v8, 31, v3
	s_add_nc_u64 s[24:25], s[22:23], s[2:3]
	s_delay_alu instid0(SALU_CYCLE_1) | instskip(NEXT) | instid1(VALU_DEP_1)
	s_xor_b64 s[24:25], s[24:25], s[2:3]
	v_add_co_u32 v0, vcc_lo, v2, v8
	s_cvt_f32_u32 s0, s24
	s_cvt_f32_u32 s3, s25
	s_sub_nc_u64 s[28:29], 0, s[24:25]
	v_add_co_ci_u32_e64 v1, null, v3, v8, vcc_lo
	s_wait_alu 0xfffe
	s_fmamk_f32 s0, s3, 0x4f800000, s0
	v_xor_b32_e32 v9, v0, v8
	s_delay_alu instid0(VALU_DEP_2) | instskip(SKIP_2) | instid1(TRANS32_DEP_1)
	v_xor_b32_e32 v10, v1, v8
	s_wait_alu 0xfffe
	v_s_rcp_f32 s0, s0
	s_mul_f32 s0, s0, 0x5f7ffffc
	s_wait_alu 0xfffe
	s_delay_alu instid0(SALU_CYCLE_2) | instskip(NEXT) | instid1(SALU_CYCLE_3)
	s_mul_f32 s3, s0, 0x2f800000
	s_trunc_f32 s3, s3
	s_delay_alu instid0(SALU_CYCLE_3) | instskip(SKIP_2) | instid1(SALU_CYCLE_1)
	s_fmamk_f32 s0, s3, 0xcf800000, s0
	s_cvt_u32_f32 s27, s3
	s_wait_alu 0xfffe
	s_cvt_u32_f32 s26, s0
	s_delay_alu instid0(SALU_CYCLE_3) | instskip(NEXT) | instid1(SALU_CYCLE_1)
	s_mul_u64 s[30:31], s[28:29], s[26:27]
	s_mul_hi_u32 s37, s26, s31
	s_mul_i32 s36, s26, s31
	s_mul_hi_u32 s34, s26, s30
	s_mul_i32 s3, s27, s30
	s_add_nc_u64 s[36:37], s[34:35], s[36:37]
	s_mul_hi_u32 s0, s27, s30
	s_mul_hi_u32 s33, s27, s31
	s_add_co_u32 s3, s36, s3
	s_wait_alu 0xfffe
	s_add_co_ci_u32 s34, s37, s0
	s_mul_i32 s30, s27, s31
	s_add_co_ci_u32 s31, s33, 0
	s_delay_alu instid0(SALU_CYCLE_1) | instskip(NEXT) | instid1(SALU_CYCLE_1)
	s_add_nc_u64 s[30:31], s[34:35], s[30:31]
	s_add_co_u32 s26, s26, s30
	s_cselect_b32 s0, -1, 0
	s_wait_alu 0xfffe
	s_cmp_lg_u32 s0, 0
	s_add_co_ci_u32 s27, s27, s31
	s_delay_alu instid0(SALU_CYCLE_1) | instskip(NEXT) | instid1(SALU_CYCLE_1)
	s_mul_u64 s[28:29], s[28:29], s[26:27]
	s_mul_hi_u32 s31, s26, s29
	s_mul_i32 s30, s26, s29
	s_mul_hi_u32 s34, s26, s28
	s_mul_i32 s3, s27, s28
	s_add_nc_u64 s[30:31], s[34:35], s[30:31]
	s_mul_hi_u32 s0, s27, s28
	s_mul_hi_u32 s33, s27, s29
	s_add_co_u32 s3, s30, s3
	s_wait_alu 0xfffe
	s_add_co_ci_u32 s34, s31, s0
	s_mul_i32 s28, s27, s29
	s_add_co_ci_u32 s29, s33, 0
	s_delay_alu instid0(SALU_CYCLE_1) | instskip(NEXT) | instid1(SALU_CYCLE_1)
	s_add_nc_u64 s[28:29], s[34:35], s[28:29]
	s_add_co_u32 s0, s26, s28
	s_cselect_b32 s3, -1, 0
	s_wait_alu 0xfffe
	v_mul_hi_u32 v11, v9, s0
	s_cmp_lg_u32 s3, 0
	v_mad_co_u64_u32 v[4:5], null, v10, s0, 0
	s_add_co_ci_u32 s3, s27, s29
	s_delay_alu instid0(SALU_CYCLE_1) | instskip(SKIP_1) | instid1(VALU_DEP_2)
	v_mad_co_u64_u32 v[0:1], null, v9, s3, 0
	v_mad_co_u64_u32 v[6:7], null, v10, s3, 0
	v_add_co_u32 v0, vcc_lo, v11, v0
	s_wait_alu 0xfffd
	s_delay_alu instid0(VALU_DEP_3) | instskip(NEXT) | instid1(VALU_DEP_2)
	v_add_co_ci_u32_e64 v1, null, 0, v1, vcc_lo
	v_add_co_u32 v0, vcc_lo, v0, v4
	s_wait_alu 0xfffd
	s_delay_alu instid0(VALU_DEP_2) | instskip(SKIP_2) | instid1(VALU_DEP_2)
	v_add_co_ci_u32_e32 v0, vcc_lo, v1, v5, vcc_lo
	s_wait_alu 0xfffd
	v_add_co_ci_u32_e32 v1, vcc_lo, 0, v7, vcc_lo
	v_add_co_u32 v4, vcc_lo, v0, v6
	s_wait_alu 0xfffd
	s_delay_alu instid0(VALU_DEP_2) | instskip(NEXT) | instid1(VALU_DEP_2)
	v_add_co_ci_u32_e64 v5, null, 0, v1, vcc_lo
	v_mul_lo_u32 v6, s25, v4
	v_mad_co_u64_u32 v[0:1], null, s24, v4, 0
	s_delay_alu instid0(VALU_DEP_3) | instskip(NEXT) | instid1(VALU_DEP_2)
	v_mul_lo_u32 v7, s24, v5
	v_sub_co_u32 v0, vcc_lo, v9, v0
	s_delay_alu instid0(VALU_DEP_2) | instskip(SKIP_3) | instid1(VALU_DEP_3)
	v_add3_u32 v1, v1, v7, v6
	v_add_co_u32 v7, s0, v4, 2
	s_wait_alu 0xf1ff
	v_add_co_ci_u32_e64 v9, null, 0, v5, s0
	v_sub_nc_u32_e32 v6, v10, v1
	v_sub_co_u32 v11, s0, v0, s24
	s_wait_alu 0xfffd
	v_sub_co_ci_u32_e64 v1, null, v10, v1, vcc_lo
	s_delay_alu instid0(VALU_DEP_3) | instskip(NEXT) | instid1(VALU_DEP_3)
	v_subrev_co_ci_u32_e64 v6, null, s25, v6, vcc_lo
	v_cmp_le_u32_e32 vcc_lo, s24, v11
	s_wait_alu 0xf1ff
	s_delay_alu instid0(VALU_DEP_2) | instskip(SKIP_2) | instid1(VALU_DEP_2)
	v_subrev_co_ci_u32_e64 v6, null, 0, v6, s0
	s_wait_alu 0xfffd
	v_cndmask_b32_e64 v10, 0, -1, vcc_lo
	v_cmp_le_u32_e32 vcc_lo, s25, v6
	s_wait_alu 0xfffd
	v_cndmask_b32_e64 v11, 0, -1, vcc_lo
	v_cmp_le_u32_e32 vcc_lo, s24, v0
	;; [unrolled: 3-line block ×3, first 2 shown]
	s_wait_alu 0xfffd
	v_cndmask_b32_e64 v12, 0, -1, vcc_lo
	v_cmp_eq_u32_e32 vcc_lo, s25, v6
	s_wait_alu 0xfffd
	v_cndmask_b32_e32 v6, v11, v10, vcc_lo
	v_add_co_u32 v10, vcc_lo, v4, 1
	s_wait_alu 0xfffd
	v_add_co_ci_u32_e64 v11, null, 0, v5, vcc_lo
	v_cmp_eq_u32_e32 vcc_lo, s25, v1
	s_wait_alu 0xfffd
	v_cndmask_b32_e32 v0, v12, v0, vcc_lo
	v_cmp_ne_u32_e32 vcc_lo, 0, v6
	v_xor_b32_e32 v6, s2, v8
	s_wait_alu 0xfffd
	v_cndmask_b32_e32 v1, v11, v9, vcc_lo
	v_cmp_ne_u32_e64 s0, 0, v0
	v_cndmask_b32_e32 v0, v10, v7, vcc_lo
	s_wait_alu 0xf1ff
	s_delay_alu instid0(VALU_DEP_2) | instskip(NEXT) | instid1(VALU_DEP_2)
	v_cndmask_b32_e64 v1, v5, v1, s0
	v_cndmask_b32_e64 v0, v4, v0, s0
	s_delay_alu instid0(VALU_DEP_2) | instskip(NEXT) | instid1(VALU_DEP_2)
	v_xor_b32_e32 v1, v1, v6
	v_xor_b32_e32 v0, v0, v6
	s_delay_alu instid0(VALU_DEP_1) | instskip(SKIP_1) | instid1(VALU_DEP_3)
	v_sub_co_u32 v8, vcc_lo, v0, v6
	s_wait_alu 0xfffd
	v_sub_co_ci_u32_e64 v9, null, v1, v6, vcc_lo
.LBB87_2:
	s_wait_alu 0xfffe
	s_or_saveexec_b32 s0, s1
	s_load_b64 s[2:3], s[12:13], 0x0
	s_xor_b32 exec_lo, exec_lo, s0
	s_cbranch_execz .LBB87_4
; %bb.3:
	v_cvt_f32_u32_e32 v0, s22
	s_sub_co_i32 s1, 0, s22
	v_mov_b32_e32 v9, 0
	s_delay_alu instid0(VALU_DEP_2) | instskip(NEXT) | instid1(TRANS32_DEP_1)
	v_rcp_iflag_f32_e32 v0, v0
	v_mul_f32_e32 v0, 0x4f7ffffe, v0
	s_delay_alu instid0(VALU_DEP_1) | instskip(SKIP_1) | instid1(VALU_DEP_1)
	v_cvt_u32_f32_e32 v0, v0
	s_wait_alu 0xfffe
	v_mul_lo_u32 v1, s1, v0
	s_delay_alu instid0(VALU_DEP_1) | instskip(NEXT) | instid1(VALU_DEP_1)
	v_mul_hi_u32 v1, v0, v1
	v_add_nc_u32_e32 v0, v0, v1
	s_delay_alu instid0(VALU_DEP_1) | instskip(NEXT) | instid1(VALU_DEP_1)
	v_mul_hi_u32 v0, v2, v0
	v_mul_lo_u32 v1, v0, s22
	v_add_nc_u32_e32 v4, 1, v0
	s_delay_alu instid0(VALU_DEP_2) | instskip(NEXT) | instid1(VALU_DEP_1)
	v_sub_nc_u32_e32 v1, v2, v1
	v_subrev_nc_u32_e32 v5, s22, v1
	v_cmp_le_u32_e32 vcc_lo, s22, v1
	s_wait_alu 0xfffd
	s_delay_alu instid0(VALU_DEP_2) | instskip(NEXT) | instid1(VALU_DEP_1)
	v_dual_cndmask_b32 v1, v1, v5 :: v_dual_cndmask_b32 v0, v0, v4
	v_cmp_le_u32_e32 vcc_lo, s22, v1
	s_delay_alu instid0(VALU_DEP_2) | instskip(SKIP_1) | instid1(VALU_DEP_1)
	v_add_nc_u32_e32 v4, 1, v0
	s_wait_alu 0xfffd
	v_cndmask_b32_e32 v8, v0, v4, vcc_lo
.LBB87_4:
	s_or_b32 exec_lo, exec_lo, s0
	v_mul_lo_u32 v0, v9, s22
	s_delay_alu instid0(VALU_DEP_2) | instskip(SKIP_3) | instid1(VALU_DEP_2)
	v_mul_lo_u32 v1, v8, s23
	v_mad_co_u64_u32 v[6:7], null, v8, s22, 0
	s_wait_kmcnt 0x0
	v_cmp_gt_i64_e64 s0, s[2:3], v[8:9]
	v_add3_u32 v7, v7, v1, v0
	s_delay_alu instid0(VALU_DEP_3) | instskip(SKIP_1) | instid1(VALU_DEP_2)
	v_sub_co_u32 v0, vcc_lo, v2, v6
	s_wait_alu 0xfffd
	v_sub_co_ci_u32_e64 v1, null, v3, v7, vcc_lo
	s_delay_alu instid0(VALU_DEP_1)
	v_cmp_gt_i64_e32 vcc_lo, s[8:9], v[0:1]
	s_and_b32 s0, vcc_lo, s0
	s_wait_alu 0xfffe
	s_and_saveexec_b32 s1, s0
	s_cbranch_execz .LBB87_13
; %bb.5:
	v_lshlrev_b64_e32 v[4:5], 2, v[8:9]
	s_load_b64 s[0:1], s[18:19], 0x0
	s_add_nc_u64 s[2:3], s[2:3], -1
	s_delay_alu instid0(VALU_DEP_1) | instskip(SKIP_1) | instid1(VALU_DEP_2)
	v_add_co_u32 v10, vcc_lo, s16, v4
	s_wait_alu 0xfffd
	v_add_co_ci_u32_e64 v11, null, s17, v5, vcc_lo
	s_wait_alu 0xfffe
	v_cmp_ne_u64_e32 vcc_lo, s[2:3], v[8:9]
	global_load_b32 v12, v[10:11], off
	s_wait_kmcnt 0x0
	v_mov_b32_e32 v9, s0
	s_and_saveexec_b32 s0, vcc_lo
	s_wait_alu 0xfffe
	s_xor_b32 s0, exec_lo, s0
	s_cbranch_execz .LBB87_7
; %bb.6:
	global_load_b32 v9, v[10:11], off offset:4
.LBB87_7:
	s_wait_alu 0xfffe
	s_and_not1_saveexec_b32 s0, s0
	s_wait_alu 0xfffe
	s_or_b32 exec_lo, exec_lo, s0
	v_mov_b32_e32 v8, 0
	s_mov_b32 s1, exec_lo
	s_wait_loadcnt 0x0
	v_cmpx_lt_i32_e64 v12, v9
	s_cbranch_execz .LBB87_11
; %bb.8:
	v_ashrrev_i32_e32 v8, 31, v12
	v_mul_lo_u32 v13, s9, v12
	v_mad_co_u64_u32 v[10:11], null, s8, v12, 0
	v_lshlrev_b64_e32 v[2:3], 2, v[2:3]
	s_delay_alu instid0(VALU_DEP_4) | instskip(SKIP_3) | instid1(VALU_DEP_2)
	v_mul_lo_u32 v8, s8, v8
	v_lshlrev_b64_e32 v[6:7], 2, v[6:7]
	s_lshl_b64 s[2:3], s[8:9], 2
	s_mov_b32 s12, 0
	v_add3_u32 v11, v11, v8, v13
	v_mov_b32_e32 v8, 0
	s_delay_alu instid0(VALU_DEP_2) | instskip(NEXT) | instid1(VALU_DEP_1)
	v_lshlrev_b64_e32 v[10:11], 2, v[10:11]
	v_add_co_u32 v2, vcc_lo, v10, v2
	s_wait_alu 0xfffd
	s_delay_alu instid0(VALU_DEP_2) | instskip(NEXT) | instid1(VALU_DEP_2)
	v_add_co_ci_u32_e64 v3, null, v11, v3, vcc_lo
	v_sub_co_u32 v2, vcc_lo, v2, v6
	s_wait_alu 0xfffd
	s_delay_alu instid0(VALU_DEP_2) | instskip(NEXT) | instid1(VALU_DEP_2)
	v_sub_co_ci_u32_e64 v3, null, v3, v7, vcc_lo
	v_add_co_u32 v2, vcc_lo, s14, v2
	s_wait_alu 0xfffd
	s_delay_alu instid0(VALU_DEP_2)
	v_add_co_ci_u32_e64 v3, null, s15, v3, vcc_lo
.LBB87_9:                               ; =>This Inner Loop Header: Depth=1
	global_load_b32 v6, v[2:3], off
	v_add_nc_u32_e32 v12, 1, v12
	s_wait_alu 0xfffe
	v_add_co_u32 v2, vcc_lo, v2, s2
	s_wait_alu 0xfffd
	v_add_co_ci_u32_e64 v3, null, s3, v3, vcc_lo
	v_cmp_ge_i32_e64 s0, v12, v9
	s_or_b32 s12, s0, s12
	s_wait_loadcnt 0x0
	v_add_f32_e32 v8, v8, v6
	s_and_not1_b32 exec_lo, exec_lo, s12
	s_cbranch_execnz .LBB87_9
; %bb.10:
	s_or_b32 exec_lo, exec_lo, s12
.LBB87_11:
	s_wait_alu 0xfffe
	s_or_b32 exec_lo, exec_lo, s1
	v_add_co_u32 v2, vcc_lo, s10, v4
	s_wait_alu 0xfffd
	v_add_co_ci_u32_e64 v3, null, s11, v5, vcc_lo
	global_load_b32 v2, v[2:3], off
	s_wait_loadcnt 0x0
	v_ashrrev_i32_e32 v3, 31, v2
	s_delay_alu instid0(VALU_DEP_1) | instskip(NEXT) | instid1(VALU_DEP_1)
	v_lshlrev_b64_e32 v[2:3], 2, v[2:3]
	v_add_co_u32 v2, vcc_lo, s4, v2
	s_wait_alu 0xfffd
	s_delay_alu instid0(VALU_DEP_2) | instskip(SKIP_3) | instid1(VALU_DEP_1)
	v_add_co_ci_u32_e64 v3, null, s5, v3, vcc_lo
	global_load_b32 v2, v[2:3], off
	s_wait_loadcnt 0x0
	v_ashrrev_i32_e32 v3, 31, v2
	v_cmp_ne_u64_e32 vcc_lo, s[20:21], v[2:3]
	s_and_b32 exec_lo, exec_lo, vcc_lo
	s_cbranch_execz .LBB87_13
; %bb.12:
	v_mul_lo_u32 v4, s9, v2
	v_mul_lo_u32 v5, s8, v3
	v_mad_co_u64_u32 v[2:3], null, s8, v2, 0
	v_lshlrev_b64_e32 v[0:1], 2, v[0:1]
	s_delay_alu instid0(VALU_DEP_2) | instskip(NEXT) | instid1(VALU_DEP_1)
	v_add3_u32 v3, v3, v5, v4
	v_lshlrev_b64_e32 v[2:3], 2, v[2:3]
	s_delay_alu instid0(VALU_DEP_1) | instskip(SKIP_1) | instid1(VALU_DEP_2)
	v_add_co_u32 v2, vcc_lo, s6, v2
	s_wait_alu 0xfffd
	v_add_co_ci_u32_e64 v3, null, s7, v3, vcc_lo
	s_delay_alu instid0(VALU_DEP_2) | instskip(SKIP_1) | instid1(VALU_DEP_2)
	v_add_co_u32 v0, vcc_lo, v2, v0
	s_wait_alu 0xfffd
	v_add_co_ci_u32_e64 v1, null, v3, v1, vcc_lo
	global_store_b32 v[0:1], v8, off
.LBB87_13:
	s_endpgm
	.section	.rodata,"a",@progbits
	.p2align	6, 0x0
	.amdhsa_kernel _ZN2at6native12_GLOBAL__N_115sum_and_scatterIfiEEvPKT0_PT_lS5_PKlPKNS_14AccumulateTypeIS6_Lb1EE4typeES5_S9_ll
		.amdhsa_group_segment_fixed_size 0
		.amdhsa_private_segment_fixed_size 0
		.amdhsa_kernarg_size 336
		.amdhsa_user_sgpr_count 2
		.amdhsa_user_sgpr_dispatch_ptr 0
		.amdhsa_user_sgpr_queue_ptr 0
		.amdhsa_user_sgpr_kernarg_segment_ptr 1
		.amdhsa_user_sgpr_dispatch_id 0
		.amdhsa_user_sgpr_private_segment_size 0
		.amdhsa_wavefront_size32 1
		.amdhsa_uses_dynamic_stack 0
		.amdhsa_enable_private_segment 0
		.amdhsa_system_sgpr_workgroup_id_x 1
		.amdhsa_system_sgpr_workgroup_id_y 0
		.amdhsa_system_sgpr_workgroup_id_z 0
		.amdhsa_system_sgpr_workgroup_info 0
		.amdhsa_system_vgpr_workitem_id 0
		.amdhsa_next_free_vgpr 14
		.amdhsa_next_free_sgpr 38
		.amdhsa_reserve_vcc 1
		.amdhsa_float_round_mode_32 0
		.amdhsa_float_round_mode_16_64 0
		.amdhsa_float_denorm_mode_32 3
		.amdhsa_float_denorm_mode_16_64 3
		.amdhsa_fp16_overflow 0
		.amdhsa_workgroup_processor_mode 1
		.amdhsa_memory_ordered 1
		.amdhsa_forward_progress 1
		.amdhsa_inst_pref_size 13
		.amdhsa_round_robin_scheduling 0
		.amdhsa_exception_fp_ieee_invalid_op 0
		.amdhsa_exception_fp_denorm_src 0
		.amdhsa_exception_fp_ieee_div_zero 0
		.amdhsa_exception_fp_ieee_overflow 0
		.amdhsa_exception_fp_ieee_underflow 0
		.amdhsa_exception_fp_ieee_inexact 0
		.amdhsa_exception_int_div_zero 0
	.end_amdhsa_kernel
	.section	.text._ZN2at6native12_GLOBAL__N_115sum_and_scatterIfiEEvPKT0_PT_lS5_PKlPKNS_14AccumulateTypeIS6_Lb1EE4typeES5_S9_ll,"axG",@progbits,_ZN2at6native12_GLOBAL__N_115sum_and_scatterIfiEEvPKT0_PT_lS5_PKlPKNS_14AccumulateTypeIS6_Lb1EE4typeES5_S9_ll,comdat
.Lfunc_end87:
	.size	_ZN2at6native12_GLOBAL__N_115sum_and_scatterIfiEEvPKT0_PT_lS5_PKlPKNS_14AccumulateTypeIS6_Lb1EE4typeES5_S9_ll, .Lfunc_end87-_ZN2at6native12_GLOBAL__N_115sum_and_scatterIfiEEvPKT0_PT_lS5_PKlPKNS_14AccumulateTypeIS6_Lb1EE4typeES5_S9_ll
                                        ; -- End function
	.set _ZN2at6native12_GLOBAL__N_115sum_and_scatterIfiEEvPKT0_PT_lS5_PKlPKNS_14AccumulateTypeIS6_Lb1EE4typeES5_S9_ll.num_vgpr, 14
	.set _ZN2at6native12_GLOBAL__N_115sum_and_scatterIfiEEvPKT0_PT_lS5_PKlPKNS_14AccumulateTypeIS6_Lb1EE4typeES5_S9_ll.num_agpr, 0
	.set _ZN2at6native12_GLOBAL__N_115sum_and_scatterIfiEEvPKT0_PT_lS5_PKlPKNS_14AccumulateTypeIS6_Lb1EE4typeES5_S9_ll.numbered_sgpr, 38
	.set _ZN2at6native12_GLOBAL__N_115sum_and_scatterIfiEEvPKT0_PT_lS5_PKlPKNS_14AccumulateTypeIS6_Lb1EE4typeES5_S9_ll.num_named_barrier, 0
	.set _ZN2at6native12_GLOBAL__N_115sum_and_scatterIfiEEvPKT0_PT_lS5_PKlPKNS_14AccumulateTypeIS6_Lb1EE4typeES5_S9_ll.private_seg_size, 0
	.set _ZN2at6native12_GLOBAL__N_115sum_and_scatterIfiEEvPKT0_PT_lS5_PKlPKNS_14AccumulateTypeIS6_Lb1EE4typeES5_S9_ll.uses_vcc, 1
	.set _ZN2at6native12_GLOBAL__N_115sum_and_scatterIfiEEvPKT0_PT_lS5_PKlPKNS_14AccumulateTypeIS6_Lb1EE4typeES5_S9_ll.uses_flat_scratch, 0
	.set _ZN2at6native12_GLOBAL__N_115sum_and_scatterIfiEEvPKT0_PT_lS5_PKlPKNS_14AccumulateTypeIS6_Lb1EE4typeES5_S9_ll.has_dyn_sized_stack, 0
	.set _ZN2at6native12_GLOBAL__N_115sum_and_scatterIfiEEvPKT0_PT_lS5_PKlPKNS_14AccumulateTypeIS6_Lb1EE4typeES5_S9_ll.has_recursion, 0
	.set _ZN2at6native12_GLOBAL__N_115sum_and_scatterIfiEEvPKT0_PT_lS5_PKlPKNS_14AccumulateTypeIS6_Lb1EE4typeES5_S9_ll.has_indirect_call, 0
	.section	.AMDGPU.csdata,"",@progbits
; Kernel info:
; codeLenInByte = 1660
; TotalNumSgprs: 40
; NumVgprs: 14
; ScratchSize: 0
; MemoryBound: 0
; FloatMode: 240
; IeeeMode: 1
; LDSByteSize: 0 bytes/workgroup (compile time only)
; SGPRBlocks: 0
; VGPRBlocks: 1
; NumSGPRsForWavesPerEU: 40
; NumVGPRsForWavesPerEU: 14
; Occupancy: 16
; WaveLimiterHint : 1
; COMPUTE_PGM_RSRC2:SCRATCH_EN: 0
; COMPUTE_PGM_RSRC2:USER_SGPR: 2
; COMPUTE_PGM_RSRC2:TRAP_HANDLER: 0
; COMPUTE_PGM_RSRC2:TGID_X_EN: 1
; COMPUTE_PGM_RSRC2:TGID_Y_EN: 0
; COMPUTE_PGM_RSRC2:TGID_Z_EN: 0
; COMPUTE_PGM_RSRC2:TIDIG_COMP_CNT: 0
	.section	.text._ZN2at6native12_GLOBAL__N_137compute_grad_weight_atomic_accumulateIN3c104HalfEfiEEvPKT1_PKT_S7_llS7_PKlS7_S7_S7_PT0_ll,"axG",@progbits,_ZN2at6native12_GLOBAL__N_137compute_grad_weight_atomic_accumulateIN3c104HalfEfiEEvPKT1_PKT_S7_llS7_PKlS7_S7_S7_PT0_ll,comdat
	.globl	_ZN2at6native12_GLOBAL__N_137compute_grad_weight_atomic_accumulateIN3c104HalfEfiEEvPKT1_PKT_S7_llS7_PKlS7_S7_S7_PT0_ll ; -- Begin function _ZN2at6native12_GLOBAL__N_137compute_grad_weight_atomic_accumulateIN3c104HalfEfiEEvPKT1_PKT_S7_llS7_PKlS7_S7_S7_PT0_ll
	.p2align	8
	.type	_ZN2at6native12_GLOBAL__N_137compute_grad_weight_atomic_accumulateIN3c104HalfEfiEEvPKT1_PKT_S7_llS7_PKlS7_S7_S7_PT0_ll,@function
_ZN2at6native12_GLOBAL__N_137compute_grad_weight_atomic_accumulateIN3c104HalfEfiEEvPKT1_PKT_S7_llS7_PKlS7_S7_S7_PT0_ll: ; @_ZN2at6native12_GLOBAL__N_137compute_grad_weight_atomic_accumulateIN3c104HalfEfiEEvPKT1_PKT_S7_llS7_PKlS7_S7_S7_PT0_ll
; %bb.0:
	s_clause 0x1
	s_load_b32 s2, s[0:1], 0x74
	s_load_b64 s[20:21], s[0:1], 0x60
	v_mov_b32_e32 v2, 0
                                        ; implicit-def: $vgpr5_vgpr6
	s_wait_kmcnt 0x0
	s_and_b32 s2, s2, 0xffff
	s_delay_alu instid0(SALU_CYCLE_1) | instskip(SKIP_2) | instid1(VALU_DEP_1)
	v_mad_co_u64_u32 v[0:1], null, ttmp9, s2, v[0:1]
	s_mov_b32 s2, exec_lo
	v_ashrrev_i32_e32 v1, 31, v0
	v_or_b32_e32 v3, s21, v1
	s_delay_alu instid0(VALU_DEP_1)
	v_cmpx_ne_u64_e32 0, v[2:3]
	s_wait_alu 0xfffe
	s_xor_b32 s3, exec_lo, s2
	s_cbranch_execz .LBB88_2
; %bb.1:
	s_ashr_i32 s4, s21, 31
	s_mov_b32 s15, 0
	s_mov_b32 s5, s4
	v_ashrrev_i32_e32 v8, 31, v1
	s_add_nc_u64 s[6:7], s[20:21], s[4:5]
	s_delay_alu instid0(SALU_CYCLE_1) | instskip(NEXT) | instid1(VALU_DEP_1)
	s_xor_b64 s[6:7], s[6:7], s[4:5]
	v_add_co_u32 v2, vcc_lo, v0, v8
	s_cvt_f32_u32 s2, s6
	s_cvt_f32_u32 s5, s7
	s_sub_nc_u64 s[10:11], 0, s[6:7]
	v_add_co_ci_u32_e64 v3, null, v1, v8, vcc_lo
	s_wait_alu 0xfffe
	s_fmamk_f32 s2, s5, 0x4f800000, s2
	v_xor_b32_e32 v9, v2, v8
	s_delay_alu instid0(VALU_DEP_2) | instskip(SKIP_2) | instid1(TRANS32_DEP_1)
	v_xor_b32_e32 v10, v3, v8
	s_wait_alu 0xfffe
	v_s_rcp_f32 s2, s2
	s_mul_f32 s2, s2, 0x5f7ffffc
	s_wait_alu 0xfffe
	s_delay_alu instid0(SALU_CYCLE_2) | instskip(NEXT) | instid1(SALU_CYCLE_3)
	s_mul_f32 s5, s2, 0x2f800000
	s_trunc_f32 s5, s5
	s_delay_alu instid0(SALU_CYCLE_3) | instskip(SKIP_2) | instid1(SALU_CYCLE_1)
	s_fmamk_f32 s2, s5, 0xcf800000, s2
	s_cvt_u32_f32 s9, s5
	s_wait_alu 0xfffe
	s_cvt_u32_f32 s8, s2
	s_delay_alu instid0(SALU_CYCLE_3) | instskip(NEXT) | instid1(SALU_CYCLE_1)
	s_mul_u64 s[12:13], s[10:11], s[8:9]
	s_mul_hi_u32 s17, s8, s13
	s_mul_i32 s16, s8, s13
	s_mul_hi_u32 s14, s8, s12
	s_mul_i32 s5, s9, s12
	s_add_nc_u64 s[16:17], s[14:15], s[16:17]
	s_mul_hi_u32 s2, s9, s12
	s_mul_hi_u32 s18, s9, s13
	s_add_co_u32 s5, s16, s5
	s_wait_alu 0xfffe
	s_add_co_ci_u32 s14, s17, s2
	s_mul_i32 s12, s9, s13
	s_add_co_ci_u32 s13, s18, 0
	s_delay_alu instid0(SALU_CYCLE_1) | instskip(NEXT) | instid1(SALU_CYCLE_1)
	s_add_nc_u64 s[12:13], s[14:15], s[12:13]
	s_add_co_u32 s8, s8, s12
	s_cselect_b32 s2, -1, 0
	s_wait_alu 0xfffe
	s_cmp_lg_u32 s2, 0
	s_add_co_ci_u32 s9, s9, s13
	s_delay_alu instid0(SALU_CYCLE_1) | instskip(NEXT) | instid1(SALU_CYCLE_1)
	s_mul_u64 s[10:11], s[10:11], s[8:9]
	s_mul_hi_u32 s13, s8, s11
	s_mul_i32 s12, s8, s11
	s_mul_hi_u32 s14, s8, s10
	s_mul_i32 s5, s9, s10
	s_add_nc_u64 s[12:13], s[14:15], s[12:13]
	s_mul_hi_u32 s2, s9, s10
	s_mul_hi_u32 s16, s9, s11
	s_add_co_u32 s5, s12, s5
	s_wait_alu 0xfffe
	s_add_co_ci_u32 s14, s13, s2
	s_mul_i32 s10, s9, s11
	s_add_co_ci_u32 s11, s16, 0
	s_delay_alu instid0(SALU_CYCLE_1) | instskip(NEXT) | instid1(SALU_CYCLE_1)
	s_add_nc_u64 s[10:11], s[14:15], s[10:11]
	s_add_co_u32 s2, s8, s10
	s_cselect_b32 s5, -1, 0
	s_wait_alu 0xfffe
	v_mul_hi_u32 v11, v9, s2
	s_cmp_lg_u32 s5, 0
	v_mad_co_u64_u32 v[4:5], null, v10, s2, 0
	s_add_co_ci_u32 s5, s9, s11
	s_delay_alu instid0(SALU_CYCLE_1) | instskip(SKIP_1) | instid1(VALU_DEP_2)
	v_mad_co_u64_u32 v[2:3], null, v9, s5, 0
	v_mad_co_u64_u32 v[6:7], null, v10, s5, 0
	v_add_co_u32 v2, vcc_lo, v11, v2
	s_wait_alu 0xfffd
	s_delay_alu instid0(VALU_DEP_3) | instskip(NEXT) | instid1(VALU_DEP_2)
	v_add_co_ci_u32_e64 v3, null, 0, v3, vcc_lo
	v_add_co_u32 v2, vcc_lo, v2, v4
	s_wait_alu 0xfffd
	s_delay_alu instid0(VALU_DEP_2) | instskip(SKIP_2) | instid1(VALU_DEP_2)
	v_add_co_ci_u32_e32 v2, vcc_lo, v3, v5, vcc_lo
	s_wait_alu 0xfffd
	v_add_co_ci_u32_e32 v3, vcc_lo, 0, v7, vcc_lo
	v_add_co_u32 v4, vcc_lo, v2, v6
	s_wait_alu 0xfffd
	s_delay_alu instid0(VALU_DEP_2) | instskip(NEXT) | instid1(VALU_DEP_2)
	v_add_co_ci_u32_e64 v5, null, 0, v3, vcc_lo
	v_mul_lo_u32 v6, s7, v4
	v_mad_co_u64_u32 v[2:3], null, s6, v4, 0
	s_delay_alu instid0(VALU_DEP_3) | instskip(NEXT) | instid1(VALU_DEP_2)
	v_mul_lo_u32 v7, s6, v5
	v_sub_co_u32 v2, vcc_lo, v9, v2
	s_delay_alu instid0(VALU_DEP_2) | instskip(SKIP_3) | instid1(VALU_DEP_3)
	v_add3_u32 v3, v3, v7, v6
	v_add_co_u32 v7, s2, v4, 2
	s_wait_alu 0xf1ff
	v_add_co_ci_u32_e64 v9, null, 0, v5, s2
	v_sub_nc_u32_e32 v6, v10, v3
	v_sub_co_u32 v11, s2, v2, s6
	s_wait_alu 0xfffd
	v_sub_co_ci_u32_e64 v3, null, v10, v3, vcc_lo
	s_delay_alu instid0(VALU_DEP_3) | instskip(NEXT) | instid1(VALU_DEP_3)
	v_subrev_co_ci_u32_e64 v6, null, s7, v6, vcc_lo
	v_cmp_le_u32_e32 vcc_lo, s6, v11
	s_wait_alu 0xf1ff
	s_delay_alu instid0(VALU_DEP_2) | instskip(SKIP_2) | instid1(VALU_DEP_2)
	v_subrev_co_ci_u32_e64 v6, null, 0, v6, s2
	s_wait_alu 0xfffd
	v_cndmask_b32_e64 v10, 0, -1, vcc_lo
	v_cmp_le_u32_e32 vcc_lo, s7, v6
	s_wait_alu 0xfffd
	v_cndmask_b32_e64 v11, 0, -1, vcc_lo
	v_cmp_le_u32_e32 vcc_lo, s6, v2
	;; [unrolled: 3-line block ×3, first 2 shown]
	s_wait_alu 0xfffd
	v_cndmask_b32_e64 v12, 0, -1, vcc_lo
	v_cmp_eq_u32_e32 vcc_lo, s7, v6
	s_wait_alu 0xfffd
	v_cndmask_b32_e32 v6, v11, v10, vcc_lo
	v_add_co_u32 v10, vcc_lo, v4, 1
	s_wait_alu 0xfffd
	v_add_co_ci_u32_e64 v11, null, 0, v5, vcc_lo
	v_cmp_eq_u32_e32 vcc_lo, s7, v3
	s_wait_alu 0xfffd
	v_cndmask_b32_e32 v2, v12, v2, vcc_lo
	v_cmp_ne_u32_e32 vcc_lo, 0, v6
	v_xor_b32_e32 v6, s4, v8
	s_wait_alu 0xfffd
	v_cndmask_b32_e32 v3, v11, v9, vcc_lo
	v_cmp_ne_u32_e64 s2, 0, v2
	v_cndmask_b32_e32 v2, v10, v7, vcc_lo
	s_wait_alu 0xf1ff
	s_delay_alu instid0(VALU_DEP_2) | instskip(NEXT) | instid1(VALU_DEP_2)
	v_cndmask_b32_e64 v3, v5, v3, s2
	v_cndmask_b32_e64 v2, v4, v2, s2
	s_delay_alu instid0(VALU_DEP_2) | instskip(NEXT) | instid1(VALU_DEP_2)
	v_xor_b32_e32 v3, v3, v6
	v_xor_b32_e32 v2, v2, v6
	s_delay_alu instid0(VALU_DEP_1) | instskip(SKIP_1) | instid1(VALU_DEP_3)
	v_sub_co_u32 v5, vcc_lo, v2, v6
	s_wait_alu 0xfffd
	v_sub_co_ci_u32_e64 v6, null, v3, v6, vcc_lo
.LBB88_2:
	s_wait_alu 0xfffe
	s_or_saveexec_b32 s2, s3
	s_load_b512 s[4:19], s[0:1], 0x0
	s_xor_b32 exec_lo, exec_lo, s2
	s_cbranch_execz .LBB88_4
; %bb.3:
	v_cvt_f32_u32_e32 v2, s20
	s_sub_co_i32 s3, 0, s20
	v_mov_b32_e32 v6, 0
	s_delay_alu instid0(VALU_DEP_2) | instskip(NEXT) | instid1(TRANS32_DEP_1)
	v_rcp_iflag_f32_e32 v2, v2
	v_mul_f32_e32 v2, 0x4f7ffffe, v2
	s_delay_alu instid0(VALU_DEP_1) | instskip(SKIP_1) | instid1(VALU_DEP_1)
	v_cvt_u32_f32_e32 v2, v2
	s_wait_alu 0xfffe
	v_mul_lo_u32 v3, s3, v2
	s_delay_alu instid0(VALU_DEP_1) | instskip(NEXT) | instid1(VALU_DEP_1)
	v_mul_hi_u32 v3, v2, v3
	v_add_nc_u32_e32 v2, v2, v3
	s_delay_alu instid0(VALU_DEP_1) | instskip(NEXT) | instid1(VALU_DEP_1)
	v_mul_hi_u32 v2, v0, v2
	v_mul_lo_u32 v3, v2, s20
	v_add_nc_u32_e32 v4, 1, v2
	s_delay_alu instid0(VALU_DEP_2) | instskip(NEXT) | instid1(VALU_DEP_1)
	v_sub_nc_u32_e32 v3, v0, v3
	v_subrev_nc_u32_e32 v5, s20, v3
	v_cmp_le_u32_e32 vcc_lo, s20, v3
	s_wait_alu 0xfffd
	s_delay_alu instid0(VALU_DEP_2) | instskip(NEXT) | instid1(VALU_DEP_1)
	v_dual_cndmask_b32 v3, v3, v5 :: v_dual_cndmask_b32 v2, v2, v4
	v_cmp_le_u32_e32 vcc_lo, s20, v3
	s_delay_alu instid0(VALU_DEP_2) | instskip(SKIP_1) | instid1(VALU_DEP_1)
	v_add_nc_u32_e32 v4, 1, v2
	s_wait_alu 0xfffd
	v_cndmask_b32_e32 v5, v2, v4, vcc_lo
.LBB88_4:
	s_or_b32 exec_lo, exec_lo, s2
	v_mul_lo_u32 v4, v6, s20
	s_delay_alu instid0(VALU_DEP_2)
	v_mul_lo_u32 v6, v5, s21
	v_mad_co_u64_u32 v[2:3], null, v5, s20, 0
	s_mov_b32 s2, exec_lo
	v_add3_u32 v3, v3, v6, v4
	v_sub_co_u32 v0, vcc_lo, v0, v2
	s_wait_alu 0xfffd
	s_delay_alu instid0(VALU_DEP_2) | instskip(SKIP_1) | instid1(VALU_DEP_1)
	v_sub_co_ci_u32_e64 v1, null, v1, v3, vcc_lo
	s_wait_kmcnt 0x0
	v_cmpx_gt_i64_e64 s[12:13], v[0:1]
	s_cbranch_execz .LBB88_19
; %bb.5:
	s_load_b64 s[2:3], s[16:17], 0x0
	v_ashrrev_i32_e32 v6, 31, v5
	s_wait_kmcnt 0x0
	s_delay_alu instid0(VALU_DEP_1)
	v_cmp_gt_i64_e32 vcc_lo, s[2:3], v[5:6]
	s_and_b32 exec_lo, exec_lo, vcc_lo
	s_cbranch_execz .LBB88_19
; %bb.6:
	v_lshlrev_b64_e32 v[2:3], 2, v[5:6]
	s_add_nc_u64 s[2:3], s[2:3], -1
                                        ; implicit-def: $vgpr10
	s_delay_alu instid0(VALU_DEP_1) | instskip(SKIP_1) | instid1(VALU_DEP_2)
	v_add_co_u32 v7, vcc_lo, s14, v2
	s_wait_alu 0xfffd
	v_add_co_ci_u32_e64 v8, null, s15, v3, vcc_lo
	s_wait_alu 0xfffe
	v_cmp_ne_u64_e32 vcc_lo, s[2:3], v[5:6]
	global_load_b32 v4, v[7:8], off
	s_and_saveexec_b32 s2, vcc_lo
	s_wait_alu 0xfffe
	s_xor_b32 s2, exec_lo, s2
	s_cbranch_execz .LBB88_8
; %bb.7:
	v_dual_mov_b32 v6, 0 :: v_dual_add_nc_u32 v7, 1, v5
	s_delay_alu instid0(VALU_DEP_1) | instskip(NEXT) | instid1(VALU_DEP_1)
	v_ashrrev_i64 v[5:6], 30, v[6:7]
	v_add_co_u32 v5, vcc_lo, s14, v5
	s_wait_alu 0xfffd
	s_delay_alu instid0(VALU_DEP_2)
	v_add_co_ci_u32_e64 v6, null, s15, v6, vcc_lo
	global_load_b32 v10, v[5:6], off
.LBB88_8:
	s_wait_alu 0xfffe
	s_or_saveexec_b32 s2, s2
	s_load_b256 s[20:27], s[0:1], 0x40
	s_xor_b32 exec_lo, exec_lo, s2
	s_cbranch_execz .LBB88_10
; %bb.9:
	s_wait_loadcnt 0x0
	v_mov_b32_e32 v10, s10
.LBB88_10:
	s_or_b32 exec_lo, exec_lo, s2
	v_mov_b32_e32 v9, 0
	s_mov_b32 s1, exec_lo
	s_wait_loadcnt 0x0
	v_cmpx_lt_i32_e64 v4, v10
	s_cbranch_execz .LBB88_17
; %bb.11:
	v_ashrrev_i32_e32 v5, 31, v4
	v_lshlrev_b64_e32 v[6:7], 1, v[0:1]
	s_cmp_lg_u64 s[8:9], 0
	s_mov_b32 s3, 0
	s_cselect_b32 s2, -1, 0
	v_lshlrev_b64_e32 v[8:9], 2, v[4:5]
	s_delay_alu instid0(VALU_DEP_2) | instskip(SKIP_2) | instid1(VALU_DEP_3)
	v_add_co_u32 v11, vcc_lo, s6, v6
	s_wait_alu 0xfffd
	v_add_co_ci_u32_e64 v12, null, s7, v7, vcc_lo
	v_add_co_u32 v5, vcc_lo, s4, v8
	s_wait_alu 0xfffd
	v_add_co_ci_u32_e64 v6, null, s5, v9, vcc_lo
	;; [unrolled: 3-line block ×3, first 2 shown]
	v_mov_b32_e32 v9, 0
	s_branch .LBB88_14
.LBB88_12:                              ;   in Loop: Header=BB88_14 Depth=1
	global_load_b32 v13, v[7:8], off
	s_wait_loadcnt 0x0
	v_cvt_f32_i32_e32 v13, v13
	s_delay_alu instid0(VALU_DEP_1) | instskip(NEXT) | instid1(VALU_DEP_1)
	v_div_scale_f32 v15, null, v13, v13, 1.0
	v_rcp_f32_e32 v16, v15
	s_delay_alu instid0(TRANS32_DEP_1) | instskip(NEXT) | instid1(VALU_DEP_1)
	v_fma_f32 v17, -v15, v16, 1.0
	v_fmac_f32_e32 v16, v17, v16
	v_div_scale_f32 v17, vcc_lo, 1.0, v13, 1.0
	s_delay_alu instid0(VALU_DEP_1) | instskip(NEXT) | instid1(VALU_DEP_1)
	v_mul_f32_e32 v18, v17, v16
	v_fma_f32 v19, -v15, v18, v17
	s_delay_alu instid0(VALU_DEP_1) | instskip(NEXT) | instid1(VALU_DEP_1)
	v_fmac_f32_e32 v18, v19, v16
	v_fma_f32 v15, -v15, v18, v17
	s_wait_alu 0xfffd
	s_delay_alu instid0(VALU_DEP_1) | instskip(NEXT) | instid1(VALU_DEP_1)
	v_div_fmas_f32 v15, v15, v16, v18
	v_div_fixup_f32 v13, v15, v13, 1.0
.LBB88_13:                              ;   in Loop: Header=BB88_14 Depth=1
	s_wait_loadcnt 0x0
	v_ashrrev_i32_e32 v16, 31, v14
	v_mul_lo_u32 v17, s13, v14
	v_mad_co_u64_u32 v[14:15], null, s12, v14, 0
	v_add_nc_u32_e32 v4, 1, v4
	s_delay_alu instid0(VALU_DEP_4) | instskip(SKIP_3) | instid1(VALU_DEP_3)
	v_mul_lo_u32 v16, s12, v16
	v_add_co_u32 v7, s0, v7, 4
	s_wait_alu 0xf1ff
	v_add_co_ci_u32_e64 v8, null, 0, v8, s0
	v_add3_u32 v15, v15, v16, v17
	s_delay_alu instid0(VALU_DEP_1) | instskip(NEXT) | instid1(VALU_DEP_1)
	v_lshlrev_b64_e32 v[14:15], 1, v[14:15]
	v_add_co_u32 v14, vcc_lo, v11, v14
	s_wait_alu 0xfffd
	s_delay_alu instid0(VALU_DEP_2)
	v_add_co_ci_u32_e64 v15, null, v12, v15, vcc_lo
	v_add_co_u32 v5, vcc_lo, v5, 4
	s_wait_alu 0xfffd
	v_add_co_ci_u32_e64 v6, null, 0, v6, vcc_lo
	global_load_u16 v14, v[14:15], off
	v_cmp_ge_i32_e32 vcc_lo, v4, v10
	s_or_b32 s3, vcc_lo, s3
	s_wait_loadcnt 0x0
	v_fma_mix_f32 v9, v13, v14, v9 op_sel_hi:[0,1,0]
	s_wait_alu 0xfffe
	s_and_not1_b32 exec_lo, exec_lo, s3
	s_cbranch_execz .LBB88_16
.LBB88_14:                              ; =>This Inner Loop Header: Depth=1
	global_load_b32 v14, v[5:6], off
	s_wait_alu 0xfffe
	s_and_not1_b32 vcc_lo, exec_lo, s2
	s_wait_alu 0xfffe
	s_cbranch_vccz .LBB88_12
; %bb.15:                               ;   in Loop: Header=BB88_14 Depth=1
	v_mov_b32_e32 v13, 1.0
	s_branch .LBB88_13
.LBB88_16:
	s_or_b32 exec_lo, exec_lo, s3
.LBB88_17:
	s_wait_alu 0xfffe
	s_or_b32 exec_lo, exec_lo, s1
	s_wait_kmcnt 0x0
	v_add_co_u32 v2, vcc_lo, s20, v2
	s_wait_alu 0xfffd
	v_add_co_ci_u32_e64 v3, null, s21, v3, vcc_lo
	global_load_b32 v2, v[2:3], off
	s_wait_loadcnt 0x0
	v_ashrrev_i32_e32 v3, 31, v2
	s_delay_alu instid0(VALU_DEP_1) | instskip(NEXT) | instid1(VALU_DEP_1)
	v_lshlrev_b64_e32 v[2:3], 2, v[2:3]
	v_add_co_u32 v2, vcc_lo, s22, v2
	s_wait_alu 0xfffd
	s_delay_alu instid0(VALU_DEP_2) | instskip(SKIP_3) | instid1(VALU_DEP_1)
	v_add_co_ci_u32_e64 v3, null, s23, v3, vcc_lo
	global_load_b32 v2, v[2:3], off
	s_wait_loadcnt 0x0
	v_ashrrev_i32_e32 v3, 31, v2
	v_lshlrev_b64_e32 v[2:3], 2, v[2:3]
	s_delay_alu instid0(VALU_DEP_1) | instskip(SKIP_1) | instid1(VALU_DEP_2)
	v_add_co_u32 v2, vcc_lo, s18, v2
	s_wait_alu 0xfffd
	v_add_co_ci_u32_e64 v3, null, s19, v3, vcc_lo
	global_load_b32 v2, v[2:3], off
	s_wait_loadcnt 0x0
	v_ashrrev_i32_e32 v3, 31, v2
	s_delay_alu instid0(VALU_DEP_1)
	v_cmp_ne_u64_e32 vcc_lo, s[26:27], v[2:3]
	s_and_b32 exec_lo, exec_lo, vcc_lo
	s_cbranch_execz .LBB88_19
; %bb.18:
	v_mul_lo_u32 v4, s13, v2
	v_mul_lo_u32 v5, s12, v3
	v_mad_co_u64_u32 v[2:3], null, s12, v2, 0
	v_lshlrev_b64_e32 v[0:1], 2, v[0:1]
	s_delay_alu instid0(VALU_DEP_2) | instskip(NEXT) | instid1(VALU_DEP_1)
	v_add3_u32 v3, v3, v5, v4
	v_lshlrev_b64_e32 v[2:3], 2, v[2:3]
	s_delay_alu instid0(VALU_DEP_1) | instskip(SKIP_1) | instid1(VALU_DEP_2)
	v_add_co_u32 v2, vcc_lo, s24, v2
	s_wait_alu 0xfffd
	v_add_co_ci_u32_e64 v3, null, s25, v3, vcc_lo
	s_delay_alu instid0(VALU_DEP_2) | instskip(SKIP_1) | instid1(VALU_DEP_2)
	v_add_co_u32 v0, vcc_lo, v2, v0
	s_wait_alu 0xfffd
	v_add_co_ci_u32_e64 v1, null, v3, v1, vcc_lo
	global_atomic_add_f32 v[0:1], v9, off scope:SCOPE_DEV
.LBB88_19:
	s_endpgm
	.section	.rodata,"a",@progbits
	.p2align	6, 0x0
	.amdhsa_kernel _ZN2at6native12_GLOBAL__N_137compute_grad_weight_atomic_accumulateIN3c104HalfEfiEEvPKT1_PKT_S7_llS7_PKlS7_S7_S7_PT0_ll
		.amdhsa_group_segment_fixed_size 0
		.amdhsa_private_segment_fixed_size 0
		.amdhsa_kernarg_size 360
		.amdhsa_user_sgpr_count 2
		.amdhsa_user_sgpr_dispatch_ptr 0
		.amdhsa_user_sgpr_queue_ptr 0
		.amdhsa_user_sgpr_kernarg_segment_ptr 1
		.amdhsa_user_sgpr_dispatch_id 0
		.amdhsa_user_sgpr_private_segment_size 0
		.amdhsa_wavefront_size32 1
		.amdhsa_uses_dynamic_stack 0
		.amdhsa_enable_private_segment 0
		.amdhsa_system_sgpr_workgroup_id_x 1
		.amdhsa_system_sgpr_workgroup_id_y 0
		.amdhsa_system_sgpr_workgroup_id_z 0
		.amdhsa_system_sgpr_workgroup_info 0
		.amdhsa_system_vgpr_workitem_id 0
		.amdhsa_next_free_vgpr 20
		.amdhsa_next_free_sgpr 28
		.amdhsa_reserve_vcc 1
		.amdhsa_float_round_mode_32 0
		.amdhsa_float_round_mode_16_64 0
		.amdhsa_float_denorm_mode_32 3
		.amdhsa_float_denorm_mode_16_64 3
		.amdhsa_fp16_overflow 0
		.amdhsa_workgroup_processor_mode 1
		.amdhsa_memory_ordered 1
		.amdhsa_forward_progress 1
		.amdhsa_inst_pref_size 16
		.amdhsa_round_robin_scheduling 0
		.amdhsa_exception_fp_ieee_invalid_op 0
		.amdhsa_exception_fp_denorm_src 0
		.amdhsa_exception_fp_ieee_div_zero 0
		.amdhsa_exception_fp_ieee_overflow 0
		.amdhsa_exception_fp_ieee_underflow 0
		.amdhsa_exception_fp_ieee_inexact 0
		.amdhsa_exception_int_div_zero 0
	.end_amdhsa_kernel
	.section	.text._ZN2at6native12_GLOBAL__N_137compute_grad_weight_atomic_accumulateIN3c104HalfEfiEEvPKT1_PKT_S7_llS7_PKlS7_S7_S7_PT0_ll,"axG",@progbits,_ZN2at6native12_GLOBAL__N_137compute_grad_weight_atomic_accumulateIN3c104HalfEfiEEvPKT1_PKT_S7_llS7_PKlS7_S7_S7_PT0_ll,comdat
.Lfunc_end88:
	.size	_ZN2at6native12_GLOBAL__N_137compute_grad_weight_atomic_accumulateIN3c104HalfEfiEEvPKT1_PKT_S7_llS7_PKlS7_S7_S7_PT0_ll, .Lfunc_end88-_ZN2at6native12_GLOBAL__N_137compute_grad_weight_atomic_accumulateIN3c104HalfEfiEEvPKT1_PKT_S7_llS7_PKlS7_S7_S7_PT0_ll
                                        ; -- End function
	.set _ZN2at6native12_GLOBAL__N_137compute_grad_weight_atomic_accumulateIN3c104HalfEfiEEvPKT1_PKT_S7_llS7_PKlS7_S7_S7_PT0_ll.num_vgpr, 20
	.set _ZN2at6native12_GLOBAL__N_137compute_grad_weight_atomic_accumulateIN3c104HalfEfiEEvPKT1_PKT_S7_llS7_PKlS7_S7_S7_PT0_ll.num_agpr, 0
	.set _ZN2at6native12_GLOBAL__N_137compute_grad_weight_atomic_accumulateIN3c104HalfEfiEEvPKT1_PKT_S7_llS7_PKlS7_S7_S7_PT0_ll.numbered_sgpr, 28
	.set _ZN2at6native12_GLOBAL__N_137compute_grad_weight_atomic_accumulateIN3c104HalfEfiEEvPKT1_PKT_S7_llS7_PKlS7_S7_S7_PT0_ll.num_named_barrier, 0
	.set _ZN2at6native12_GLOBAL__N_137compute_grad_weight_atomic_accumulateIN3c104HalfEfiEEvPKT1_PKT_S7_llS7_PKlS7_S7_S7_PT0_ll.private_seg_size, 0
	.set _ZN2at6native12_GLOBAL__N_137compute_grad_weight_atomic_accumulateIN3c104HalfEfiEEvPKT1_PKT_S7_llS7_PKlS7_S7_S7_PT0_ll.uses_vcc, 1
	.set _ZN2at6native12_GLOBAL__N_137compute_grad_weight_atomic_accumulateIN3c104HalfEfiEEvPKT1_PKT_S7_llS7_PKlS7_S7_S7_PT0_ll.uses_flat_scratch, 0
	.set _ZN2at6native12_GLOBAL__N_137compute_grad_weight_atomic_accumulateIN3c104HalfEfiEEvPKT1_PKT_S7_llS7_PKlS7_S7_S7_PT0_ll.has_dyn_sized_stack, 0
	.set _ZN2at6native12_GLOBAL__N_137compute_grad_weight_atomic_accumulateIN3c104HalfEfiEEvPKT1_PKT_S7_llS7_PKlS7_S7_S7_PT0_ll.has_recursion, 0
	.set _ZN2at6native12_GLOBAL__N_137compute_grad_weight_atomic_accumulateIN3c104HalfEfiEEvPKT1_PKT_S7_llS7_PKlS7_S7_S7_PT0_ll.has_indirect_call, 0
	.section	.AMDGPU.csdata,"",@progbits
; Kernel info:
; codeLenInByte = 1976
; TotalNumSgprs: 30
; NumVgprs: 20
; ScratchSize: 0
; MemoryBound: 0
; FloatMode: 240
; IeeeMode: 1
; LDSByteSize: 0 bytes/workgroup (compile time only)
; SGPRBlocks: 0
; VGPRBlocks: 2
; NumSGPRsForWavesPerEU: 30
; NumVGPRsForWavesPerEU: 20
; Occupancy: 16
; WaveLimiterHint : 1
; COMPUTE_PGM_RSRC2:SCRATCH_EN: 0
; COMPUTE_PGM_RSRC2:USER_SGPR: 2
; COMPUTE_PGM_RSRC2:TRAP_HANDLER: 0
; COMPUTE_PGM_RSRC2:TGID_X_EN: 1
; COMPUTE_PGM_RSRC2:TGID_Y_EN: 0
; COMPUTE_PGM_RSRC2:TGID_Z_EN: 0
; COMPUTE_PGM_RSRC2:TIDIG_COMP_CNT: 0
	.section	.text._ZN2at6native12_GLOBAL__N_124compute_grad_weight_bagsIN3c104HalfEiEEvPKT0_PKT_S7_S7_lliS7_SA_lS7_PKlPNS_14AccumulateTypeIS8_Lb1EE4typeEl,"axG",@progbits,_ZN2at6native12_GLOBAL__N_124compute_grad_weight_bagsIN3c104HalfEiEEvPKT0_PKT_S7_S7_lliS7_SA_lS7_PKlPNS_14AccumulateTypeIS8_Lb1EE4typeEl,comdat
	.globl	_ZN2at6native12_GLOBAL__N_124compute_grad_weight_bagsIN3c104HalfEiEEvPKT0_PKT_S7_S7_lliS7_SA_lS7_PKlPNS_14AccumulateTypeIS8_Lb1EE4typeEl ; -- Begin function _ZN2at6native12_GLOBAL__N_124compute_grad_weight_bagsIN3c104HalfEiEEvPKT0_PKT_S7_S7_lliS7_SA_lS7_PKlPNS_14AccumulateTypeIS8_Lb1EE4typeEl
	.p2align	8
	.type	_ZN2at6native12_GLOBAL__N_124compute_grad_weight_bagsIN3c104HalfEiEEvPKT0_PKT_S7_S7_lliS7_SA_lS7_PKlPNS_14AccumulateTypeIS8_Lb1EE4typeEl,@function
_ZN2at6native12_GLOBAL__N_124compute_grad_weight_bagsIN3c104HalfEiEEvPKT0_PKT_S7_S7_lliS7_SA_lS7_PKlPNS_14AccumulateTypeIS8_Lb1EE4typeEl: ; @_ZN2at6native12_GLOBAL__N_124compute_grad_weight_bagsIN3c104HalfEiEEvPKT0_PKT_S7_S7_lliS7_SA_lS7_PKlPNS_14AccumulateTypeIS8_Lb1EE4typeEl
; %bb.0:
	s_clause 0x2
	s_load_b32 s2, s[0:1], 0x7c
	s_load_b64 s[4:5], s[0:1], 0x68
	s_load_b128 s[20:23], s[0:1], 0x58
	v_mov_b32_e32 v1, 0
	s_delay_alu instid0(VALU_DEP_1) | instskip(SKIP_2) | instid1(SALU_CYCLE_1)
	v_mov_b32_e32 v4, v1
	s_wait_kmcnt 0x0
	s_and_b32 s2, s2, 0xffff
	v_mad_co_u64_u32 v[2:3], null, s2, ttmp9, v[0:1]
                                        ; implicit-def: $vgpr0_vgpr1
	s_mov_b32 s2, exec_lo
	v_or_b32_e32 v5, s5, v3
	s_delay_alu instid0(VALU_DEP_1)
	v_cmpx_ne_u64_e32 0, v[4:5]
	s_wait_alu 0xfffe
	s_xor_b32 s3, exec_lo, s2
	s_cbranch_execz .LBB89_2
; %bb.1:
	s_ashr_i32 s6, s5, 31
	s_mov_b32 s17, 0
	s_mov_b32 s7, s6
	v_ashrrev_i32_e32 v8, 31, v3
	s_add_nc_u64 s[8:9], s[4:5], s[6:7]
	s_delay_alu instid0(SALU_CYCLE_1) | instskip(NEXT) | instid1(VALU_DEP_1)
	s_xor_b64 s[8:9], s[8:9], s[6:7]
	v_add_co_u32 v0, vcc_lo, v2, v8
	s_cvt_f32_u32 s2, s8
	s_cvt_f32_u32 s7, s9
	s_sub_nc_u64 s[12:13], 0, s[8:9]
	v_add_co_ci_u32_e64 v1, null, v3, v8, vcc_lo
	s_wait_alu 0xfffe
	s_fmamk_f32 s2, s7, 0x4f800000, s2
	v_xor_b32_e32 v9, v0, v8
	s_delay_alu instid0(VALU_DEP_2) | instskip(SKIP_2) | instid1(TRANS32_DEP_1)
	v_xor_b32_e32 v10, v1, v8
	s_wait_alu 0xfffe
	v_s_rcp_f32 s2, s2
	s_mul_f32 s2, s2, 0x5f7ffffc
	s_wait_alu 0xfffe
	s_delay_alu instid0(SALU_CYCLE_2) | instskip(NEXT) | instid1(SALU_CYCLE_3)
	s_mul_f32 s7, s2, 0x2f800000
	s_trunc_f32 s7, s7
	s_delay_alu instid0(SALU_CYCLE_3) | instskip(SKIP_2) | instid1(SALU_CYCLE_1)
	s_fmamk_f32 s2, s7, 0xcf800000, s2
	s_cvt_u32_f32 s11, s7
	s_wait_alu 0xfffe
	s_cvt_u32_f32 s10, s2
	s_delay_alu instid0(SALU_CYCLE_3) | instskip(NEXT) | instid1(SALU_CYCLE_1)
	s_mul_u64 s[14:15], s[12:13], s[10:11]
	s_mul_hi_u32 s19, s10, s15
	s_mul_i32 s18, s10, s15
	s_mul_hi_u32 s16, s10, s14
	s_mul_i32 s7, s11, s14
	s_add_nc_u64 s[18:19], s[16:17], s[18:19]
	s_mul_hi_u32 s2, s11, s14
	s_mul_hi_u32 s24, s11, s15
	s_add_co_u32 s7, s18, s7
	s_wait_alu 0xfffe
	s_add_co_ci_u32 s16, s19, s2
	s_mul_i32 s14, s11, s15
	s_add_co_ci_u32 s15, s24, 0
	s_delay_alu instid0(SALU_CYCLE_1) | instskip(NEXT) | instid1(SALU_CYCLE_1)
	s_add_nc_u64 s[14:15], s[16:17], s[14:15]
	s_add_co_u32 s10, s10, s14
	s_cselect_b32 s2, -1, 0
	s_wait_alu 0xfffe
	s_cmp_lg_u32 s2, 0
	s_add_co_ci_u32 s11, s11, s15
	s_delay_alu instid0(SALU_CYCLE_1) | instskip(NEXT) | instid1(SALU_CYCLE_1)
	s_mul_u64 s[12:13], s[12:13], s[10:11]
	s_mul_hi_u32 s15, s10, s13
	s_mul_i32 s14, s10, s13
	s_mul_hi_u32 s16, s10, s12
	s_mul_i32 s7, s11, s12
	s_add_nc_u64 s[14:15], s[16:17], s[14:15]
	s_mul_hi_u32 s2, s11, s12
	s_mul_hi_u32 s18, s11, s13
	s_add_co_u32 s7, s14, s7
	s_wait_alu 0xfffe
	s_add_co_ci_u32 s16, s15, s2
	s_mul_i32 s12, s11, s13
	s_add_co_ci_u32 s13, s18, 0
	s_delay_alu instid0(SALU_CYCLE_1) | instskip(NEXT) | instid1(SALU_CYCLE_1)
	s_add_nc_u64 s[12:13], s[16:17], s[12:13]
	s_add_co_u32 s2, s10, s12
	s_cselect_b32 s7, -1, 0
	s_wait_alu 0xfffe
	v_mul_hi_u32 v11, v9, s2
	s_cmp_lg_u32 s7, 0
	v_mad_co_u64_u32 v[4:5], null, v10, s2, 0
	s_add_co_ci_u32 s7, s11, s13
	s_delay_alu instid0(SALU_CYCLE_1) | instskip(SKIP_1) | instid1(VALU_DEP_2)
	v_mad_co_u64_u32 v[0:1], null, v9, s7, 0
	v_mad_co_u64_u32 v[6:7], null, v10, s7, 0
	v_add_co_u32 v0, vcc_lo, v11, v0
	s_wait_alu 0xfffd
	s_delay_alu instid0(VALU_DEP_3) | instskip(NEXT) | instid1(VALU_DEP_2)
	v_add_co_ci_u32_e64 v1, null, 0, v1, vcc_lo
	v_add_co_u32 v0, vcc_lo, v0, v4
	s_wait_alu 0xfffd
	s_delay_alu instid0(VALU_DEP_2) | instskip(SKIP_2) | instid1(VALU_DEP_2)
	v_add_co_ci_u32_e32 v0, vcc_lo, v1, v5, vcc_lo
	s_wait_alu 0xfffd
	v_add_co_ci_u32_e32 v1, vcc_lo, 0, v7, vcc_lo
	v_add_co_u32 v4, vcc_lo, v0, v6
	s_wait_alu 0xfffd
	s_delay_alu instid0(VALU_DEP_2) | instskip(NEXT) | instid1(VALU_DEP_2)
	v_add_co_ci_u32_e64 v5, null, 0, v1, vcc_lo
	v_mul_lo_u32 v6, s9, v4
	v_mad_co_u64_u32 v[0:1], null, s8, v4, 0
	s_delay_alu instid0(VALU_DEP_3) | instskip(NEXT) | instid1(VALU_DEP_2)
	v_mul_lo_u32 v7, s8, v5
	v_sub_co_u32 v0, vcc_lo, v9, v0
	s_delay_alu instid0(VALU_DEP_2) | instskip(SKIP_3) | instid1(VALU_DEP_3)
	v_add3_u32 v1, v1, v7, v6
	v_add_co_u32 v7, s2, v4, 2
	s_wait_alu 0xf1ff
	v_add_co_ci_u32_e64 v9, null, 0, v5, s2
	v_sub_nc_u32_e32 v6, v10, v1
	v_sub_co_u32 v11, s2, v0, s8
	s_wait_alu 0xfffd
	v_sub_co_ci_u32_e64 v1, null, v10, v1, vcc_lo
	s_delay_alu instid0(VALU_DEP_3) | instskip(NEXT) | instid1(VALU_DEP_3)
	v_subrev_co_ci_u32_e64 v6, null, s9, v6, vcc_lo
	v_cmp_le_u32_e32 vcc_lo, s8, v11
	s_wait_alu 0xf1ff
	s_delay_alu instid0(VALU_DEP_2) | instskip(SKIP_2) | instid1(VALU_DEP_2)
	v_subrev_co_ci_u32_e64 v6, null, 0, v6, s2
	s_wait_alu 0xfffd
	v_cndmask_b32_e64 v10, 0, -1, vcc_lo
	v_cmp_le_u32_e32 vcc_lo, s9, v6
	s_wait_alu 0xfffd
	v_cndmask_b32_e64 v11, 0, -1, vcc_lo
	v_cmp_le_u32_e32 vcc_lo, s8, v0
	;; [unrolled: 3-line block ×3, first 2 shown]
	s_wait_alu 0xfffd
	v_cndmask_b32_e64 v12, 0, -1, vcc_lo
	v_cmp_eq_u32_e32 vcc_lo, s9, v6
	s_wait_alu 0xfffd
	v_cndmask_b32_e32 v6, v11, v10, vcc_lo
	v_add_co_u32 v10, vcc_lo, v4, 1
	s_wait_alu 0xfffd
	v_add_co_ci_u32_e64 v11, null, 0, v5, vcc_lo
	v_cmp_eq_u32_e32 vcc_lo, s9, v1
	s_wait_alu 0xfffd
	v_cndmask_b32_e32 v0, v12, v0, vcc_lo
	v_cmp_ne_u32_e32 vcc_lo, 0, v6
	v_xor_b32_e32 v6, s6, v8
	s_wait_alu 0xfffd
	v_cndmask_b32_e32 v1, v11, v9, vcc_lo
	v_cmp_ne_u32_e64 s2, 0, v0
	v_cndmask_b32_e32 v0, v10, v7, vcc_lo
	s_wait_alu 0xf1ff
	s_delay_alu instid0(VALU_DEP_2) | instskip(NEXT) | instid1(VALU_DEP_2)
	v_cndmask_b32_e64 v1, v5, v1, s2
	v_cndmask_b32_e64 v0, v4, v0, s2
	s_delay_alu instid0(VALU_DEP_2) | instskip(NEXT) | instid1(VALU_DEP_2)
	v_xor_b32_e32 v1, v1, v6
	v_xor_b32_e32 v0, v0, v6
	s_delay_alu instid0(VALU_DEP_1) | instskip(SKIP_1) | instid1(VALU_DEP_3)
	v_sub_co_u32 v0, vcc_lo, v0, v6
	s_wait_alu 0xfffd
	v_sub_co_ci_u32_e64 v1, null, v1, v6, vcc_lo
.LBB89_2:
	s_wait_alu 0xfffe
	s_or_saveexec_b32 s2, s3
	s_load_b64 s[20:21], s[20:21], 0x0
	s_xor_b32 exec_lo, exec_lo, s2
	s_cbranch_execz .LBB89_4
; %bb.3:
	v_cvt_f32_u32_e32 v0, s4
	s_sub_co_i32 s3, 0, s4
	s_delay_alu instid0(VALU_DEP_1) | instskip(NEXT) | instid1(TRANS32_DEP_1)
	v_rcp_iflag_f32_e32 v0, v0
	v_mul_f32_e32 v0, 0x4f7ffffe, v0
	s_delay_alu instid0(VALU_DEP_1) | instskip(SKIP_1) | instid1(VALU_DEP_1)
	v_cvt_u32_f32_e32 v0, v0
	s_wait_alu 0xfffe
	v_mul_lo_u32 v1, s3, v0
	s_delay_alu instid0(VALU_DEP_1) | instskip(NEXT) | instid1(VALU_DEP_1)
	v_mul_hi_u32 v1, v0, v1
	v_add_nc_u32_e32 v0, v0, v1
	s_delay_alu instid0(VALU_DEP_1) | instskip(NEXT) | instid1(VALU_DEP_1)
	v_mul_hi_u32 v0, v2, v0
	v_mul_lo_u32 v1, v0, s4
	v_add_nc_u32_e32 v4, 1, v0
	s_delay_alu instid0(VALU_DEP_2) | instskip(NEXT) | instid1(VALU_DEP_1)
	v_sub_nc_u32_e32 v1, v2, v1
	v_subrev_nc_u32_e32 v5, s4, v1
	v_cmp_le_u32_e32 vcc_lo, s4, v1
	s_wait_alu 0xfffd
	s_delay_alu instid0(VALU_DEP_2) | instskip(NEXT) | instid1(VALU_DEP_1)
	v_dual_cndmask_b32 v1, v1, v5 :: v_dual_cndmask_b32 v0, v0, v4
	v_cmp_le_u32_e32 vcc_lo, s4, v1
	s_delay_alu instid0(VALU_DEP_2) | instskip(SKIP_1) | instid1(VALU_DEP_1)
	v_dual_mov_b32 v1, 0 :: v_dual_add_nc_u32 v4, 1, v0
	s_wait_alu 0xfffd
	v_cndmask_b32_e32 v0, v0, v4, vcc_lo
.LBB89_4:
	s_or_b32 exec_lo, exec_lo, s2
	s_load_b128 s[24:27], s[0:1], 0x20
	v_mul_lo_u32 v6, v1, s4
	s_delay_alu instid0(VALU_DEP_2) | instskip(SKIP_3) | instid1(VALU_DEP_2)
	v_mul_lo_u32 v7, v0, s5
	v_mad_co_u64_u32 v[4:5], null, v0, s4, 0
	s_wait_kmcnt 0x0
	v_cmp_gt_i64_e64 s2, s[20:21], v[0:1]
	v_add3_u32 v5, v5, v7, v6
	s_delay_alu instid0(VALU_DEP_3) | instskip(SKIP_1) | instid1(VALU_DEP_2)
	v_sub_co_u32 v2, vcc_lo, v2, v4
	s_wait_alu 0xfffd
	v_sub_co_ci_u32_e64 v3, null, v3, v5, vcc_lo
	s_delay_alu instid0(VALU_DEP_1)
	v_cmp_gt_i64_e32 vcc_lo, s[26:27], v[2:3]
	s_and_b32 s2, vcc_lo, s2
	s_wait_alu 0xfffe
	s_and_saveexec_b32 s3, s2
	s_cbranch_execz .LBB89_20
; %bb.5:
	s_load_b256 s[4:11], s[0:1], 0x38
	v_lshlrev_b64_e32 v[5:6], 2, v[0:1]
	s_load_b256 s[12:19], s[0:1], 0x0
	s_add_nc_u64 s[2:3], s[20:21], -1
                                        ; implicit-def: $vgpr12
	s_wait_kmcnt 0x0
	s_delay_alu instid0(VALU_DEP_1)
	v_add_co_u32 v5, vcc_lo, s10, v5
	s_wait_alu 0xfffd
	v_add_co_ci_u32_e64 v6, null, s11, v6, vcc_lo
	s_wait_alu 0xfffe
	v_cmp_ne_u64_e32 vcc_lo, s[2:3], v[0:1]
	global_load_b32 v4, v[5:6], off
	s_and_saveexec_b32 s2, vcc_lo
	s_wait_alu 0xfffe
	s_xor_b32 s2, exec_lo, s2
	s_cbranch_execz .LBB89_7
; %bb.6:
	global_load_b32 v12, v[5:6], off offset:4
.LBB89_7:
	s_wait_alu 0xfffe
	s_and_not1_saveexec_b32 s2, s2
	s_cbranch_execz .LBB89_9
; %bb.8:
	s_wait_loadcnt 0x0
	v_mov_b32_e32 v12, s24
.LBB89_9:
	s_wait_alu 0xfffe
	s_or_b32 exec_lo, exec_lo, s2
	v_mov_b32_e32 v13, 0
	s_mov_b32 s2, exec_lo
	s_wait_loadcnt 0x0
	v_cmpx_lt_i32_e64 v4, v12
	s_cbranch_execz .LBB89_19
; %bb.10:
	s_load_b32 s0, s[0:1], 0x30
	v_ashrrev_i32_e32 v5, 31, v4
	v_lshlrev_b64_e32 v[6:7], 1, v[2:3]
	s_cmp_lg_u64 s[18:19], 0
	v_mov_b32_e32 v13, 0
	s_cselect_b32 s1, -1, 0
	v_lshlrev_b64_e32 v[8:9], 2, v[4:5]
	s_cmp_lg_u64 s[6:7], 0
	v_add_co_u32 v14, vcc_lo, s14, v6
	s_wait_alu 0xfffd
	v_add_co_ci_u32_e64 v15, null, s15, v7, vcc_lo
	s_delay_alu instid0(VALU_DEP_3)
	v_add_co_u32 v5, vcc_lo, s12, v8
	s_wait_alu 0xfffd
	v_add_co_ci_u32_e64 v6, null, s13, v9, vcc_lo
	v_add_co_u32 v7, vcc_lo, s18, v8
	s_wait_alu 0xfffd
	v_add_co_ci_u32_e64 v8, null, s19, v9, vcc_lo
	s_cselect_b32 s3, -1, 0
	s_wait_kmcnt 0x0
	s_cmp_lg_u32 s0, 0
	s_mov_b32 s11, 0
	s_cselect_b32 s10, -1, 0
	s_branch .LBB89_12
.LBB89_11:                              ;   in Loop: Header=BB89_12 Depth=1
	s_delay_alu instid0(VALU_DEP_1) | instskip(SKIP_3) | instid1(VALU_DEP_3)
	v_dual_fmac_f32 v13, v16, v11 :: v_dual_add_nc_u32 v4, 1, v4
	v_add_co_u32 v5, vcc_lo, v5, 4
	s_wait_alu 0xfffd
	v_add_co_ci_u32_e64 v6, null, 0, v6, vcc_lo
	v_cmp_ge_i32_e32 vcc_lo, v4, v12
	v_add_co_u32 v7, s0, v7, 4
	s_wait_alu 0xf1ff
	v_add_co_ci_u32_e64 v8, null, 0, v8, s0
	s_or_b32 s11, vcc_lo, s11
	s_wait_alu 0xfffe
	s_and_not1_b32 exec_lo, exec_lo, s11
	s_cbranch_execz .LBB89_18
.LBB89_12:                              ; =>This Inner Loop Header: Depth=1
	global_load_b32 v10, v[5:6], off
	s_wait_loadcnt 0x0
	v_ashrrev_i32_e32 v11, 31, v10
	s_delay_alu instid0(VALU_DEP_1) | instskip(NEXT) | instid1(VALU_DEP_1)
	v_lshlrev_b64_e32 v[16:17], 2, v[10:11]
	v_add_co_u32 v16, vcc_lo, s16, v16
	s_wait_alu 0xfffd
	s_delay_alu instid0(VALU_DEP_2)
	v_add_co_ci_u32_e64 v17, null, s17, v17, vcc_lo
	s_wait_alu 0xfffe
	s_and_not1_b32 vcc_lo, exec_lo, s1
	global_load_b32 v9, v[16:17], off
	s_wait_alu 0xfffe
	s_cbranch_vccnz .LBB89_17
; %bb.13:                               ;   in Loop: Header=BB89_12 Depth=1
	global_load_b32 v16, v[7:8], off
	s_wait_loadcnt 0x0
	v_cvt_f64_i32_e32 v[16:17], v16
	s_delay_alu instid0(VALU_DEP_1) | instskip(NEXT) | instid1(VALU_DEP_1)
	v_div_scale_f64 v[18:19], null, v[16:17], v[16:17], 1.0
	v_rcp_f64_e32 v[20:21], v[18:19]
	s_delay_alu instid0(TRANS32_DEP_1) | instskip(NEXT) | instid1(VALU_DEP_1)
	v_fma_f64 v[22:23], -v[18:19], v[20:21], 1.0
	v_fma_f64 v[20:21], v[20:21], v[22:23], v[20:21]
	s_delay_alu instid0(VALU_DEP_1) | instskip(NEXT) | instid1(VALU_DEP_1)
	v_fma_f64 v[22:23], -v[18:19], v[20:21], 1.0
	v_fma_f64 v[20:21], v[20:21], v[22:23], v[20:21]
	v_div_scale_f64 v[22:23], vcc_lo, 1.0, v[16:17], 1.0
	s_delay_alu instid0(VALU_DEP_1) | instskip(NEXT) | instid1(VALU_DEP_1)
	v_mul_f64_e32 v[24:25], v[22:23], v[20:21]
	v_fma_f64 v[18:19], -v[18:19], v[24:25], v[22:23]
	s_wait_alu 0xfffd
	s_delay_alu instid0(VALU_DEP_1) | instskip(NEXT) | instid1(VALU_DEP_1)
	v_div_fmas_f64 v[18:19], v[18:19], v[20:21], v[24:25]
	v_div_fixup_f64 v[16:17], v[18:19], v[16:17], 1.0
	s_delay_alu instid0(VALU_DEP_1)
	v_cvt_f32_f64_e32 v16, v[16:17]
	s_and_not1_b32 vcc_lo, exec_lo, s3
	s_wait_alu 0xfffe
	s_cbranch_vccnz .LBB89_15
.LBB89_14:                              ;   in Loop: Header=BB89_12 Depth=1
	v_mul_lo_u32 v17, s9, v10
	v_mul_lo_u32 v18, s8, v11
	v_mad_co_u64_u32 v[10:11], null, s8, v10, 0
	s_delay_alu instid0(VALU_DEP_1) | instskip(NEXT) | instid1(VALU_DEP_1)
	v_add3_u32 v11, v11, v18, v17
	v_lshlrev_b64_e32 v[10:11], 1, v[10:11]
	s_delay_alu instid0(VALU_DEP_1) | instskip(SKIP_1) | instid1(VALU_DEP_2)
	v_add_co_u32 v10, vcc_lo, s6, v10
	s_wait_alu 0xfffd
	v_add_co_ci_u32_e64 v11, null, s7, v11, vcc_lo
	global_load_u16 v10, v[10:11], off
	s_wait_loadcnt 0x0
	v_cvt_f32_f16_e32 v10, v10
	s_delay_alu instid0(VALU_DEP_1)
	v_mul_f32_e32 v16, v16, v10
.LBB89_15:                              ;   in Loop: Header=BB89_12 Depth=1
	s_wait_loadcnt 0x0
	v_mul_lo_u32 v10, v9, s26
	s_delay_alu instid0(VALU_DEP_1) | instskip(NEXT) | instid1(VALU_DEP_1)
	v_ashrrev_i32_e32 v11, 31, v10
	v_lshlrev_b64_e32 v[10:11], 1, v[10:11]
	s_delay_alu instid0(VALU_DEP_1) | instskip(SKIP_1) | instid1(VALU_DEP_2)
	v_add_co_u32 v10, vcc_lo, v14, v10
	s_wait_alu 0xfffd
	v_add_co_ci_u32_e64 v11, null, v15, v11, vcc_lo
	s_and_not1_b32 vcc_lo, exec_lo, s10
	global_load_u16 v10, v[10:11], off
	s_wait_loadcnt 0x0
	v_cvt_f32_f16_e32 v11, v10
	s_wait_alu 0xfffe
	s_cbranch_vccnz .LBB89_11
; %bb.16:                               ;   in Loop: Header=BB89_12 Depth=1
	v_ashrrev_i32_e32 v10, 31, v9
	s_delay_alu instid0(VALU_DEP_1) | instskip(NEXT) | instid1(VALU_DEP_1)
	v_lshlrev_b64_e32 v[9:10], 2, v[9:10]
	v_add_co_u32 v9, vcc_lo, s4, v9
	s_wait_alu 0xfffd
	s_delay_alu instid0(VALU_DEP_2) | instskip(SKIP_3) | instid1(VALU_DEP_1)
	v_add_co_ci_u32_e64 v10, null, s5, v10, vcc_lo
	global_load_b32 v9, v[9:10], off
	s_wait_loadcnt 0x0
	v_cvt_f32_i32_e32 v9, v9
	v_div_scale_f32 v10, null, v9, v9, v11
	s_delay_alu instid0(VALU_DEP_1) | instskip(NEXT) | instid1(TRANS32_DEP_1)
	v_rcp_f32_e32 v17, v10
	v_fma_f32 v18, -v10, v17, 1.0
	s_delay_alu instid0(VALU_DEP_1) | instskip(SKIP_1) | instid1(VALU_DEP_1)
	v_fmac_f32_e32 v17, v18, v17
	v_div_scale_f32 v18, vcc_lo, v11, v9, v11
	v_mul_f32_e32 v19, v18, v17
	s_delay_alu instid0(VALU_DEP_1) | instskip(NEXT) | instid1(VALU_DEP_1)
	v_fma_f32 v20, -v10, v19, v18
	v_fmac_f32_e32 v19, v20, v17
	s_delay_alu instid0(VALU_DEP_1) | instskip(SKIP_1) | instid1(VALU_DEP_1)
	v_fma_f32 v10, -v10, v19, v18
	s_wait_alu 0xfffd
	v_div_fmas_f32 v10, v10, v17, v19
	s_delay_alu instid0(VALU_DEP_1)
	v_div_fixup_f32 v11, v10, v9, v11
	s_branch .LBB89_11
.LBB89_17:                              ;   in Loop: Header=BB89_12 Depth=1
	v_mov_b32_e32 v16, 1.0
	s_and_not1_b32 vcc_lo, exec_lo, s3
	s_wait_alu 0xfffe
	s_cbranch_vccz .LBB89_14
	s_branch .LBB89_15
.LBB89_18:
	s_or_b32 exec_lo, exec_lo, s11
.LBB89_19:
	s_wait_alu 0xfffe
	s_or_b32 exec_lo, exec_lo, s2
	v_mul_lo_u32 v4, v1, s26
	v_mul_lo_u32 v5, v0, s27
	v_mad_co_u64_u32 v[0:1], null, v0, s26, 0
	v_lshlrev_b64_e32 v[2:3], 2, v[2:3]
	s_delay_alu instid0(VALU_DEP_2) | instskip(NEXT) | instid1(VALU_DEP_1)
	v_add3_u32 v1, v1, v5, v4
	v_lshlrev_b64_e32 v[0:1], 2, v[0:1]
	s_delay_alu instid0(VALU_DEP_1) | instskip(SKIP_1) | instid1(VALU_DEP_2)
	v_add_co_u32 v0, vcc_lo, s22, v0
	s_wait_alu 0xfffd
	v_add_co_ci_u32_e64 v1, null, s23, v1, vcc_lo
	s_delay_alu instid0(VALU_DEP_2) | instskip(SKIP_1) | instid1(VALU_DEP_2)
	v_add_co_u32 v0, vcc_lo, v0, v2
	s_wait_alu 0xfffd
	v_add_co_ci_u32_e64 v1, null, v1, v3, vcc_lo
	global_store_b32 v[0:1], v13, off
.LBB89_20:
	s_endpgm
	.section	.rodata,"a",@progbits
	.p2align	6, 0x0
	.amdhsa_kernel _ZN2at6native12_GLOBAL__N_124compute_grad_weight_bagsIN3c104HalfEiEEvPKT0_PKT_S7_S7_lliS7_SA_lS7_PKlPNS_14AccumulateTypeIS8_Lb1EE4typeEl
		.amdhsa_group_segment_fixed_size 0
		.amdhsa_private_segment_fixed_size 0
		.amdhsa_kernarg_size 368
		.amdhsa_user_sgpr_count 2
		.amdhsa_user_sgpr_dispatch_ptr 0
		.amdhsa_user_sgpr_queue_ptr 0
		.amdhsa_user_sgpr_kernarg_segment_ptr 1
		.amdhsa_user_sgpr_dispatch_id 0
		.amdhsa_user_sgpr_private_segment_size 0
		.amdhsa_wavefront_size32 1
		.amdhsa_uses_dynamic_stack 0
		.amdhsa_enable_private_segment 0
		.amdhsa_system_sgpr_workgroup_id_x 1
		.amdhsa_system_sgpr_workgroup_id_y 0
		.amdhsa_system_sgpr_workgroup_id_z 0
		.amdhsa_system_sgpr_workgroup_info 0
		.amdhsa_system_vgpr_workitem_id 0
		.amdhsa_next_free_vgpr 26
		.amdhsa_next_free_sgpr 28
		.amdhsa_reserve_vcc 1
		.amdhsa_float_round_mode_32 0
		.amdhsa_float_round_mode_16_64 0
		.amdhsa_float_denorm_mode_32 3
		.amdhsa_float_denorm_mode_16_64 3
		.amdhsa_fp16_overflow 0
		.amdhsa_workgroup_processor_mode 1
		.amdhsa_memory_ordered 1
		.amdhsa_forward_progress 1
		.amdhsa_inst_pref_size 17
		.amdhsa_round_robin_scheduling 0
		.amdhsa_exception_fp_ieee_invalid_op 0
		.amdhsa_exception_fp_denorm_src 0
		.amdhsa_exception_fp_ieee_div_zero 0
		.amdhsa_exception_fp_ieee_overflow 0
		.amdhsa_exception_fp_ieee_underflow 0
		.amdhsa_exception_fp_ieee_inexact 0
		.amdhsa_exception_int_div_zero 0
	.end_amdhsa_kernel
	.section	.text._ZN2at6native12_GLOBAL__N_124compute_grad_weight_bagsIN3c104HalfEiEEvPKT0_PKT_S7_S7_lliS7_SA_lS7_PKlPNS_14AccumulateTypeIS8_Lb1EE4typeEl,"axG",@progbits,_ZN2at6native12_GLOBAL__N_124compute_grad_weight_bagsIN3c104HalfEiEEvPKT0_PKT_S7_S7_lliS7_SA_lS7_PKlPNS_14AccumulateTypeIS8_Lb1EE4typeEl,comdat
.Lfunc_end89:
	.size	_ZN2at6native12_GLOBAL__N_124compute_grad_weight_bagsIN3c104HalfEiEEvPKT0_PKT_S7_S7_lliS7_SA_lS7_PKlPNS_14AccumulateTypeIS8_Lb1EE4typeEl, .Lfunc_end89-_ZN2at6native12_GLOBAL__N_124compute_grad_weight_bagsIN3c104HalfEiEEvPKT0_PKT_S7_S7_lliS7_SA_lS7_PKlPNS_14AccumulateTypeIS8_Lb1EE4typeEl
                                        ; -- End function
	.set _ZN2at6native12_GLOBAL__N_124compute_grad_weight_bagsIN3c104HalfEiEEvPKT0_PKT_S7_S7_lliS7_SA_lS7_PKlPNS_14AccumulateTypeIS8_Lb1EE4typeEl.num_vgpr, 26
	.set _ZN2at6native12_GLOBAL__N_124compute_grad_weight_bagsIN3c104HalfEiEEvPKT0_PKT_S7_S7_lliS7_SA_lS7_PKlPNS_14AccumulateTypeIS8_Lb1EE4typeEl.num_agpr, 0
	.set _ZN2at6native12_GLOBAL__N_124compute_grad_weight_bagsIN3c104HalfEiEEvPKT0_PKT_S7_S7_lliS7_SA_lS7_PKlPNS_14AccumulateTypeIS8_Lb1EE4typeEl.numbered_sgpr, 28
	.set _ZN2at6native12_GLOBAL__N_124compute_grad_weight_bagsIN3c104HalfEiEEvPKT0_PKT_S7_S7_lliS7_SA_lS7_PKlPNS_14AccumulateTypeIS8_Lb1EE4typeEl.num_named_barrier, 0
	.set _ZN2at6native12_GLOBAL__N_124compute_grad_weight_bagsIN3c104HalfEiEEvPKT0_PKT_S7_S7_lliS7_SA_lS7_PKlPNS_14AccumulateTypeIS8_Lb1EE4typeEl.private_seg_size, 0
	.set _ZN2at6native12_GLOBAL__N_124compute_grad_weight_bagsIN3c104HalfEiEEvPKT0_PKT_S7_S7_lliS7_SA_lS7_PKlPNS_14AccumulateTypeIS8_Lb1EE4typeEl.uses_vcc, 1
	.set _ZN2at6native12_GLOBAL__N_124compute_grad_weight_bagsIN3c104HalfEiEEvPKT0_PKT_S7_S7_lliS7_SA_lS7_PKlPNS_14AccumulateTypeIS8_Lb1EE4typeEl.uses_flat_scratch, 0
	.set _ZN2at6native12_GLOBAL__N_124compute_grad_weight_bagsIN3c104HalfEiEEvPKT0_PKT_S7_S7_lliS7_SA_lS7_PKlPNS_14AccumulateTypeIS8_Lb1EE4typeEl.has_dyn_sized_stack, 0
	.set _ZN2at6native12_GLOBAL__N_124compute_grad_weight_bagsIN3c104HalfEiEEvPKT0_PKT_S7_S7_lliS7_SA_lS7_PKlPNS_14AccumulateTypeIS8_Lb1EE4typeEl.has_recursion, 0
	.set _ZN2at6native12_GLOBAL__N_124compute_grad_weight_bagsIN3c104HalfEiEEvPKT0_PKT_S7_S7_lliS7_SA_lS7_PKlPNS_14AccumulateTypeIS8_Lb1EE4typeEl.has_indirect_call, 0
	.section	.AMDGPU.csdata,"",@progbits
; Kernel info:
; codeLenInByte = 2140
; TotalNumSgprs: 30
; NumVgprs: 26
; ScratchSize: 0
; MemoryBound: 0
; FloatMode: 240
; IeeeMode: 1
; LDSByteSize: 0 bytes/workgroup (compile time only)
; SGPRBlocks: 0
; VGPRBlocks: 3
; NumSGPRsForWavesPerEU: 30
; NumVGPRsForWavesPerEU: 26
; Occupancy: 16
; WaveLimiterHint : 1
; COMPUTE_PGM_RSRC2:SCRATCH_EN: 0
; COMPUTE_PGM_RSRC2:USER_SGPR: 2
; COMPUTE_PGM_RSRC2:TRAP_HANDLER: 0
; COMPUTE_PGM_RSRC2:TGID_X_EN: 1
; COMPUTE_PGM_RSRC2:TGID_Y_EN: 0
; COMPUTE_PGM_RSRC2:TGID_Z_EN: 0
; COMPUTE_PGM_RSRC2:TIDIG_COMP_CNT: 0
	.section	.text._ZN2at6native12_GLOBAL__N_119compute_grad_weightIN3c104HalfEiEEvPKT0_PKT_S7_llS7_PKlPNS_14AccumulateTypeIS8_Lb1EE4typeEl,"axG",@progbits,_ZN2at6native12_GLOBAL__N_119compute_grad_weightIN3c104HalfEiEEvPKT0_PKT_S7_llS7_PKlPNS_14AccumulateTypeIS8_Lb1EE4typeEl,comdat
	.globl	_ZN2at6native12_GLOBAL__N_119compute_grad_weightIN3c104HalfEiEEvPKT0_PKT_S7_llS7_PKlPNS_14AccumulateTypeIS8_Lb1EE4typeEl ; -- Begin function _ZN2at6native12_GLOBAL__N_119compute_grad_weightIN3c104HalfEiEEvPKT0_PKT_S7_llS7_PKlPNS_14AccumulateTypeIS8_Lb1EE4typeEl
	.p2align	8
	.type	_ZN2at6native12_GLOBAL__N_119compute_grad_weightIN3c104HalfEiEEvPKT0_PKT_S7_llS7_PKlPNS_14AccumulateTypeIS8_Lb1EE4typeEl,@function
_ZN2at6native12_GLOBAL__N_119compute_grad_weightIN3c104HalfEiEEvPKT0_PKT_S7_llS7_PKlPNS_14AccumulateTypeIS8_Lb1EE4typeEl: ; @_ZN2at6native12_GLOBAL__N_119compute_grad_weightIN3c104HalfEiEEvPKT0_PKT_S7_llS7_PKlPNS_14AccumulateTypeIS8_Lb1EE4typeEl
; %bb.0:
	s_clause 0x2
	s_load_b32 s20, s[0:1], 0x54
	s_load_b64 s[2:3], s[0:1], 0x40
	s_load_b512 s[4:19], s[0:1], 0x0
	v_mov_b32_e32 v1, 0
	s_delay_alu instid0(VALU_DEP_1) | instskip(SKIP_2) | instid1(SALU_CYCLE_1)
	v_mov_b32_e32 v4, v1
	s_wait_kmcnt 0x0
	s_and_b32 s0, s20, 0xffff
	v_mad_co_u64_u32 v[2:3], null, s0, ttmp9, v[0:1]
                                        ; implicit-def: $vgpr0_vgpr1
	s_mov_b32 s0, exec_lo
	v_or_b32_e32 v5, s3, v3
	s_delay_alu instid0(VALU_DEP_1)
	v_cmpx_ne_u64_e32 0, v[4:5]
	s_wait_alu 0xfffe
	s_xor_b32 s1, exec_lo, s0
	s_cbranch_execz .LBB90_2
; %bb.1:
	s_ashr_i32 s20, s3, 31
	s_mov_b32 s31, 0
	s_mov_b32 s21, s20
	v_ashrrev_i32_e32 v8, 31, v3
	s_add_nc_u64 s[22:23], s[2:3], s[20:21]
	s_delay_alu instid0(SALU_CYCLE_1) | instskip(NEXT) | instid1(VALU_DEP_1)
	s_xor_b64 s[22:23], s[22:23], s[20:21]
	v_add_co_u32 v0, vcc_lo, v2, v8
	s_cvt_f32_u32 s0, s22
	s_cvt_f32_u32 s11, s23
	s_sub_nc_u64 s[26:27], 0, s[22:23]
	v_add_co_ci_u32_e64 v1, null, v3, v8, vcc_lo
	s_wait_alu 0xfffe
	s_fmamk_f32 s0, s11, 0x4f800000, s0
	v_xor_b32_e32 v9, v0, v8
	s_delay_alu instid0(VALU_DEP_2) | instskip(SKIP_2) | instid1(TRANS32_DEP_1)
	v_xor_b32_e32 v10, v1, v8
	s_wait_alu 0xfffe
	v_s_rcp_f32 s0, s0
	s_mul_f32 s0, s0, 0x5f7ffffc
	s_wait_alu 0xfffe
	s_delay_alu instid0(SALU_CYCLE_2) | instskip(NEXT) | instid1(SALU_CYCLE_3)
	s_mul_f32 s11, s0, 0x2f800000
	s_trunc_f32 s11, s11
	s_delay_alu instid0(SALU_CYCLE_3) | instskip(SKIP_2) | instid1(SALU_CYCLE_1)
	s_fmamk_f32 s0, s11, 0xcf800000, s0
	s_cvt_u32_f32 s25, s11
	s_wait_alu 0xfffe
	s_cvt_u32_f32 s24, s0
	s_delay_alu instid0(SALU_CYCLE_3) | instskip(NEXT) | instid1(SALU_CYCLE_1)
	s_mul_u64 s[28:29], s[26:27], s[24:25]
	s_mul_hi_u32 s35, s24, s29
	s_mul_i32 s34, s24, s29
	s_mul_hi_u32 s30, s24, s28
	s_mul_i32 s11, s25, s28
	s_add_nc_u64 s[34:35], s[30:31], s[34:35]
	s_mul_hi_u32 s0, s25, s28
	s_mul_hi_u32 s21, s25, s29
	s_add_co_u32 s11, s34, s11
	s_wait_alu 0xfffe
	s_add_co_ci_u32 s30, s35, s0
	s_mul_i32 s28, s25, s29
	s_add_co_ci_u32 s29, s21, 0
	s_delay_alu instid0(SALU_CYCLE_1) | instskip(NEXT) | instid1(SALU_CYCLE_1)
	s_add_nc_u64 s[28:29], s[30:31], s[28:29]
	s_add_co_u32 s24, s24, s28
	s_cselect_b32 s0, -1, 0
	s_wait_alu 0xfffe
	s_cmp_lg_u32 s0, 0
	s_add_co_ci_u32 s25, s25, s29
	s_delay_alu instid0(SALU_CYCLE_1) | instskip(NEXT) | instid1(SALU_CYCLE_1)
	s_mul_u64 s[26:27], s[26:27], s[24:25]
	s_mul_hi_u32 s29, s24, s27
	s_mul_i32 s28, s24, s27
	s_mul_hi_u32 s30, s24, s26
	s_mul_i32 s11, s25, s26
	s_add_nc_u64 s[28:29], s[30:31], s[28:29]
	s_mul_hi_u32 s0, s25, s26
	s_mul_hi_u32 s21, s25, s27
	s_add_co_u32 s11, s28, s11
	s_wait_alu 0xfffe
	s_add_co_ci_u32 s30, s29, s0
	s_mul_i32 s26, s25, s27
	s_add_co_ci_u32 s27, s21, 0
	s_delay_alu instid0(SALU_CYCLE_1) | instskip(NEXT) | instid1(SALU_CYCLE_1)
	s_add_nc_u64 s[26:27], s[30:31], s[26:27]
	s_add_co_u32 s0, s24, s26
	s_cselect_b32 s11, -1, 0
	s_wait_alu 0xfffe
	v_mul_hi_u32 v11, v9, s0
	s_cmp_lg_u32 s11, 0
	v_mad_co_u64_u32 v[4:5], null, v10, s0, 0
	s_add_co_ci_u32 s11, s25, s27
	s_delay_alu instid0(SALU_CYCLE_1) | instskip(SKIP_1) | instid1(VALU_DEP_2)
	v_mad_co_u64_u32 v[0:1], null, v9, s11, 0
	v_mad_co_u64_u32 v[6:7], null, v10, s11, 0
	v_add_co_u32 v0, vcc_lo, v11, v0
	s_wait_alu 0xfffd
	s_delay_alu instid0(VALU_DEP_3) | instskip(NEXT) | instid1(VALU_DEP_2)
	v_add_co_ci_u32_e64 v1, null, 0, v1, vcc_lo
	v_add_co_u32 v0, vcc_lo, v0, v4
	s_wait_alu 0xfffd
	s_delay_alu instid0(VALU_DEP_2) | instskip(SKIP_2) | instid1(VALU_DEP_2)
	v_add_co_ci_u32_e32 v0, vcc_lo, v1, v5, vcc_lo
	s_wait_alu 0xfffd
	v_add_co_ci_u32_e32 v1, vcc_lo, 0, v7, vcc_lo
	v_add_co_u32 v4, vcc_lo, v0, v6
	s_wait_alu 0xfffd
	s_delay_alu instid0(VALU_DEP_2) | instskip(NEXT) | instid1(VALU_DEP_2)
	v_add_co_ci_u32_e64 v5, null, 0, v1, vcc_lo
	v_mul_lo_u32 v6, s23, v4
	v_mad_co_u64_u32 v[0:1], null, s22, v4, 0
	s_delay_alu instid0(VALU_DEP_3) | instskip(NEXT) | instid1(VALU_DEP_2)
	v_mul_lo_u32 v7, s22, v5
	v_sub_co_u32 v0, vcc_lo, v9, v0
	s_delay_alu instid0(VALU_DEP_2) | instskip(SKIP_3) | instid1(VALU_DEP_3)
	v_add3_u32 v1, v1, v7, v6
	v_add_co_u32 v7, s0, v4, 2
	s_wait_alu 0xf1ff
	v_add_co_ci_u32_e64 v9, null, 0, v5, s0
	v_sub_nc_u32_e32 v6, v10, v1
	v_sub_co_u32 v11, s0, v0, s22
	s_wait_alu 0xfffd
	v_sub_co_ci_u32_e64 v1, null, v10, v1, vcc_lo
	s_delay_alu instid0(VALU_DEP_3) | instskip(NEXT) | instid1(VALU_DEP_3)
	v_subrev_co_ci_u32_e64 v6, null, s23, v6, vcc_lo
	v_cmp_le_u32_e32 vcc_lo, s22, v11
	s_wait_alu 0xf1ff
	s_delay_alu instid0(VALU_DEP_2) | instskip(SKIP_2) | instid1(VALU_DEP_2)
	v_subrev_co_ci_u32_e64 v6, null, 0, v6, s0
	s_wait_alu 0xfffd
	v_cndmask_b32_e64 v10, 0, -1, vcc_lo
	v_cmp_le_u32_e32 vcc_lo, s23, v6
	s_wait_alu 0xfffd
	v_cndmask_b32_e64 v11, 0, -1, vcc_lo
	v_cmp_le_u32_e32 vcc_lo, s22, v0
	;; [unrolled: 3-line block ×3, first 2 shown]
	s_wait_alu 0xfffd
	v_cndmask_b32_e64 v12, 0, -1, vcc_lo
	v_cmp_eq_u32_e32 vcc_lo, s23, v6
	s_wait_alu 0xfffd
	v_cndmask_b32_e32 v6, v11, v10, vcc_lo
	v_add_co_u32 v10, vcc_lo, v4, 1
	s_wait_alu 0xfffd
	v_add_co_ci_u32_e64 v11, null, 0, v5, vcc_lo
	v_cmp_eq_u32_e32 vcc_lo, s23, v1
	s_wait_alu 0xfffd
	v_cndmask_b32_e32 v0, v12, v0, vcc_lo
	v_cmp_ne_u32_e32 vcc_lo, 0, v6
	v_xor_b32_e32 v6, s20, v8
	s_wait_alu 0xfffd
	v_cndmask_b32_e32 v1, v11, v9, vcc_lo
	v_cmp_ne_u32_e64 s0, 0, v0
	v_cndmask_b32_e32 v0, v10, v7, vcc_lo
	s_wait_alu 0xf1ff
	s_delay_alu instid0(VALU_DEP_2) | instskip(NEXT) | instid1(VALU_DEP_2)
	v_cndmask_b32_e64 v1, v5, v1, s0
	v_cndmask_b32_e64 v0, v4, v0, s0
	s_delay_alu instid0(VALU_DEP_2) | instskip(NEXT) | instid1(VALU_DEP_2)
	v_xor_b32_e32 v1, v1, v6
	v_xor_b32_e32 v0, v0, v6
	s_delay_alu instid0(VALU_DEP_1) | instskip(SKIP_1) | instid1(VALU_DEP_3)
	v_sub_co_u32 v0, vcc_lo, v0, v6
	s_wait_alu 0xfffd
	v_sub_co_ci_u32_e64 v1, null, v1, v6, vcc_lo
.LBB90_2:
	s_wait_alu 0xfffe
	s_or_saveexec_b32 s0, s1
	s_load_b64 s[16:17], s[16:17], 0x0
	s_xor_b32 exec_lo, exec_lo, s0
	s_cbranch_execz .LBB90_4
; %bb.3:
	v_cvt_f32_u32_e32 v0, s2
	s_sub_co_i32 s1, 0, s2
	s_delay_alu instid0(VALU_DEP_1) | instskip(NEXT) | instid1(TRANS32_DEP_1)
	v_rcp_iflag_f32_e32 v0, v0
	v_mul_f32_e32 v0, 0x4f7ffffe, v0
	s_delay_alu instid0(VALU_DEP_1) | instskip(SKIP_1) | instid1(VALU_DEP_1)
	v_cvt_u32_f32_e32 v0, v0
	s_wait_alu 0xfffe
	v_mul_lo_u32 v1, s1, v0
	s_delay_alu instid0(VALU_DEP_1) | instskip(NEXT) | instid1(VALU_DEP_1)
	v_mul_hi_u32 v1, v0, v1
	v_add_nc_u32_e32 v0, v0, v1
	s_delay_alu instid0(VALU_DEP_1) | instskip(NEXT) | instid1(VALU_DEP_1)
	v_mul_hi_u32 v0, v2, v0
	v_mul_lo_u32 v1, v0, s2
	v_add_nc_u32_e32 v4, 1, v0
	s_delay_alu instid0(VALU_DEP_2) | instskip(NEXT) | instid1(VALU_DEP_1)
	v_sub_nc_u32_e32 v1, v2, v1
	v_subrev_nc_u32_e32 v5, s2, v1
	v_cmp_le_u32_e32 vcc_lo, s2, v1
	s_wait_alu 0xfffd
	s_delay_alu instid0(VALU_DEP_2) | instskip(NEXT) | instid1(VALU_DEP_1)
	v_dual_cndmask_b32 v1, v1, v5 :: v_dual_cndmask_b32 v0, v0, v4
	v_cmp_le_u32_e32 vcc_lo, s2, v1
	s_delay_alu instid0(VALU_DEP_2) | instskip(SKIP_1) | instid1(VALU_DEP_1)
	v_dual_mov_b32 v1, 0 :: v_dual_add_nc_u32 v4, 1, v0
	s_wait_alu 0xfffd
	v_cndmask_b32_e32 v0, v0, v4, vcc_lo
.LBB90_4:
	s_or_b32 exec_lo, exec_lo, s0
	s_delay_alu instid0(VALU_DEP_2) | instskip(NEXT) | instid1(VALU_DEP_2)
	v_mul_lo_u32 v6, v1, s2
	v_mul_lo_u32 v7, v0, s3
	v_mad_co_u64_u32 v[4:5], null, v0, s2, 0
	s_wait_kmcnt 0x0
	v_cmp_gt_i64_e64 s0, s[16:17], v[0:1]
	s_delay_alu instid0(VALU_DEP_2) | instskip(NEXT) | instid1(VALU_DEP_3)
	v_add3_u32 v5, v5, v7, v6
	v_sub_co_u32 v2, vcc_lo, v2, v4
	s_wait_alu 0xfffd
	s_delay_alu instid0(VALU_DEP_2) | instskip(NEXT) | instid1(VALU_DEP_1)
	v_sub_co_ci_u32_e64 v3, null, v3, v5, vcc_lo
	v_cmp_gt_i64_e32 vcc_lo, s[12:13], v[2:3]
	s_and_b32 s0, vcc_lo, s0
	s_wait_alu 0xfffe
	s_and_saveexec_b32 s1, s0
	s_cbranch_execz .LBB90_17
; %bb.5:
	v_lshlrev_b64_e32 v[5:6], 2, v[0:1]
	s_add_nc_u64 s[0:1], s[16:17], -1
                                        ; implicit-def: $vgpr9
	s_delay_alu instid0(VALU_DEP_1) | instskip(SKIP_1) | instid1(VALU_DEP_2)
	v_add_co_u32 v5, vcc_lo, s14, v5
	s_wait_alu 0xfffd
	v_add_co_ci_u32_e64 v6, null, s15, v6, vcc_lo
	s_wait_alu 0xfffe
	v_cmp_ne_u64_e32 vcc_lo, s[0:1], v[0:1]
	global_load_b32 v4, v[5:6], off
	s_and_saveexec_b32 s0, vcc_lo
	s_wait_alu 0xfffe
	s_xor_b32 s0, exec_lo, s0
	s_cbranch_execz .LBB90_7
; %bb.6:
	global_load_b32 v9, v[5:6], off offset:4
.LBB90_7:
	s_wait_alu 0xfffe
	s_and_not1_saveexec_b32 s0, s0
	s_cbranch_execz .LBB90_9
; %bb.8:
	s_wait_loadcnt 0x0
	v_mov_b32_e32 v9, s10
.LBB90_9:
	s_wait_alu 0xfffe
	s_or_b32 exec_lo, exec_lo, s0
	v_mov_b32_e32 v10, 0
	s_mov_b32 s1, exec_lo
	s_wait_loadcnt 0x0
	v_cmpx_lt_i32_e64 v4, v9
	s_cbranch_execz .LBB90_16
; %bb.10:
	v_ashrrev_i32_e32 v5, 31, v4
	v_lshlrev_b64_e32 v[6:7], 1, v[2:3]
	v_mov_b32_e32 v10, 0
	s_cmp_lg_u64 s[8:9], 0
	s_mov_b32 s3, 0
	v_lshlrev_b64_e32 v[13:14], 2, v[4:5]
	s_cselect_b32 s2, -1, 0
	v_add_co_u32 v11, vcc_lo, s6, v6
	s_wait_alu 0xfffd
	v_add_co_ci_u32_e64 v12, null, s7, v7, vcc_lo
	s_delay_alu instid0(VALU_DEP_3)
	v_add_co_u32 v5, vcc_lo, s4, v13
	s_wait_alu 0xfffd
	v_add_co_ci_u32_e64 v6, null, s5, v14, vcc_lo
	v_add_co_u32 v7, vcc_lo, s8, v13
	s_wait_alu 0xfffd
	v_add_co_ci_u32_e64 v8, null, s9, v14, vcc_lo
	s_branch .LBB90_13
.LBB90_11:                              ;   in Loop: Header=BB90_13 Depth=1
	global_load_b32 v13, v[7:8], off
	s_wait_loadcnt 0x0
	v_cvt_f32_i32_e32 v13, v13
	s_delay_alu instid0(VALU_DEP_1) | instskip(NEXT) | instid1(VALU_DEP_1)
	v_div_scale_f32 v15, null, v13, v13, 1.0
	v_rcp_f32_e32 v16, v15
	s_delay_alu instid0(TRANS32_DEP_1) | instskip(NEXT) | instid1(VALU_DEP_1)
	v_fma_f32 v17, -v15, v16, 1.0
	v_fmac_f32_e32 v16, v17, v16
	v_div_scale_f32 v17, vcc_lo, 1.0, v13, 1.0
	s_delay_alu instid0(VALU_DEP_1) | instskip(NEXT) | instid1(VALU_DEP_1)
	v_mul_f32_e32 v18, v17, v16
	v_fma_f32 v19, -v15, v18, v17
	s_delay_alu instid0(VALU_DEP_1) | instskip(NEXT) | instid1(VALU_DEP_1)
	v_fmac_f32_e32 v18, v19, v16
	v_fma_f32 v15, -v15, v18, v17
	s_wait_alu 0xfffd
	s_delay_alu instid0(VALU_DEP_1) | instskip(NEXT) | instid1(VALU_DEP_1)
	v_div_fmas_f32 v15, v15, v16, v18
	v_div_fixup_f32 v13, v15, v13, 1.0
.LBB90_12:                              ;   in Loop: Header=BB90_13 Depth=1
	s_wait_loadcnt 0x0
	v_ashrrev_i32_e32 v16, 31, v14
	v_mul_lo_u32 v17, s13, v14
	v_mad_co_u64_u32 v[14:15], null, s12, v14, 0
	v_add_nc_u32_e32 v4, 1, v4
	s_delay_alu instid0(VALU_DEP_4) | instskip(SKIP_3) | instid1(VALU_DEP_3)
	v_mul_lo_u32 v16, s12, v16
	v_add_co_u32 v7, s0, v7, 4
	s_wait_alu 0xf1ff
	v_add_co_ci_u32_e64 v8, null, 0, v8, s0
	v_add3_u32 v15, v15, v16, v17
	s_delay_alu instid0(VALU_DEP_1) | instskip(NEXT) | instid1(VALU_DEP_1)
	v_lshlrev_b64_e32 v[14:15], 1, v[14:15]
	v_add_co_u32 v14, vcc_lo, v11, v14
	s_wait_alu 0xfffd
	s_delay_alu instid0(VALU_DEP_2)
	v_add_co_ci_u32_e64 v15, null, v12, v15, vcc_lo
	v_add_co_u32 v5, vcc_lo, v5, 4
	s_wait_alu 0xfffd
	v_add_co_ci_u32_e64 v6, null, 0, v6, vcc_lo
	global_load_u16 v14, v[14:15], off
	v_cmp_ge_i32_e32 vcc_lo, v4, v9
	s_or_b32 s3, vcc_lo, s3
	s_wait_loadcnt 0x0
	v_fma_mix_f32 v10, v13, v14, v10 op_sel_hi:[0,1,0]
	s_wait_alu 0xfffe
	s_and_not1_b32 exec_lo, exec_lo, s3
	s_cbranch_execz .LBB90_15
.LBB90_13:                              ; =>This Inner Loop Header: Depth=1
	global_load_b32 v14, v[5:6], off
	s_wait_alu 0xfffe
	s_and_not1_b32 vcc_lo, exec_lo, s2
	s_wait_alu 0xfffe
	s_cbranch_vccz .LBB90_11
; %bb.14:                               ;   in Loop: Header=BB90_13 Depth=1
	v_mov_b32_e32 v13, 1.0
	s_branch .LBB90_12
.LBB90_15:
	s_or_b32 exec_lo, exec_lo, s3
.LBB90_16:
	s_wait_alu 0xfffe
	s_or_b32 exec_lo, exec_lo, s1
	v_mul_lo_u32 v4, v1, s12
	v_mul_lo_u32 v5, v0, s13
	v_mad_co_u64_u32 v[0:1], null, v0, s12, 0
	v_lshlrev_b64_e32 v[2:3], 2, v[2:3]
	s_delay_alu instid0(VALU_DEP_2) | instskip(NEXT) | instid1(VALU_DEP_1)
	v_add3_u32 v1, v1, v5, v4
	v_lshlrev_b64_e32 v[0:1], 2, v[0:1]
	s_delay_alu instid0(VALU_DEP_1) | instskip(SKIP_1) | instid1(VALU_DEP_2)
	v_add_co_u32 v0, vcc_lo, s18, v0
	s_wait_alu 0xfffd
	v_add_co_ci_u32_e64 v1, null, s19, v1, vcc_lo
	s_delay_alu instid0(VALU_DEP_2) | instskip(SKIP_1) | instid1(VALU_DEP_2)
	v_add_co_u32 v0, vcc_lo, v0, v2
	s_wait_alu 0xfffd
	v_add_co_ci_u32_e64 v1, null, v1, v3, vcc_lo
	global_store_b32 v[0:1], v10, off
.LBB90_17:
	s_endpgm
	.section	.rodata,"a",@progbits
	.p2align	6, 0x0
	.amdhsa_kernel _ZN2at6native12_GLOBAL__N_119compute_grad_weightIN3c104HalfEiEEvPKT0_PKT_S7_llS7_PKlPNS_14AccumulateTypeIS8_Lb1EE4typeEl
		.amdhsa_group_segment_fixed_size 0
		.amdhsa_private_segment_fixed_size 0
		.amdhsa_kernarg_size 328
		.amdhsa_user_sgpr_count 2
		.amdhsa_user_sgpr_dispatch_ptr 0
		.amdhsa_user_sgpr_queue_ptr 0
		.amdhsa_user_sgpr_kernarg_segment_ptr 1
		.amdhsa_user_sgpr_dispatch_id 0
		.amdhsa_user_sgpr_private_segment_size 0
		.amdhsa_wavefront_size32 1
		.amdhsa_uses_dynamic_stack 0
		.amdhsa_enable_private_segment 0
		.amdhsa_system_sgpr_workgroup_id_x 1
		.amdhsa_system_sgpr_workgroup_id_y 0
		.amdhsa_system_sgpr_workgroup_id_z 0
		.amdhsa_system_sgpr_workgroup_info 0
		.amdhsa_system_vgpr_workitem_id 0
		.amdhsa_next_free_vgpr 20
		.amdhsa_next_free_sgpr 36
		.amdhsa_reserve_vcc 1
		.amdhsa_float_round_mode_32 0
		.amdhsa_float_round_mode_16_64 0
		.amdhsa_float_denorm_mode_32 3
		.amdhsa_float_denorm_mode_16_64 3
		.amdhsa_fp16_overflow 0
		.amdhsa_workgroup_processor_mode 1
		.amdhsa_memory_ordered 1
		.amdhsa_forward_progress 1
		.amdhsa_inst_pref_size 14
		.amdhsa_round_robin_scheduling 0
		.amdhsa_exception_fp_ieee_invalid_op 0
		.amdhsa_exception_fp_denorm_src 0
		.amdhsa_exception_fp_ieee_div_zero 0
		.amdhsa_exception_fp_ieee_overflow 0
		.amdhsa_exception_fp_ieee_underflow 0
		.amdhsa_exception_fp_ieee_inexact 0
		.amdhsa_exception_int_div_zero 0
	.end_amdhsa_kernel
	.section	.text._ZN2at6native12_GLOBAL__N_119compute_grad_weightIN3c104HalfEiEEvPKT0_PKT_S7_llS7_PKlPNS_14AccumulateTypeIS8_Lb1EE4typeEl,"axG",@progbits,_ZN2at6native12_GLOBAL__N_119compute_grad_weightIN3c104HalfEiEEvPKT0_PKT_S7_llS7_PKlPNS_14AccumulateTypeIS8_Lb1EE4typeEl,comdat
.Lfunc_end90:
	.size	_ZN2at6native12_GLOBAL__N_119compute_grad_weightIN3c104HalfEiEEvPKT0_PKT_S7_llS7_PKlPNS_14AccumulateTypeIS8_Lb1EE4typeEl, .Lfunc_end90-_ZN2at6native12_GLOBAL__N_119compute_grad_weightIN3c104HalfEiEEvPKT0_PKT_S7_llS7_PKlPNS_14AccumulateTypeIS8_Lb1EE4typeEl
                                        ; -- End function
	.set _ZN2at6native12_GLOBAL__N_119compute_grad_weightIN3c104HalfEiEEvPKT0_PKT_S7_llS7_PKlPNS_14AccumulateTypeIS8_Lb1EE4typeEl.num_vgpr, 20
	.set _ZN2at6native12_GLOBAL__N_119compute_grad_weightIN3c104HalfEiEEvPKT0_PKT_S7_llS7_PKlPNS_14AccumulateTypeIS8_Lb1EE4typeEl.num_agpr, 0
	.set _ZN2at6native12_GLOBAL__N_119compute_grad_weightIN3c104HalfEiEEvPKT0_PKT_S7_llS7_PKlPNS_14AccumulateTypeIS8_Lb1EE4typeEl.numbered_sgpr, 36
	.set _ZN2at6native12_GLOBAL__N_119compute_grad_weightIN3c104HalfEiEEvPKT0_PKT_S7_llS7_PKlPNS_14AccumulateTypeIS8_Lb1EE4typeEl.num_named_barrier, 0
	.set _ZN2at6native12_GLOBAL__N_119compute_grad_weightIN3c104HalfEiEEvPKT0_PKT_S7_llS7_PKlPNS_14AccumulateTypeIS8_Lb1EE4typeEl.private_seg_size, 0
	.set _ZN2at6native12_GLOBAL__N_119compute_grad_weightIN3c104HalfEiEEvPKT0_PKT_S7_llS7_PKlPNS_14AccumulateTypeIS8_Lb1EE4typeEl.uses_vcc, 1
	.set _ZN2at6native12_GLOBAL__N_119compute_grad_weightIN3c104HalfEiEEvPKT0_PKT_S7_llS7_PKlPNS_14AccumulateTypeIS8_Lb1EE4typeEl.uses_flat_scratch, 0
	.set _ZN2at6native12_GLOBAL__N_119compute_grad_weightIN3c104HalfEiEEvPKT0_PKT_S7_llS7_PKlPNS_14AccumulateTypeIS8_Lb1EE4typeEl.has_dyn_sized_stack, 0
	.set _ZN2at6native12_GLOBAL__N_119compute_grad_weightIN3c104HalfEiEEvPKT0_PKT_S7_llS7_PKlPNS_14AccumulateTypeIS8_Lb1EE4typeEl.has_recursion, 0
	.set _ZN2at6native12_GLOBAL__N_119compute_grad_weightIN3c104HalfEiEEvPKT0_PKT_S7_llS7_PKlPNS_14AccumulateTypeIS8_Lb1EE4typeEl.has_indirect_call, 0
	.section	.AMDGPU.csdata,"",@progbits
; Kernel info:
; codeLenInByte = 1756
; TotalNumSgprs: 38
; NumVgprs: 20
; ScratchSize: 0
; MemoryBound: 0
; FloatMode: 240
; IeeeMode: 1
; LDSByteSize: 0 bytes/workgroup (compile time only)
; SGPRBlocks: 0
; VGPRBlocks: 2
; NumSGPRsForWavesPerEU: 38
; NumVGPRsForWavesPerEU: 20
; Occupancy: 16
; WaveLimiterHint : 1
; COMPUTE_PGM_RSRC2:SCRATCH_EN: 0
; COMPUTE_PGM_RSRC2:USER_SGPR: 2
; COMPUTE_PGM_RSRC2:TRAP_HANDLER: 0
; COMPUTE_PGM_RSRC2:TGID_X_EN: 1
; COMPUTE_PGM_RSRC2:TGID_Y_EN: 0
; COMPUTE_PGM_RSRC2:TGID_Z_EN: 0
; COMPUTE_PGM_RSRC2:TIDIG_COMP_CNT: 0
	.section	.text._ZN2at6native12_GLOBAL__N_115sum_and_scatterIN3c104HalfEiEEvPKT0_PT_lS7_PKlPKNS_14AccumulateTypeIS8_Lb1EE4typeES7_SB_ll,"axG",@progbits,_ZN2at6native12_GLOBAL__N_115sum_and_scatterIN3c104HalfEiEEvPKT0_PT_lS7_PKlPKNS_14AccumulateTypeIS8_Lb1EE4typeES7_SB_ll,comdat
	.globl	_ZN2at6native12_GLOBAL__N_115sum_and_scatterIN3c104HalfEiEEvPKT0_PT_lS7_PKlPKNS_14AccumulateTypeIS8_Lb1EE4typeES7_SB_ll ; -- Begin function _ZN2at6native12_GLOBAL__N_115sum_and_scatterIN3c104HalfEiEEvPKT0_PT_lS7_PKlPKNS_14AccumulateTypeIS8_Lb1EE4typeES7_SB_ll
	.p2align	8
	.type	_ZN2at6native12_GLOBAL__N_115sum_and_scatterIN3c104HalfEiEEvPKT0_PT_lS7_PKlPKNS_14AccumulateTypeIS8_Lb1EE4typeES7_SB_ll,@function
_ZN2at6native12_GLOBAL__N_115sum_and_scatterIN3c104HalfEiEEvPKT0_PT_lS7_PKlPKNS_14AccumulateTypeIS8_Lb1EE4typeES7_SB_ll: ; @_ZN2at6native12_GLOBAL__N_115sum_and_scatterIN3c104HalfEiEEvPKT0_PT_lS7_PKlPKNS_14AccumulateTypeIS8_Lb1EE4typeES7_SB_ll
; %bb.0:
	s_clause 0x2
	s_load_b32 s2, s[0:1], 0x5c
	s_load_b128 s[20:23], s[0:1], 0x40
	s_load_b512 s[4:19], s[0:1], 0x0
	v_mov_b32_e32 v1, 0
                                        ; implicit-def: $vgpr8_vgpr9
	s_delay_alu instid0(VALU_DEP_1) | instskip(SKIP_2) | instid1(SALU_CYCLE_1)
	v_mov_b32_e32 v4, v1
	s_wait_kmcnt 0x0
	s_and_b32 s0, s2, 0xffff
	v_mad_co_u64_u32 v[2:3], null, s0, ttmp9, v[0:1]
	s_mov_b32 s0, exec_lo
	v_or_b32_e32 v5, s23, v3
	s_delay_alu instid0(VALU_DEP_1)
	v_cmpx_ne_u64_e32 0, v[4:5]
	s_wait_alu 0xfffe
	s_xor_b32 s1, exec_lo, s0
	s_cbranch_execz .LBB91_2
; %bb.1:
	s_ashr_i32 s2, s23, 31
	s_mov_b32 s35, 0
	s_mov_b32 s3, s2
	v_ashrrev_i32_e32 v8, 31, v3
	s_add_nc_u64 s[24:25], s[22:23], s[2:3]
	s_delay_alu instid0(SALU_CYCLE_1) | instskip(NEXT) | instid1(VALU_DEP_1)
	s_xor_b64 s[24:25], s[24:25], s[2:3]
	v_add_co_u32 v0, vcc_lo, v2, v8
	s_cvt_f32_u32 s0, s24
	s_cvt_f32_u32 s3, s25
	s_sub_nc_u64 s[28:29], 0, s[24:25]
	v_add_co_ci_u32_e64 v1, null, v3, v8, vcc_lo
	s_wait_alu 0xfffe
	s_fmamk_f32 s0, s3, 0x4f800000, s0
	v_xor_b32_e32 v9, v0, v8
	s_delay_alu instid0(VALU_DEP_2) | instskip(SKIP_2) | instid1(TRANS32_DEP_1)
	v_xor_b32_e32 v10, v1, v8
	s_wait_alu 0xfffe
	v_s_rcp_f32 s0, s0
	s_mul_f32 s0, s0, 0x5f7ffffc
	s_wait_alu 0xfffe
	s_delay_alu instid0(SALU_CYCLE_2) | instskip(NEXT) | instid1(SALU_CYCLE_3)
	s_mul_f32 s3, s0, 0x2f800000
	s_trunc_f32 s3, s3
	s_delay_alu instid0(SALU_CYCLE_3) | instskip(SKIP_2) | instid1(SALU_CYCLE_1)
	s_fmamk_f32 s0, s3, 0xcf800000, s0
	s_cvt_u32_f32 s27, s3
	s_wait_alu 0xfffe
	s_cvt_u32_f32 s26, s0
	s_delay_alu instid0(SALU_CYCLE_3) | instskip(NEXT) | instid1(SALU_CYCLE_1)
	s_mul_u64 s[30:31], s[28:29], s[26:27]
	s_mul_hi_u32 s37, s26, s31
	s_mul_i32 s36, s26, s31
	s_mul_hi_u32 s34, s26, s30
	s_mul_i32 s3, s27, s30
	s_add_nc_u64 s[36:37], s[34:35], s[36:37]
	s_mul_hi_u32 s0, s27, s30
	s_mul_hi_u32 s33, s27, s31
	s_add_co_u32 s3, s36, s3
	s_wait_alu 0xfffe
	s_add_co_ci_u32 s34, s37, s0
	s_mul_i32 s30, s27, s31
	s_add_co_ci_u32 s31, s33, 0
	s_delay_alu instid0(SALU_CYCLE_1) | instskip(NEXT) | instid1(SALU_CYCLE_1)
	s_add_nc_u64 s[30:31], s[34:35], s[30:31]
	s_add_co_u32 s26, s26, s30
	s_cselect_b32 s0, -1, 0
	s_wait_alu 0xfffe
	s_cmp_lg_u32 s0, 0
	s_add_co_ci_u32 s27, s27, s31
	s_delay_alu instid0(SALU_CYCLE_1) | instskip(NEXT) | instid1(SALU_CYCLE_1)
	s_mul_u64 s[28:29], s[28:29], s[26:27]
	s_mul_hi_u32 s31, s26, s29
	s_mul_i32 s30, s26, s29
	s_mul_hi_u32 s34, s26, s28
	s_mul_i32 s3, s27, s28
	s_add_nc_u64 s[30:31], s[34:35], s[30:31]
	s_mul_hi_u32 s0, s27, s28
	s_mul_hi_u32 s33, s27, s29
	s_add_co_u32 s3, s30, s3
	s_wait_alu 0xfffe
	s_add_co_ci_u32 s34, s31, s0
	s_mul_i32 s28, s27, s29
	s_add_co_ci_u32 s29, s33, 0
	s_delay_alu instid0(SALU_CYCLE_1) | instskip(NEXT) | instid1(SALU_CYCLE_1)
	s_add_nc_u64 s[28:29], s[34:35], s[28:29]
	s_add_co_u32 s0, s26, s28
	s_cselect_b32 s3, -1, 0
	s_wait_alu 0xfffe
	v_mul_hi_u32 v11, v9, s0
	s_cmp_lg_u32 s3, 0
	v_mad_co_u64_u32 v[4:5], null, v10, s0, 0
	s_add_co_ci_u32 s3, s27, s29
	s_delay_alu instid0(SALU_CYCLE_1) | instskip(SKIP_1) | instid1(VALU_DEP_2)
	v_mad_co_u64_u32 v[0:1], null, v9, s3, 0
	v_mad_co_u64_u32 v[6:7], null, v10, s3, 0
	v_add_co_u32 v0, vcc_lo, v11, v0
	s_wait_alu 0xfffd
	s_delay_alu instid0(VALU_DEP_3) | instskip(NEXT) | instid1(VALU_DEP_2)
	v_add_co_ci_u32_e64 v1, null, 0, v1, vcc_lo
	v_add_co_u32 v0, vcc_lo, v0, v4
	s_wait_alu 0xfffd
	s_delay_alu instid0(VALU_DEP_2) | instskip(SKIP_2) | instid1(VALU_DEP_2)
	v_add_co_ci_u32_e32 v0, vcc_lo, v1, v5, vcc_lo
	s_wait_alu 0xfffd
	v_add_co_ci_u32_e32 v1, vcc_lo, 0, v7, vcc_lo
	v_add_co_u32 v4, vcc_lo, v0, v6
	s_wait_alu 0xfffd
	s_delay_alu instid0(VALU_DEP_2) | instskip(NEXT) | instid1(VALU_DEP_2)
	v_add_co_ci_u32_e64 v5, null, 0, v1, vcc_lo
	v_mul_lo_u32 v6, s25, v4
	v_mad_co_u64_u32 v[0:1], null, s24, v4, 0
	s_delay_alu instid0(VALU_DEP_3) | instskip(NEXT) | instid1(VALU_DEP_2)
	v_mul_lo_u32 v7, s24, v5
	v_sub_co_u32 v0, vcc_lo, v9, v0
	s_delay_alu instid0(VALU_DEP_2) | instskip(SKIP_3) | instid1(VALU_DEP_3)
	v_add3_u32 v1, v1, v7, v6
	v_add_co_u32 v7, s0, v4, 2
	s_wait_alu 0xf1ff
	v_add_co_ci_u32_e64 v9, null, 0, v5, s0
	v_sub_nc_u32_e32 v6, v10, v1
	v_sub_co_u32 v11, s0, v0, s24
	s_wait_alu 0xfffd
	v_sub_co_ci_u32_e64 v1, null, v10, v1, vcc_lo
	s_delay_alu instid0(VALU_DEP_3) | instskip(NEXT) | instid1(VALU_DEP_3)
	v_subrev_co_ci_u32_e64 v6, null, s25, v6, vcc_lo
	v_cmp_le_u32_e32 vcc_lo, s24, v11
	s_wait_alu 0xf1ff
	s_delay_alu instid0(VALU_DEP_2) | instskip(SKIP_2) | instid1(VALU_DEP_2)
	v_subrev_co_ci_u32_e64 v6, null, 0, v6, s0
	s_wait_alu 0xfffd
	v_cndmask_b32_e64 v10, 0, -1, vcc_lo
	v_cmp_le_u32_e32 vcc_lo, s25, v6
	s_wait_alu 0xfffd
	v_cndmask_b32_e64 v11, 0, -1, vcc_lo
	v_cmp_le_u32_e32 vcc_lo, s24, v0
	;; [unrolled: 3-line block ×3, first 2 shown]
	s_wait_alu 0xfffd
	v_cndmask_b32_e64 v12, 0, -1, vcc_lo
	v_cmp_eq_u32_e32 vcc_lo, s25, v6
	s_wait_alu 0xfffd
	v_cndmask_b32_e32 v6, v11, v10, vcc_lo
	v_add_co_u32 v10, vcc_lo, v4, 1
	s_wait_alu 0xfffd
	v_add_co_ci_u32_e64 v11, null, 0, v5, vcc_lo
	v_cmp_eq_u32_e32 vcc_lo, s25, v1
	s_wait_alu 0xfffd
	v_cndmask_b32_e32 v0, v12, v0, vcc_lo
	v_cmp_ne_u32_e32 vcc_lo, 0, v6
	v_xor_b32_e32 v6, s2, v8
	s_wait_alu 0xfffd
	v_cndmask_b32_e32 v1, v11, v9, vcc_lo
	v_cmp_ne_u32_e64 s0, 0, v0
	v_cndmask_b32_e32 v0, v10, v7, vcc_lo
	s_wait_alu 0xf1ff
	s_delay_alu instid0(VALU_DEP_2) | instskip(NEXT) | instid1(VALU_DEP_2)
	v_cndmask_b32_e64 v1, v5, v1, s0
	v_cndmask_b32_e64 v0, v4, v0, s0
	s_delay_alu instid0(VALU_DEP_2) | instskip(NEXT) | instid1(VALU_DEP_2)
	v_xor_b32_e32 v1, v1, v6
	v_xor_b32_e32 v0, v0, v6
	s_delay_alu instid0(VALU_DEP_1) | instskip(SKIP_1) | instid1(VALU_DEP_3)
	v_sub_co_u32 v8, vcc_lo, v0, v6
	s_wait_alu 0xfffd
	v_sub_co_ci_u32_e64 v9, null, v1, v6, vcc_lo
.LBB91_2:
	s_wait_alu 0xfffe
	s_or_saveexec_b32 s0, s1
	s_load_b64 s[2:3], s[12:13], 0x0
	s_xor_b32 exec_lo, exec_lo, s0
	s_cbranch_execz .LBB91_4
; %bb.3:
	v_cvt_f32_u32_e32 v0, s22
	s_sub_co_i32 s1, 0, s22
	v_mov_b32_e32 v9, 0
	s_delay_alu instid0(VALU_DEP_2) | instskip(NEXT) | instid1(TRANS32_DEP_1)
	v_rcp_iflag_f32_e32 v0, v0
	v_mul_f32_e32 v0, 0x4f7ffffe, v0
	s_delay_alu instid0(VALU_DEP_1) | instskip(SKIP_1) | instid1(VALU_DEP_1)
	v_cvt_u32_f32_e32 v0, v0
	s_wait_alu 0xfffe
	v_mul_lo_u32 v1, s1, v0
	s_delay_alu instid0(VALU_DEP_1) | instskip(NEXT) | instid1(VALU_DEP_1)
	v_mul_hi_u32 v1, v0, v1
	v_add_nc_u32_e32 v0, v0, v1
	s_delay_alu instid0(VALU_DEP_1) | instskip(NEXT) | instid1(VALU_DEP_1)
	v_mul_hi_u32 v0, v2, v0
	v_mul_lo_u32 v1, v0, s22
	v_add_nc_u32_e32 v4, 1, v0
	s_delay_alu instid0(VALU_DEP_2) | instskip(NEXT) | instid1(VALU_DEP_1)
	v_sub_nc_u32_e32 v1, v2, v1
	v_subrev_nc_u32_e32 v5, s22, v1
	v_cmp_le_u32_e32 vcc_lo, s22, v1
	s_wait_alu 0xfffd
	s_delay_alu instid0(VALU_DEP_2) | instskip(NEXT) | instid1(VALU_DEP_1)
	v_dual_cndmask_b32 v1, v1, v5 :: v_dual_cndmask_b32 v0, v0, v4
	v_cmp_le_u32_e32 vcc_lo, s22, v1
	s_delay_alu instid0(VALU_DEP_2) | instskip(SKIP_1) | instid1(VALU_DEP_1)
	v_add_nc_u32_e32 v4, 1, v0
	s_wait_alu 0xfffd
	v_cndmask_b32_e32 v8, v0, v4, vcc_lo
.LBB91_4:
	s_or_b32 exec_lo, exec_lo, s0
	v_mul_lo_u32 v0, v9, s22
	s_delay_alu instid0(VALU_DEP_2) | instskip(SKIP_3) | instid1(VALU_DEP_2)
	v_mul_lo_u32 v1, v8, s23
	v_mad_co_u64_u32 v[6:7], null, v8, s22, 0
	s_wait_kmcnt 0x0
	v_cmp_gt_i64_e64 s0, s[2:3], v[8:9]
	v_add3_u32 v7, v7, v1, v0
	s_delay_alu instid0(VALU_DEP_3) | instskip(SKIP_1) | instid1(VALU_DEP_2)
	v_sub_co_u32 v0, vcc_lo, v2, v6
	s_wait_alu 0xfffd
	v_sub_co_ci_u32_e64 v1, null, v3, v7, vcc_lo
	s_delay_alu instid0(VALU_DEP_1)
	v_cmp_gt_i64_e32 vcc_lo, s[8:9], v[0:1]
	s_and_b32 s0, vcc_lo, s0
	s_wait_alu 0xfffe
	s_and_saveexec_b32 s1, s0
	s_cbranch_execz .LBB91_13
; %bb.5:
	v_lshlrev_b64_e32 v[4:5], 2, v[8:9]
	s_load_b64 s[0:1], s[18:19], 0x0
	s_add_nc_u64 s[2:3], s[2:3], -1
	s_delay_alu instid0(VALU_DEP_1) | instskip(SKIP_1) | instid1(VALU_DEP_2)
	v_add_co_u32 v10, vcc_lo, s16, v4
	s_wait_alu 0xfffd
	v_add_co_ci_u32_e64 v11, null, s17, v5, vcc_lo
	s_wait_alu 0xfffe
	v_cmp_ne_u64_e32 vcc_lo, s[2:3], v[8:9]
	global_load_b32 v12, v[10:11], off
	s_wait_kmcnt 0x0
	v_mov_b32_e32 v8, s0
	s_and_saveexec_b32 s0, vcc_lo
	s_wait_alu 0xfffe
	s_xor_b32 s0, exec_lo, s0
	s_cbranch_execz .LBB91_7
; %bb.6:
	global_load_b32 v8, v[10:11], off offset:4
.LBB91_7:
	s_wait_alu 0xfffe
	s_and_not1_saveexec_b32 s0, s0
	s_wait_alu 0xfffe
	s_or_b32 exec_lo, exec_lo, s0
	v_mov_b32_e32 v9, 0
	s_mov_b32 s1, exec_lo
	s_wait_loadcnt 0x0
	v_cmpx_lt_i32_e64 v12, v8
	s_cbranch_execz .LBB91_11
; %bb.8:
	v_ashrrev_i32_e32 v11, 31, v12
	v_mul_lo_u32 v13, s9, v12
	v_mad_co_u64_u32 v[9:10], null, s8, v12, 0
	v_lshlrev_b64_e32 v[2:3], 2, v[2:3]
	s_delay_alu instid0(VALU_DEP_4) | instskip(SKIP_3) | instid1(VALU_DEP_2)
	v_mul_lo_u32 v11, s8, v11
	v_lshlrev_b64_e32 v[6:7], 2, v[6:7]
	s_lshl_b64 s[2:3], s[8:9], 2
	s_mov_b32 s12, 0
	v_add3_u32 v10, v10, v11, v13
	s_delay_alu instid0(VALU_DEP_1) | instskip(NEXT) | instid1(VALU_DEP_1)
	v_lshlrev_b64_e32 v[9:10], 2, v[9:10]
	v_add_co_u32 v2, vcc_lo, v9, v2
	s_wait_alu 0xfffd
	s_delay_alu instid0(VALU_DEP_2) | instskip(NEXT) | instid1(VALU_DEP_2)
	v_add_co_ci_u32_e64 v3, null, v10, v3, vcc_lo
	v_sub_co_u32 v2, vcc_lo, v2, v6
	s_wait_alu 0xfffd
	s_delay_alu instid0(VALU_DEP_2) | instskip(SKIP_1) | instid1(VALU_DEP_3)
	v_sub_co_ci_u32_e64 v3, null, v3, v7, vcc_lo
	v_mov_b32_e32 v6, 0
	v_add_co_u32 v2, vcc_lo, s14, v2
	s_wait_alu 0xfffd
	s_delay_alu instid0(VALU_DEP_3)
	v_add_co_ci_u32_e64 v3, null, s15, v3, vcc_lo
.LBB91_9:                               ; =>This Inner Loop Header: Depth=1
	global_load_b32 v7, v[2:3], off
	v_add_nc_u32_e32 v12, 1, v12
	s_wait_alu 0xfffe
	v_add_co_u32 v2, vcc_lo, v2, s2
	s_wait_alu 0xfffd
	v_add_co_ci_u32_e64 v3, null, s3, v3, vcc_lo
	v_cmp_ge_i32_e64 s0, v12, v8
	s_or_b32 s12, s0, s12
	s_wait_loadcnt 0x0
	v_add_f32_e32 v6, v6, v7
	s_and_not1_b32 exec_lo, exec_lo, s12
	s_cbranch_execnz .LBB91_9
; %bb.10:
	s_or_b32 exec_lo, exec_lo, s12
	s_delay_alu instid0(VALU_DEP_1)
	v_cvt_f16_f32_e32 v9, v6
.LBB91_11:
	s_wait_alu 0xfffe
	s_or_b32 exec_lo, exec_lo, s1
	v_add_co_u32 v2, vcc_lo, s10, v4
	s_wait_alu 0xfffd
	v_add_co_ci_u32_e64 v3, null, s11, v5, vcc_lo
	global_load_b32 v2, v[2:3], off
	s_wait_loadcnt 0x0
	v_ashrrev_i32_e32 v3, 31, v2
	s_delay_alu instid0(VALU_DEP_1) | instskip(NEXT) | instid1(VALU_DEP_1)
	v_lshlrev_b64_e32 v[2:3], 2, v[2:3]
	v_add_co_u32 v2, vcc_lo, s4, v2
	s_wait_alu 0xfffd
	s_delay_alu instid0(VALU_DEP_2) | instskip(SKIP_3) | instid1(VALU_DEP_1)
	v_add_co_ci_u32_e64 v3, null, s5, v3, vcc_lo
	global_load_b32 v2, v[2:3], off
	s_wait_loadcnt 0x0
	v_ashrrev_i32_e32 v3, 31, v2
	v_cmp_ne_u64_e32 vcc_lo, s[20:21], v[2:3]
	s_and_b32 exec_lo, exec_lo, vcc_lo
	s_cbranch_execz .LBB91_13
; %bb.12:
	v_mul_lo_u32 v4, s9, v2
	v_mul_lo_u32 v5, s8, v3
	v_mad_co_u64_u32 v[2:3], null, s8, v2, 0
	v_lshlrev_b64_e32 v[0:1], 1, v[0:1]
	s_delay_alu instid0(VALU_DEP_2) | instskip(NEXT) | instid1(VALU_DEP_1)
	v_add3_u32 v3, v3, v5, v4
	v_lshlrev_b64_e32 v[2:3], 1, v[2:3]
	s_delay_alu instid0(VALU_DEP_1) | instskip(SKIP_1) | instid1(VALU_DEP_2)
	v_add_co_u32 v2, vcc_lo, s6, v2
	s_wait_alu 0xfffd
	v_add_co_ci_u32_e64 v3, null, s7, v3, vcc_lo
	s_delay_alu instid0(VALU_DEP_2) | instskip(SKIP_1) | instid1(VALU_DEP_2)
	v_add_co_u32 v0, vcc_lo, v2, v0
	s_wait_alu 0xfffd
	v_add_co_ci_u32_e64 v1, null, v3, v1, vcc_lo
	global_store_b16 v[0:1], v9, off
.LBB91_13:
	s_endpgm
	.section	.rodata,"a",@progbits
	.p2align	6, 0x0
	.amdhsa_kernel _ZN2at6native12_GLOBAL__N_115sum_and_scatterIN3c104HalfEiEEvPKT0_PT_lS7_PKlPKNS_14AccumulateTypeIS8_Lb1EE4typeES7_SB_ll
		.amdhsa_group_segment_fixed_size 0
		.amdhsa_private_segment_fixed_size 0
		.amdhsa_kernarg_size 336
		.amdhsa_user_sgpr_count 2
		.amdhsa_user_sgpr_dispatch_ptr 0
		.amdhsa_user_sgpr_queue_ptr 0
		.amdhsa_user_sgpr_kernarg_segment_ptr 1
		.amdhsa_user_sgpr_dispatch_id 0
		.amdhsa_user_sgpr_private_segment_size 0
		.amdhsa_wavefront_size32 1
		.amdhsa_uses_dynamic_stack 0
		.amdhsa_enable_private_segment 0
		.amdhsa_system_sgpr_workgroup_id_x 1
		.amdhsa_system_sgpr_workgroup_id_y 0
		.amdhsa_system_sgpr_workgroup_id_z 0
		.amdhsa_system_sgpr_workgroup_info 0
		.amdhsa_system_vgpr_workitem_id 0
		.amdhsa_next_free_vgpr 14
		.amdhsa_next_free_sgpr 38
		.amdhsa_reserve_vcc 1
		.amdhsa_float_round_mode_32 0
		.amdhsa_float_round_mode_16_64 0
		.amdhsa_float_denorm_mode_32 3
		.amdhsa_float_denorm_mode_16_64 3
		.amdhsa_fp16_overflow 0
		.amdhsa_workgroup_processor_mode 1
		.amdhsa_memory_ordered 1
		.amdhsa_forward_progress 1
		.amdhsa_inst_pref_size 14
		.amdhsa_round_robin_scheduling 0
		.amdhsa_exception_fp_ieee_invalid_op 0
		.amdhsa_exception_fp_denorm_src 0
		.amdhsa_exception_fp_ieee_div_zero 0
		.amdhsa_exception_fp_ieee_overflow 0
		.amdhsa_exception_fp_ieee_underflow 0
		.amdhsa_exception_fp_ieee_inexact 0
		.amdhsa_exception_int_div_zero 0
	.end_amdhsa_kernel
	.section	.text._ZN2at6native12_GLOBAL__N_115sum_and_scatterIN3c104HalfEiEEvPKT0_PT_lS7_PKlPKNS_14AccumulateTypeIS8_Lb1EE4typeES7_SB_ll,"axG",@progbits,_ZN2at6native12_GLOBAL__N_115sum_and_scatterIN3c104HalfEiEEvPKT0_PT_lS7_PKlPKNS_14AccumulateTypeIS8_Lb1EE4typeES7_SB_ll,comdat
.Lfunc_end91:
	.size	_ZN2at6native12_GLOBAL__N_115sum_and_scatterIN3c104HalfEiEEvPKT0_PT_lS7_PKlPKNS_14AccumulateTypeIS8_Lb1EE4typeES7_SB_ll, .Lfunc_end91-_ZN2at6native12_GLOBAL__N_115sum_and_scatterIN3c104HalfEiEEvPKT0_PT_lS7_PKlPKNS_14AccumulateTypeIS8_Lb1EE4typeES7_SB_ll
                                        ; -- End function
	.set _ZN2at6native12_GLOBAL__N_115sum_and_scatterIN3c104HalfEiEEvPKT0_PT_lS7_PKlPKNS_14AccumulateTypeIS8_Lb1EE4typeES7_SB_ll.num_vgpr, 14
	.set _ZN2at6native12_GLOBAL__N_115sum_and_scatterIN3c104HalfEiEEvPKT0_PT_lS7_PKlPKNS_14AccumulateTypeIS8_Lb1EE4typeES7_SB_ll.num_agpr, 0
	.set _ZN2at6native12_GLOBAL__N_115sum_and_scatterIN3c104HalfEiEEvPKT0_PT_lS7_PKlPKNS_14AccumulateTypeIS8_Lb1EE4typeES7_SB_ll.numbered_sgpr, 38
	.set _ZN2at6native12_GLOBAL__N_115sum_and_scatterIN3c104HalfEiEEvPKT0_PT_lS7_PKlPKNS_14AccumulateTypeIS8_Lb1EE4typeES7_SB_ll.num_named_barrier, 0
	.set _ZN2at6native12_GLOBAL__N_115sum_and_scatterIN3c104HalfEiEEvPKT0_PT_lS7_PKlPKNS_14AccumulateTypeIS8_Lb1EE4typeES7_SB_ll.private_seg_size, 0
	.set _ZN2at6native12_GLOBAL__N_115sum_and_scatterIN3c104HalfEiEEvPKT0_PT_lS7_PKlPKNS_14AccumulateTypeIS8_Lb1EE4typeES7_SB_ll.uses_vcc, 1
	.set _ZN2at6native12_GLOBAL__N_115sum_and_scatterIN3c104HalfEiEEvPKT0_PT_lS7_PKlPKNS_14AccumulateTypeIS8_Lb1EE4typeES7_SB_ll.uses_flat_scratch, 0
	.set _ZN2at6native12_GLOBAL__N_115sum_and_scatterIN3c104HalfEiEEvPKT0_PT_lS7_PKlPKNS_14AccumulateTypeIS8_Lb1EE4typeES7_SB_ll.has_dyn_sized_stack, 0
	.set _ZN2at6native12_GLOBAL__N_115sum_and_scatterIN3c104HalfEiEEvPKT0_PT_lS7_PKlPKNS_14AccumulateTypeIS8_Lb1EE4typeES7_SB_ll.has_recursion, 0
	.set _ZN2at6native12_GLOBAL__N_115sum_and_scatterIN3c104HalfEiEEvPKT0_PT_lS7_PKlPKNS_14AccumulateTypeIS8_Lb1EE4typeES7_SB_ll.has_indirect_call, 0
	.section	.AMDGPU.csdata,"",@progbits
; Kernel info:
; codeLenInByte = 1668
; TotalNumSgprs: 40
; NumVgprs: 14
; ScratchSize: 0
; MemoryBound: 0
; FloatMode: 240
; IeeeMode: 1
; LDSByteSize: 0 bytes/workgroup (compile time only)
; SGPRBlocks: 0
; VGPRBlocks: 1
; NumSGPRsForWavesPerEU: 40
; NumVGPRsForWavesPerEU: 14
; Occupancy: 16
; WaveLimiterHint : 1
; COMPUTE_PGM_RSRC2:SCRATCH_EN: 0
; COMPUTE_PGM_RSRC2:USER_SGPR: 2
; COMPUTE_PGM_RSRC2:TRAP_HANDLER: 0
; COMPUTE_PGM_RSRC2:TGID_X_EN: 1
; COMPUTE_PGM_RSRC2:TGID_Y_EN: 0
; COMPUTE_PGM_RSRC2:TGID_Z_EN: 0
; COMPUTE_PGM_RSRC2:TIDIG_COMP_CNT: 0
	.section	.text._ZN2at6native12_GLOBAL__N_137compute_grad_weight_atomic_accumulateIN3c108BFloat16EfiEEvPKT1_PKT_S7_llS7_PKlS7_S7_S7_PT0_ll,"axG",@progbits,_ZN2at6native12_GLOBAL__N_137compute_grad_weight_atomic_accumulateIN3c108BFloat16EfiEEvPKT1_PKT_S7_llS7_PKlS7_S7_S7_PT0_ll,comdat
	.globl	_ZN2at6native12_GLOBAL__N_137compute_grad_weight_atomic_accumulateIN3c108BFloat16EfiEEvPKT1_PKT_S7_llS7_PKlS7_S7_S7_PT0_ll ; -- Begin function _ZN2at6native12_GLOBAL__N_137compute_grad_weight_atomic_accumulateIN3c108BFloat16EfiEEvPKT1_PKT_S7_llS7_PKlS7_S7_S7_PT0_ll
	.p2align	8
	.type	_ZN2at6native12_GLOBAL__N_137compute_grad_weight_atomic_accumulateIN3c108BFloat16EfiEEvPKT1_PKT_S7_llS7_PKlS7_S7_S7_PT0_ll,@function
_ZN2at6native12_GLOBAL__N_137compute_grad_weight_atomic_accumulateIN3c108BFloat16EfiEEvPKT1_PKT_S7_llS7_PKlS7_S7_S7_PT0_ll: ; @_ZN2at6native12_GLOBAL__N_137compute_grad_weight_atomic_accumulateIN3c108BFloat16EfiEEvPKT1_PKT_S7_llS7_PKlS7_S7_S7_PT0_ll
; %bb.0:
	s_clause 0x1
	s_load_b32 s2, s[0:1], 0x74
	s_load_b64 s[20:21], s[0:1], 0x60
	v_mov_b32_e32 v2, 0
                                        ; implicit-def: $vgpr5_vgpr6
	s_wait_kmcnt 0x0
	s_and_b32 s2, s2, 0xffff
	s_delay_alu instid0(SALU_CYCLE_1) | instskip(SKIP_2) | instid1(VALU_DEP_1)
	v_mad_co_u64_u32 v[0:1], null, ttmp9, s2, v[0:1]
	s_mov_b32 s2, exec_lo
	v_ashrrev_i32_e32 v1, 31, v0
	v_or_b32_e32 v3, s21, v1
	s_delay_alu instid0(VALU_DEP_1)
	v_cmpx_ne_u64_e32 0, v[2:3]
	s_wait_alu 0xfffe
	s_xor_b32 s3, exec_lo, s2
	s_cbranch_execz .LBB92_2
; %bb.1:
	s_ashr_i32 s4, s21, 31
	s_mov_b32 s15, 0
	s_mov_b32 s5, s4
	v_ashrrev_i32_e32 v8, 31, v1
	s_add_nc_u64 s[6:7], s[20:21], s[4:5]
	s_delay_alu instid0(SALU_CYCLE_1) | instskip(NEXT) | instid1(VALU_DEP_1)
	s_xor_b64 s[6:7], s[6:7], s[4:5]
	v_add_co_u32 v2, vcc_lo, v0, v8
	s_cvt_f32_u32 s2, s6
	s_cvt_f32_u32 s5, s7
	s_sub_nc_u64 s[10:11], 0, s[6:7]
	v_add_co_ci_u32_e64 v3, null, v1, v8, vcc_lo
	s_wait_alu 0xfffe
	s_fmamk_f32 s2, s5, 0x4f800000, s2
	v_xor_b32_e32 v9, v2, v8
	s_delay_alu instid0(VALU_DEP_2) | instskip(SKIP_2) | instid1(TRANS32_DEP_1)
	v_xor_b32_e32 v10, v3, v8
	s_wait_alu 0xfffe
	v_s_rcp_f32 s2, s2
	s_mul_f32 s2, s2, 0x5f7ffffc
	s_wait_alu 0xfffe
	s_delay_alu instid0(SALU_CYCLE_2) | instskip(NEXT) | instid1(SALU_CYCLE_3)
	s_mul_f32 s5, s2, 0x2f800000
	s_trunc_f32 s5, s5
	s_delay_alu instid0(SALU_CYCLE_3) | instskip(SKIP_2) | instid1(SALU_CYCLE_1)
	s_fmamk_f32 s2, s5, 0xcf800000, s2
	s_cvt_u32_f32 s9, s5
	s_wait_alu 0xfffe
	s_cvt_u32_f32 s8, s2
	s_delay_alu instid0(SALU_CYCLE_3) | instskip(NEXT) | instid1(SALU_CYCLE_1)
	s_mul_u64 s[12:13], s[10:11], s[8:9]
	s_mul_hi_u32 s17, s8, s13
	s_mul_i32 s16, s8, s13
	s_mul_hi_u32 s14, s8, s12
	s_mul_i32 s5, s9, s12
	s_add_nc_u64 s[16:17], s[14:15], s[16:17]
	s_mul_hi_u32 s2, s9, s12
	s_mul_hi_u32 s18, s9, s13
	s_add_co_u32 s5, s16, s5
	s_wait_alu 0xfffe
	s_add_co_ci_u32 s14, s17, s2
	s_mul_i32 s12, s9, s13
	s_add_co_ci_u32 s13, s18, 0
	s_delay_alu instid0(SALU_CYCLE_1) | instskip(NEXT) | instid1(SALU_CYCLE_1)
	s_add_nc_u64 s[12:13], s[14:15], s[12:13]
	s_add_co_u32 s8, s8, s12
	s_cselect_b32 s2, -1, 0
	s_wait_alu 0xfffe
	s_cmp_lg_u32 s2, 0
	s_add_co_ci_u32 s9, s9, s13
	s_delay_alu instid0(SALU_CYCLE_1) | instskip(NEXT) | instid1(SALU_CYCLE_1)
	s_mul_u64 s[10:11], s[10:11], s[8:9]
	s_mul_hi_u32 s13, s8, s11
	s_mul_i32 s12, s8, s11
	s_mul_hi_u32 s14, s8, s10
	s_mul_i32 s5, s9, s10
	s_add_nc_u64 s[12:13], s[14:15], s[12:13]
	s_mul_hi_u32 s2, s9, s10
	s_mul_hi_u32 s16, s9, s11
	s_add_co_u32 s5, s12, s5
	s_wait_alu 0xfffe
	s_add_co_ci_u32 s14, s13, s2
	s_mul_i32 s10, s9, s11
	s_add_co_ci_u32 s11, s16, 0
	s_delay_alu instid0(SALU_CYCLE_1) | instskip(NEXT) | instid1(SALU_CYCLE_1)
	s_add_nc_u64 s[10:11], s[14:15], s[10:11]
	s_add_co_u32 s2, s8, s10
	s_cselect_b32 s5, -1, 0
	s_wait_alu 0xfffe
	v_mul_hi_u32 v11, v9, s2
	s_cmp_lg_u32 s5, 0
	v_mad_co_u64_u32 v[4:5], null, v10, s2, 0
	s_add_co_ci_u32 s5, s9, s11
	s_delay_alu instid0(SALU_CYCLE_1) | instskip(SKIP_1) | instid1(VALU_DEP_2)
	v_mad_co_u64_u32 v[2:3], null, v9, s5, 0
	v_mad_co_u64_u32 v[6:7], null, v10, s5, 0
	v_add_co_u32 v2, vcc_lo, v11, v2
	s_wait_alu 0xfffd
	s_delay_alu instid0(VALU_DEP_3) | instskip(NEXT) | instid1(VALU_DEP_2)
	v_add_co_ci_u32_e64 v3, null, 0, v3, vcc_lo
	v_add_co_u32 v2, vcc_lo, v2, v4
	s_wait_alu 0xfffd
	s_delay_alu instid0(VALU_DEP_2) | instskip(SKIP_2) | instid1(VALU_DEP_2)
	v_add_co_ci_u32_e32 v2, vcc_lo, v3, v5, vcc_lo
	s_wait_alu 0xfffd
	v_add_co_ci_u32_e32 v3, vcc_lo, 0, v7, vcc_lo
	v_add_co_u32 v4, vcc_lo, v2, v6
	s_wait_alu 0xfffd
	s_delay_alu instid0(VALU_DEP_2) | instskip(NEXT) | instid1(VALU_DEP_2)
	v_add_co_ci_u32_e64 v5, null, 0, v3, vcc_lo
	v_mul_lo_u32 v6, s7, v4
	v_mad_co_u64_u32 v[2:3], null, s6, v4, 0
	s_delay_alu instid0(VALU_DEP_3) | instskip(NEXT) | instid1(VALU_DEP_2)
	v_mul_lo_u32 v7, s6, v5
	v_sub_co_u32 v2, vcc_lo, v9, v2
	s_delay_alu instid0(VALU_DEP_2) | instskip(SKIP_3) | instid1(VALU_DEP_3)
	v_add3_u32 v3, v3, v7, v6
	v_add_co_u32 v7, s2, v4, 2
	s_wait_alu 0xf1ff
	v_add_co_ci_u32_e64 v9, null, 0, v5, s2
	v_sub_nc_u32_e32 v6, v10, v3
	v_sub_co_u32 v11, s2, v2, s6
	s_wait_alu 0xfffd
	v_sub_co_ci_u32_e64 v3, null, v10, v3, vcc_lo
	s_delay_alu instid0(VALU_DEP_3) | instskip(NEXT) | instid1(VALU_DEP_3)
	v_subrev_co_ci_u32_e64 v6, null, s7, v6, vcc_lo
	v_cmp_le_u32_e32 vcc_lo, s6, v11
	s_wait_alu 0xf1ff
	s_delay_alu instid0(VALU_DEP_2) | instskip(SKIP_2) | instid1(VALU_DEP_2)
	v_subrev_co_ci_u32_e64 v6, null, 0, v6, s2
	s_wait_alu 0xfffd
	v_cndmask_b32_e64 v10, 0, -1, vcc_lo
	v_cmp_le_u32_e32 vcc_lo, s7, v6
	s_wait_alu 0xfffd
	v_cndmask_b32_e64 v11, 0, -1, vcc_lo
	v_cmp_le_u32_e32 vcc_lo, s6, v2
	;; [unrolled: 3-line block ×3, first 2 shown]
	s_wait_alu 0xfffd
	v_cndmask_b32_e64 v12, 0, -1, vcc_lo
	v_cmp_eq_u32_e32 vcc_lo, s7, v6
	s_wait_alu 0xfffd
	v_cndmask_b32_e32 v6, v11, v10, vcc_lo
	v_add_co_u32 v10, vcc_lo, v4, 1
	s_wait_alu 0xfffd
	v_add_co_ci_u32_e64 v11, null, 0, v5, vcc_lo
	v_cmp_eq_u32_e32 vcc_lo, s7, v3
	s_wait_alu 0xfffd
	v_cndmask_b32_e32 v2, v12, v2, vcc_lo
	v_cmp_ne_u32_e32 vcc_lo, 0, v6
	v_xor_b32_e32 v6, s4, v8
	s_wait_alu 0xfffd
	v_cndmask_b32_e32 v3, v11, v9, vcc_lo
	v_cmp_ne_u32_e64 s2, 0, v2
	v_cndmask_b32_e32 v2, v10, v7, vcc_lo
	s_wait_alu 0xf1ff
	s_delay_alu instid0(VALU_DEP_2) | instskip(NEXT) | instid1(VALU_DEP_2)
	v_cndmask_b32_e64 v3, v5, v3, s2
	v_cndmask_b32_e64 v2, v4, v2, s2
	s_delay_alu instid0(VALU_DEP_2) | instskip(NEXT) | instid1(VALU_DEP_2)
	v_xor_b32_e32 v3, v3, v6
	v_xor_b32_e32 v2, v2, v6
	s_delay_alu instid0(VALU_DEP_1) | instskip(SKIP_1) | instid1(VALU_DEP_3)
	v_sub_co_u32 v5, vcc_lo, v2, v6
	s_wait_alu 0xfffd
	v_sub_co_ci_u32_e64 v6, null, v3, v6, vcc_lo
.LBB92_2:
	s_wait_alu 0xfffe
	s_or_saveexec_b32 s2, s3
	s_load_b512 s[4:19], s[0:1], 0x0
	s_xor_b32 exec_lo, exec_lo, s2
	s_cbranch_execz .LBB92_4
; %bb.3:
	v_cvt_f32_u32_e32 v2, s20
	s_sub_co_i32 s3, 0, s20
	v_mov_b32_e32 v6, 0
	s_delay_alu instid0(VALU_DEP_2) | instskip(NEXT) | instid1(TRANS32_DEP_1)
	v_rcp_iflag_f32_e32 v2, v2
	v_mul_f32_e32 v2, 0x4f7ffffe, v2
	s_delay_alu instid0(VALU_DEP_1) | instskip(SKIP_1) | instid1(VALU_DEP_1)
	v_cvt_u32_f32_e32 v2, v2
	s_wait_alu 0xfffe
	v_mul_lo_u32 v3, s3, v2
	s_delay_alu instid0(VALU_DEP_1) | instskip(NEXT) | instid1(VALU_DEP_1)
	v_mul_hi_u32 v3, v2, v3
	v_add_nc_u32_e32 v2, v2, v3
	s_delay_alu instid0(VALU_DEP_1) | instskip(NEXT) | instid1(VALU_DEP_1)
	v_mul_hi_u32 v2, v0, v2
	v_mul_lo_u32 v3, v2, s20
	v_add_nc_u32_e32 v4, 1, v2
	s_delay_alu instid0(VALU_DEP_2) | instskip(NEXT) | instid1(VALU_DEP_1)
	v_sub_nc_u32_e32 v3, v0, v3
	v_subrev_nc_u32_e32 v5, s20, v3
	v_cmp_le_u32_e32 vcc_lo, s20, v3
	s_wait_alu 0xfffd
	s_delay_alu instid0(VALU_DEP_2) | instskip(NEXT) | instid1(VALU_DEP_1)
	v_dual_cndmask_b32 v3, v3, v5 :: v_dual_cndmask_b32 v2, v2, v4
	v_cmp_le_u32_e32 vcc_lo, s20, v3
	s_delay_alu instid0(VALU_DEP_2) | instskip(SKIP_1) | instid1(VALU_DEP_1)
	v_add_nc_u32_e32 v4, 1, v2
	s_wait_alu 0xfffd
	v_cndmask_b32_e32 v5, v2, v4, vcc_lo
.LBB92_4:
	s_or_b32 exec_lo, exec_lo, s2
	v_mul_lo_u32 v4, v6, s20
	s_delay_alu instid0(VALU_DEP_2)
	v_mul_lo_u32 v6, v5, s21
	v_mad_co_u64_u32 v[2:3], null, v5, s20, 0
	s_mov_b32 s2, exec_lo
	v_add3_u32 v3, v3, v6, v4
	v_sub_co_u32 v0, vcc_lo, v0, v2
	s_wait_alu 0xfffd
	s_delay_alu instid0(VALU_DEP_2) | instskip(SKIP_1) | instid1(VALU_DEP_1)
	v_sub_co_ci_u32_e64 v1, null, v1, v3, vcc_lo
	s_wait_kmcnt 0x0
	v_cmpx_gt_i64_e64 s[12:13], v[0:1]
	s_cbranch_execz .LBB92_19
; %bb.5:
	s_load_b64 s[2:3], s[16:17], 0x0
	v_ashrrev_i32_e32 v6, 31, v5
	s_wait_kmcnt 0x0
	s_delay_alu instid0(VALU_DEP_1)
	v_cmp_gt_i64_e32 vcc_lo, s[2:3], v[5:6]
	s_and_b32 exec_lo, exec_lo, vcc_lo
	s_cbranch_execz .LBB92_19
; %bb.6:
	v_lshlrev_b64_e32 v[2:3], 2, v[5:6]
	s_add_nc_u64 s[2:3], s[2:3], -1
                                        ; implicit-def: $vgpr10
	s_delay_alu instid0(VALU_DEP_1) | instskip(SKIP_1) | instid1(VALU_DEP_2)
	v_add_co_u32 v7, vcc_lo, s14, v2
	s_wait_alu 0xfffd
	v_add_co_ci_u32_e64 v8, null, s15, v3, vcc_lo
	s_wait_alu 0xfffe
	v_cmp_ne_u64_e32 vcc_lo, s[2:3], v[5:6]
	global_load_b32 v4, v[7:8], off
	s_and_saveexec_b32 s2, vcc_lo
	s_wait_alu 0xfffe
	s_xor_b32 s2, exec_lo, s2
	s_cbranch_execz .LBB92_8
; %bb.7:
	v_dual_mov_b32 v6, 0 :: v_dual_add_nc_u32 v7, 1, v5
	s_delay_alu instid0(VALU_DEP_1) | instskip(NEXT) | instid1(VALU_DEP_1)
	v_ashrrev_i64 v[5:6], 30, v[6:7]
	v_add_co_u32 v5, vcc_lo, s14, v5
	s_wait_alu 0xfffd
	s_delay_alu instid0(VALU_DEP_2)
	v_add_co_ci_u32_e64 v6, null, s15, v6, vcc_lo
	global_load_b32 v10, v[5:6], off
.LBB92_8:
	s_wait_alu 0xfffe
	s_or_saveexec_b32 s2, s2
	s_load_b256 s[20:27], s[0:1], 0x40
	s_xor_b32 exec_lo, exec_lo, s2
	s_cbranch_execz .LBB92_10
; %bb.9:
	s_wait_loadcnt 0x0
	v_mov_b32_e32 v10, s10
.LBB92_10:
	s_or_b32 exec_lo, exec_lo, s2
	v_mov_b32_e32 v9, 0
	s_mov_b32 s1, exec_lo
	s_wait_loadcnt 0x0
	v_cmpx_lt_i32_e64 v4, v10
	s_cbranch_execz .LBB92_17
; %bb.11:
	v_ashrrev_i32_e32 v5, 31, v4
	v_lshlrev_b64_e32 v[6:7], 1, v[0:1]
	s_cmp_lg_u64 s[8:9], 0
	s_mov_b32 s3, 0
	s_cselect_b32 s2, -1, 0
	v_lshlrev_b64_e32 v[8:9], 2, v[4:5]
	s_delay_alu instid0(VALU_DEP_2) | instskip(SKIP_2) | instid1(VALU_DEP_3)
	v_add_co_u32 v11, vcc_lo, s6, v6
	s_wait_alu 0xfffd
	v_add_co_ci_u32_e64 v12, null, s7, v7, vcc_lo
	v_add_co_u32 v5, vcc_lo, s4, v8
	s_wait_alu 0xfffd
	v_add_co_ci_u32_e64 v6, null, s5, v9, vcc_lo
	;; [unrolled: 3-line block ×3, first 2 shown]
	v_mov_b32_e32 v9, 0
	s_branch .LBB92_14
.LBB92_12:                              ;   in Loop: Header=BB92_14 Depth=1
	global_load_b32 v13, v[7:8], off
	s_wait_loadcnt 0x0
	v_cvt_f32_i32_e32 v13, v13
	s_delay_alu instid0(VALU_DEP_1) | instskip(NEXT) | instid1(VALU_DEP_1)
	v_div_scale_f32 v15, null, v13, v13, 1.0
	v_rcp_f32_e32 v16, v15
	s_delay_alu instid0(TRANS32_DEP_1) | instskip(NEXT) | instid1(VALU_DEP_1)
	v_fma_f32 v17, -v15, v16, 1.0
	v_fmac_f32_e32 v16, v17, v16
	v_div_scale_f32 v17, vcc_lo, 1.0, v13, 1.0
	s_delay_alu instid0(VALU_DEP_1) | instskip(NEXT) | instid1(VALU_DEP_1)
	v_mul_f32_e32 v18, v17, v16
	v_fma_f32 v19, -v15, v18, v17
	s_delay_alu instid0(VALU_DEP_1) | instskip(NEXT) | instid1(VALU_DEP_1)
	v_fmac_f32_e32 v18, v19, v16
	v_fma_f32 v15, -v15, v18, v17
	s_wait_alu 0xfffd
	s_delay_alu instid0(VALU_DEP_1) | instskip(NEXT) | instid1(VALU_DEP_1)
	v_div_fmas_f32 v15, v15, v16, v18
	v_div_fixup_f32 v13, v15, v13, 1.0
.LBB92_13:                              ;   in Loop: Header=BB92_14 Depth=1
	s_wait_loadcnt 0x0
	v_ashrrev_i32_e32 v16, 31, v14
	v_mul_lo_u32 v17, s13, v14
	v_mad_co_u64_u32 v[14:15], null, s12, v14, 0
	v_add_co_u32 v7, s0, v7, 4
	s_delay_alu instid0(VALU_DEP_4) | instskip(SKIP_2) | instid1(VALU_DEP_2)
	v_mul_lo_u32 v16, s12, v16
	s_wait_alu 0xf1ff
	v_add_co_ci_u32_e64 v8, null, 0, v8, s0
	v_add3_u32 v15, v15, v16, v17
	s_delay_alu instid0(VALU_DEP_1) | instskip(NEXT) | instid1(VALU_DEP_1)
	v_lshlrev_b64_e32 v[14:15], 1, v[14:15]
	v_add_co_u32 v14, vcc_lo, v11, v14
	s_wait_alu 0xfffd
	s_delay_alu instid0(VALU_DEP_2)
	v_add_co_ci_u32_e64 v15, null, v12, v15, vcc_lo
	v_add_co_u32 v5, vcc_lo, v5, 4
	s_wait_alu 0xfffd
	v_add_co_ci_u32_e64 v6, null, 0, v6, vcc_lo
	global_load_u16 v14, v[14:15], off
	s_wait_loadcnt 0x0
	v_lshlrev_b32_e32 v14, 16, v14
	s_delay_alu instid0(VALU_DEP_1) | instskip(NEXT) | instid1(VALU_DEP_1)
	v_dual_fmac_f32 v9, v13, v14 :: v_dual_add_nc_u32 v4, 1, v4
	v_cmp_ge_i32_e32 vcc_lo, v4, v10
	s_or_b32 s3, vcc_lo, s3
	s_wait_alu 0xfffe
	s_and_not1_b32 exec_lo, exec_lo, s3
	s_cbranch_execz .LBB92_16
.LBB92_14:                              ; =>This Inner Loop Header: Depth=1
	global_load_b32 v14, v[5:6], off
	s_wait_alu 0xfffe
	s_and_not1_b32 vcc_lo, exec_lo, s2
	s_wait_alu 0xfffe
	s_cbranch_vccz .LBB92_12
; %bb.15:                               ;   in Loop: Header=BB92_14 Depth=1
	v_mov_b32_e32 v13, 1.0
	s_branch .LBB92_13
.LBB92_16:
	s_or_b32 exec_lo, exec_lo, s3
.LBB92_17:
	s_wait_alu 0xfffe
	s_or_b32 exec_lo, exec_lo, s1
	s_wait_kmcnt 0x0
	v_add_co_u32 v2, vcc_lo, s20, v2
	s_wait_alu 0xfffd
	v_add_co_ci_u32_e64 v3, null, s21, v3, vcc_lo
	global_load_b32 v2, v[2:3], off
	s_wait_loadcnt 0x0
	v_ashrrev_i32_e32 v3, 31, v2
	s_delay_alu instid0(VALU_DEP_1) | instskip(NEXT) | instid1(VALU_DEP_1)
	v_lshlrev_b64_e32 v[2:3], 2, v[2:3]
	v_add_co_u32 v2, vcc_lo, s22, v2
	s_wait_alu 0xfffd
	s_delay_alu instid0(VALU_DEP_2) | instskip(SKIP_3) | instid1(VALU_DEP_1)
	v_add_co_ci_u32_e64 v3, null, s23, v3, vcc_lo
	global_load_b32 v2, v[2:3], off
	s_wait_loadcnt 0x0
	v_ashrrev_i32_e32 v3, 31, v2
	v_lshlrev_b64_e32 v[2:3], 2, v[2:3]
	s_delay_alu instid0(VALU_DEP_1) | instskip(SKIP_1) | instid1(VALU_DEP_2)
	v_add_co_u32 v2, vcc_lo, s18, v2
	s_wait_alu 0xfffd
	v_add_co_ci_u32_e64 v3, null, s19, v3, vcc_lo
	global_load_b32 v2, v[2:3], off
	s_wait_loadcnt 0x0
	v_ashrrev_i32_e32 v3, 31, v2
	s_delay_alu instid0(VALU_DEP_1)
	v_cmp_ne_u64_e32 vcc_lo, s[26:27], v[2:3]
	s_and_b32 exec_lo, exec_lo, vcc_lo
	s_cbranch_execz .LBB92_19
; %bb.18:
	v_mul_lo_u32 v4, s13, v2
	v_mul_lo_u32 v5, s12, v3
	v_mad_co_u64_u32 v[2:3], null, s12, v2, 0
	v_lshlrev_b64_e32 v[0:1], 2, v[0:1]
	s_delay_alu instid0(VALU_DEP_2) | instskip(NEXT) | instid1(VALU_DEP_1)
	v_add3_u32 v3, v3, v5, v4
	v_lshlrev_b64_e32 v[2:3], 2, v[2:3]
	s_delay_alu instid0(VALU_DEP_1) | instskip(SKIP_1) | instid1(VALU_DEP_2)
	v_add_co_u32 v2, vcc_lo, s24, v2
	s_wait_alu 0xfffd
	v_add_co_ci_u32_e64 v3, null, s25, v3, vcc_lo
	s_delay_alu instid0(VALU_DEP_2) | instskip(SKIP_1) | instid1(VALU_DEP_2)
	v_add_co_u32 v0, vcc_lo, v2, v0
	s_wait_alu 0xfffd
	v_add_co_ci_u32_e64 v1, null, v3, v1, vcc_lo
	global_atomic_add_f32 v[0:1], v9, off scope:SCOPE_DEV
.LBB92_19:
	s_endpgm
	.section	.rodata,"a",@progbits
	.p2align	6, 0x0
	.amdhsa_kernel _ZN2at6native12_GLOBAL__N_137compute_grad_weight_atomic_accumulateIN3c108BFloat16EfiEEvPKT1_PKT_S7_llS7_PKlS7_S7_S7_PT0_ll
		.amdhsa_group_segment_fixed_size 0
		.amdhsa_private_segment_fixed_size 0
		.amdhsa_kernarg_size 360
		.amdhsa_user_sgpr_count 2
		.amdhsa_user_sgpr_dispatch_ptr 0
		.amdhsa_user_sgpr_queue_ptr 0
		.amdhsa_user_sgpr_kernarg_segment_ptr 1
		.amdhsa_user_sgpr_dispatch_id 0
		.amdhsa_user_sgpr_private_segment_size 0
		.amdhsa_wavefront_size32 1
		.amdhsa_uses_dynamic_stack 0
		.amdhsa_enable_private_segment 0
		.amdhsa_system_sgpr_workgroup_id_x 1
		.amdhsa_system_sgpr_workgroup_id_y 0
		.amdhsa_system_sgpr_workgroup_id_z 0
		.amdhsa_system_sgpr_workgroup_info 0
		.amdhsa_system_vgpr_workitem_id 0
		.amdhsa_next_free_vgpr 20
		.amdhsa_next_free_sgpr 28
		.amdhsa_reserve_vcc 1
		.amdhsa_float_round_mode_32 0
		.amdhsa_float_round_mode_16_64 0
		.amdhsa_float_denorm_mode_32 3
		.amdhsa_float_denorm_mode_16_64 3
		.amdhsa_fp16_overflow 0
		.amdhsa_workgroup_processor_mode 1
		.amdhsa_memory_ordered 1
		.amdhsa_forward_progress 1
		.amdhsa_inst_pref_size 16
		.amdhsa_round_robin_scheduling 0
		.amdhsa_exception_fp_ieee_invalid_op 0
		.amdhsa_exception_fp_denorm_src 0
		.amdhsa_exception_fp_ieee_div_zero 0
		.amdhsa_exception_fp_ieee_overflow 0
		.amdhsa_exception_fp_ieee_underflow 0
		.amdhsa_exception_fp_ieee_inexact 0
		.amdhsa_exception_int_div_zero 0
	.end_amdhsa_kernel
	.section	.text._ZN2at6native12_GLOBAL__N_137compute_grad_weight_atomic_accumulateIN3c108BFloat16EfiEEvPKT1_PKT_S7_llS7_PKlS7_S7_S7_PT0_ll,"axG",@progbits,_ZN2at6native12_GLOBAL__N_137compute_grad_weight_atomic_accumulateIN3c108BFloat16EfiEEvPKT1_PKT_S7_llS7_PKlS7_S7_S7_PT0_ll,comdat
.Lfunc_end92:
	.size	_ZN2at6native12_GLOBAL__N_137compute_grad_weight_atomic_accumulateIN3c108BFloat16EfiEEvPKT1_PKT_S7_llS7_PKlS7_S7_S7_PT0_ll, .Lfunc_end92-_ZN2at6native12_GLOBAL__N_137compute_grad_weight_atomic_accumulateIN3c108BFloat16EfiEEvPKT1_PKT_S7_llS7_PKlS7_S7_S7_PT0_ll
                                        ; -- End function
	.set _ZN2at6native12_GLOBAL__N_137compute_grad_weight_atomic_accumulateIN3c108BFloat16EfiEEvPKT1_PKT_S7_llS7_PKlS7_S7_S7_PT0_ll.num_vgpr, 20
	.set _ZN2at6native12_GLOBAL__N_137compute_grad_weight_atomic_accumulateIN3c108BFloat16EfiEEvPKT1_PKT_S7_llS7_PKlS7_S7_S7_PT0_ll.num_agpr, 0
	.set _ZN2at6native12_GLOBAL__N_137compute_grad_weight_atomic_accumulateIN3c108BFloat16EfiEEvPKT1_PKT_S7_llS7_PKlS7_S7_S7_PT0_ll.numbered_sgpr, 28
	.set _ZN2at6native12_GLOBAL__N_137compute_grad_weight_atomic_accumulateIN3c108BFloat16EfiEEvPKT1_PKT_S7_llS7_PKlS7_S7_S7_PT0_ll.num_named_barrier, 0
	.set _ZN2at6native12_GLOBAL__N_137compute_grad_weight_atomic_accumulateIN3c108BFloat16EfiEEvPKT1_PKT_S7_llS7_PKlS7_S7_S7_PT0_ll.private_seg_size, 0
	.set _ZN2at6native12_GLOBAL__N_137compute_grad_weight_atomic_accumulateIN3c108BFloat16EfiEEvPKT1_PKT_S7_llS7_PKlS7_S7_S7_PT0_ll.uses_vcc, 1
	.set _ZN2at6native12_GLOBAL__N_137compute_grad_weight_atomic_accumulateIN3c108BFloat16EfiEEvPKT1_PKT_S7_llS7_PKlS7_S7_S7_PT0_ll.uses_flat_scratch, 0
	.set _ZN2at6native12_GLOBAL__N_137compute_grad_weight_atomic_accumulateIN3c108BFloat16EfiEEvPKT1_PKT_S7_llS7_PKlS7_S7_S7_PT0_ll.has_dyn_sized_stack, 0
	.set _ZN2at6native12_GLOBAL__N_137compute_grad_weight_atomic_accumulateIN3c108BFloat16EfiEEvPKT1_PKT_S7_llS7_PKlS7_S7_S7_PT0_ll.has_recursion, 0
	.set _ZN2at6native12_GLOBAL__N_137compute_grad_weight_atomic_accumulateIN3c108BFloat16EfiEEvPKT1_PKT_S7_llS7_PKlS7_S7_S7_PT0_ll.has_indirect_call, 0
	.section	.AMDGPU.csdata,"",@progbits
; Kernel info:
; codeLenInByte = 1980
; TotalNumSgprs: 30
; NumVgprs: 20
; ScratchSize: 0
; MemoryBound: 0
; FloatMode: 240
; IeeeMode: 1
; LDSByteSize: 0 bytes/workgroup (compile time only)
; SGPRBlocks: 0
; VGPRBlocks: 2
; NumSGPRsForWavesPerEU: 30
; NumVGPRsForWavesPerEU: 20
; Occupancy: 16
; WaveLimiterHint : 1
; COMPUTE_PGM_RSRC2:SCRATCH_EN: 0
; COMPUTE_PGM_RSRC2:USER_SGPR: 2
; COMPUTE_PGM_RSRC2:TRAP_HANDLER: 0
; COMPUTE_PGM_RSRC2:TGID_X_EN: 1
; COMPUTE_PGM_RSRC2:TGID_Y_EN: 0
; COMPUTE_PGM_RSRC2:TGID_Z_EN: 0
; COMPUTE_PGM_RSRC2:TIDIG_COMP_CNT: 0
	.section	.text._ZN2at6native12_GLOBAL__N_124compute_grad_weight_bagsIN3c108BFloat16EiEEvPKT0_PKT_S7_S7_lliS7_SA_lS7_PKlPNS_14AccumulateTypeIS8_Lb1EE4typeEl,"axG",@progbits,_ZN2at6native12_GLOBAL__N_124compute_grad_weight_bagsIN3c108BFloat16EiEEvPKT0_PKT_S7_S7_lliS7_SA_lS7_PKlPNS_14AccumulateTypeIS8_Lb1EE4typeEl,comdat
	.globl	_ZN2at6native12_GLOBAL__N_124compute_grad_weight_bagsIN3c108BFloat16EiEEvPKT0_PKT_S7_S7_lliS7_SA_lS7_PKlPNS_14AccumulateTypeIS8_Lb1EE4typeEl ; -- Begin function _ZN2at6native12_GLOBAL__N_124compute_grad_weight_bagsIN3c108BFloat16EiEEvPKT0_PKT_S7_S7_lliS7_SA_lS7_PKlPNS_14AccumulateTypeIS8_Lb1EE4typeEl
	.p2align	8
	.type	_ZN2at6native12_GLOBAL__N_124compute_grad_weight_bagsIN3c108BFloat16EiEEvPKT0_PKT_S7_S7_lliS7_SA_lS7_PKlPNS_14AccumulateTypeIS8_Lb1EE4typeEl,@function
_ZN2at6native12_GLOBAL__N_124compute_grad_weight_bagsIN3c108BFloat16EiEEvPKT0_PKT_S7_S7_lliS7_SA_lS7_PKlPNS_14AccumulateTypeIS8_Lb1EE4typeEl: ; @_ZN2at6native12_GLOBAL__N_124compute_grad_weight_bagsIN3c108BFloat16EiEEvPKT0_PKT_S7_S7_lliS7_SA_lS7_PKlPNS_14AccumulateTypeIS8_Lb1EE4typeEl
; %bb.0:
	s_clause 0x2
	s_load_b32 s2, s[0:1], 0x7c
	s_load_b64 s[4:5], s[0:1], 0x68
	s_load_b128 s[20:23], s[0:1], 0x58
	v_mov_b32_e32 v1, 0
	s_delay_alu instid0(VALU_DEP_1) | instskip(SKIP_2) | instid1(SALU_CYCLE_1)
	v_mov_b32_e32 v4, v1
	s_wait_kmcnt 0x0
	s_and_b32 s2, s2, 0xffff
	v_mad_co_u64_u32 v[2:3], null, s2, ttmp9, v[0:1]
                                        ; implicit-def: $vgpr0_vgpr1
	s_mov_b32 s2, exec_lo
	v_or_b32_e32 v5, s5, v3
	s_delay_alu instid0(VALU_DEP_1)
	v_cmpx_ne_u64_e32 0, v[4:5]
	s_wait_alu 0xfffe
	s_xor_b32 s3, exec_lo, s2
	s_cbranch_execz .LBB93_2
; %bb.1:
	s_ashr_i32 s6, s5, 31
	s_mov_b32 s17, 0
	s_mov_b32 s7, s6
	v_ashrrev_i32_e32 v8, 31, v3
	s_add_nc_u64 s[8:9], s[4:5], s[6:7]
	s_delay_alu instid0(SALU_CYCLE_1) | instskip(NEXT) | instid1(VALU_DEP_1)
	s_xor_b64 s[8:9], s[8:9], s[6:7]
	v_add_co_u32 v0, vcc_lo, v2, v8
	s_cvt_f32_u32 s2, s8
	s_cvt_f32_u32 s7, s9
	s_sub_nc_u64 s[12:13], 0, s[8:9]
	v_add_co_ci_u32_e64 v1, null, v3, v8, vcc_lo
	s_wait_alu 0xfffe
	s_fmamk_f32 s2, s7, 0x4f800000, s2
	v_xor_b32_e32 v9, v0, v8
	s_delay_alu instid0(VALU_DEP_2) | instskip(SKIP_2) | instid1(TRANS32_DEP_1)
	v_xor_b32_e32 v10, v1, v8
	s_wait_alu 0xfffe
	v_s_rcp_f32 s2, s2
	s_mul_f32 s2, s2, 0x5f7ffffc
	s_wait_alu 0xfffe
	s_delay_alu instid0(SALU_CYCLE_2) | instskip(NEXT) | instid1(SALU_CYCLE_3)
	s_mul_f32 s7, s2, 0x2f800000
	s_trunc_f32 s7, s7
	s_delay_alu instid0(SALU_CYCLE_3) | instskip(SKIP_2) | instid1(SALU_CYCLE_1)
	s_fmamk_f32 s2, s7, 0xcf800000, s2
	s_cvt_u32_f32 s11, s7
	s_wait_alu 0xfffe
	s_cvt_u32_f32 s10, s2
	s_delay_alu instid0(SALU_CYCLE_3) | instskip(NEXT) | instid1(SALU_CYCLE_1)
	s_mul_u64 s[14:15], s[12:13], s[10:11]
	s_mul_hi_u32 s19, s10, s15
	s_mul_i32 s18, s10, s15
	s_mul_hi_u32 s16, s10, s14
	s_mul_i32 s7, s11, s14
	s_add_nc_u64 s[18:19], s[16:17], s[18:19]
	s_mul_hi_u32 s2, s11, s14
	s_mul_hi_u32 s24, s11, s15
	s_add_co_u32 s7, s18, s7
	s_wait_alu 0xfffe
	s_add_co_ci_u32 s16, s19, s2
	s_mul_i32 s14, s11, s15
	s_add_co_ci_u32 s15, s24, 0
	s_delay_alu instid0(SALU_CYCLE_1) | instskip(NEXT) | instid1(SALU_CYCLE_1)
	s_add_nc_u64 s[14:15], s[16:17], s[14:15]
	s_add_co_u32 s10, s10, s14
	s_cselect_b32 s2, -1, 0
	s_wait_alu 0xfffe
	s_cmp_lg_u32 s2, 0
	s_add_co_ci_u32 s11, s11, s15
	s_delay_alu instid0(SALU_CYCLE_1) | instskip(NEXT) | instid1(SALU_CYCLE_1)
	s_mul_u64 s[12:13], s[12:13], s[10:11]
	s_mul_hi_u32 s15, s10, s13
	s_mul_i32 s14, s10, s13
	s_mul_hi_u32 s16, s10, s12
	s_mul_i32 s7, s11, s12
	s_add_nc_u64 s[14:15], s[16:17], s[14:15]
	s_mul_hi_u32 s2, s11, s12
	s_mul_hi_u32 s18, s11, s13
	s_add_co_u32 s7, s14, s7
	s_wait_alu 0xfffe
	s_add_co_ci_u32 s16, s15, s2
	s_mul_i32 s12, s11, s13
	s_add_co_ci_u32 s13, s18, 0
	s_delay_alu instid0(SALU_CYCLE_1) | instskip(NEXT) | instid1(SALU_CYCLE_1)
	s_add_nc_u64 s[12:13], s[16:17], s[12:13]
	s_add_co_u32 s2, s10, s12
	s_cselect_b32 s7, -1, 0
	s_wait_alu 0xfffe
	v_mul_hi_u32 v11, v9, s2
	s_cmp_lg_u32 s7, 0
	v_mad_co_u64_u32 v[4:5], null, v10, s2, 0
	s_add_co_ci_u32 s7, s11, s13
	s_delay_alu instid0(SALU_CYCLE_1) | instskip(SKIP_1) | instid1(VALU_DEP_2)
	v_mad_co_u64_u32 v[0:1], null, v9, s7, 0
	v_mad_co_u64_u32 v[6:7], null, v10, s7, 0
	v_add_co_u32 v0, vcc_lo, v11, v0
	s_wait_alu 0xfffd
	s_delay_alu instid0(VALU_DEP_3) | instskip(NEXT) | instid1(VALU_DEP_2)
	v_add_co_ci_u32_e64 v1, null, 0, v1, vcc_lo
	v_add_co_u32 v0, vcc_lo, v0, v4
	s_wait_alu 0xfffd
	s_delay_alu instid0(VALU_DEP_2) | instskip(SKIP_2) | instid1(VALU_DEP_2)
	v_add_co_ci_u32_e32 v0, vcc_lo, v1, v5, vcc_lo
	s_wait_alu 0xfffd
	v_add_co_ci_u32_e32 v1, vcc_lo, 0, v7, vcc_lo
	v_add_co_u32 v4, vcc_lo, v0, v6
	s_wait_alu 0xfffd
	s_delay_alu instid0(VALU_DEP_2) | instskip(NEXT) | instid1(VALU_DEP_2)
	v_add_co_ci_u32_e64 v5, null, 0, v1, vcc_lo
	v_mul_lo_u32 v6, s9, v4
	v_mad_co_u64_u32 v[0:1], null, s8, v4, 0
	s_delay_alu instid0(VALU_DEP_3) | instskip(NEXT) | instid1(VALU_DEP_2)
	v_mul_lo_u32 v7, s8, v5
	v_sub_co_u32 v0, vcc_lo, v9, v0
	s_delay_alu instid0(VALU_DEP_2) | instskip(SKIP_3) | instid1(VALU_DEP_3)
	v_add3_u32 v1, v1, v7, v6
	v_add_co_u32 v7, s2, v4, 2
	s_wait_alu 0xf1ff
	v_add_co_ci_u32_e64 v9, null, 0, v5, s2
	v_sub_nc_u32_e32 v6, v10, v1
	v_sub_co_u32 v11, s2, v0, s8
	s_wait_alu 0xfffd
	v_sub_co_ci_u32_e64 v1, null, v10, v1, vcc_lo
	s_delay_alu instid0(VALU_DEP_3) | instskip(NEXT) | instid1(VALU_DEP_3)
	v_subrev_co_ci_u32_e64 v6, null, s9, v6, vcc_lo
	v_cmp_le_u32_e32 vcc_lo, s8, v11
	s_wait_alu 0xf1ff
	s_delay_alu instid0(VALU_DEP_2) | instskip(SKIP_2) | instid1(VALU_DEP_2)
	v_subrev_co_ci_u32_e64 v6, null, 0, v6, s2
	s_wait_alu 0xfffd
	v_cndmask_b32_e64 v10, 0, -1, vcc_lo
	v_cmp_le_u32_e32 vcc_lo, s9, v6
	s_wait_alu 0xfffd
	v_cndmask_b32_e64 v11, 0, -1, vcc_lo
	v_cmp_le_u32_e32 vcc_lo, s8, v0
	;; [unrolled: 3-line block ×3, first 2 shown]
	s_wait_alu 0xfffd
	v_cndmask_b32_e64 v12, 0, -1, vcc_lo
	v_cmp_eq_u32_e32 vcc_lo, s9, v6
	s_wait_alu 0xfffd
	v_cndmask_b32_e32 v6, v11, v10, vcc_lo
	v_add_co_u32 v10, vcc_lo, v4, 1
	s_wait_alu 0xfffd
	v_add_co_ci_u32_e64 v11, null, 0, v5, vcc_lo
	v_cmp_eq_u32_e32 vcc_lo, s9, v1
	s_wait_alu 0xfffd
	v_cndmask_b32_e32 v0, v12, v0, vcc_lo
	v_cmp_ne_u32_e32 vcc_lo, 0, v6
	v_xor_b32_e32 v6, s6, v8
	s_wait_alu 0xfffd
	v_cndmask_b32_e32 v1, v11, v9, vcc_lo
	v_cmp_ne_u32_e64 s2, 0, v0
	v_cndmask_b32_e32 v0, v10, v7, vcc_lo
	s_wait_alu 0xf1ff
	s_delay_alu instid0(VALU_DEP_2) | instskip(NEXT) | instid1(VALU_DEP_2)
	v_cndmask_b32_e64 v1, v5, v1, s2
	v_cndmask_b32_e64 v0, v4, v0, s2
	s_delay_alu instid0(VALU_DEP_2) | instskip(NEXT) | instid1(VALU_DEP_2)
	v_xor_b32_e32 v1, v1, v6
	v_xor_b32_e32 v0, v0, v6
	s_delay_alu instid0(VALU_DEP_1) | instskip(SKIP_1) | instid1(VALU_DEP_3)
	v_sub_co_u32 v0, vcc_lo, v0, v6
	s_wait_alu 0xfffd
	v_sub_co_ci_u32_e64 v1, null, v1, v6, vcc_lo
.LBB93_2:
	s_wait_alu 0xfffe
	s_or_saveexec_b32 s2, s3
	s_load_b64 s[20:21], s[20:21], 0x0
	s_xor_b32 exec_lo, exec_lo, s2
	s_cbranch_execz .LBB93_4
; %bb.3:
	v_cvt_f32_u32_e32 v0, s4
	s_sub_co_i32 s3, 0, s4
	s_delay_alu instid0(VALU_DEP_1) | instskip(NEXT) | instid1(TRANS32_DEP_1)
	v_rcp_iflag_f32_e32 v0, v0
	v_mul_f32_e32 v0, 0x4f7ffffe, v0
	s_delay_alu instid0(VALU_DEP_1) | instskip(SKIP_1) | instid1(VALU_DEP_1)
	v_cvt_u32_f32_e32 v0, v0
	s_wait_alu 0xfffe
	v_mul_lo_u32 v1, s3, v0
	s_delay_alu instid0(VALU_DEP_1) | instskip(NEXT) | instid1(VALU_DEP_1)
	v_mul_hi_u32 v1, v0, v1
	v_add_nc_u32_e32 v0, v0, v1
	s_delay_alu instid0(VALU_DEP_1) | instskip(NEXT) | instid1(VALU_DEP_1)
	v_mul_hi_u32 v0, v2, v0
	v_mul_lo_u32 v1, v0, s4
	v_add_nc_u32_e32 v4, 1, v0
	s_delay_alu instid0(VALU_DEP_2) | instskip(NEXT) | instid1(VALU_DEP_1)
	v_sub_nc_u32_e32 v1, v2, v1
	v_subrev_nc_u32_e32 v5, s4, v1
	v_cmp_le_u32_e32 vcc_lo, s4, v1
	s_wait_alu 0xfffd
	s_delay_alu instid0(VALU_DEP_2) | instskip(NEXT) | instid1(VALU_DEP_1)
	v_dual_cndmask_b32 v1, v1, v5 :: v_dual_cndmask_b32 v0, v0, v4
	v_cmp_le_u32_e32 vcc_lo, s4, v1
	s_delay_alu instid0(VALU_DEP_2) | instskip(SKIP_1) | instid1(VALU_DEP_1)
	v_dual_mov_b32 v1, 0 :: v_dual_add_nc_u32 v4, 1, v0
	s_wait_alu 0xfffd
	v_cndmask_b32_e32 v0, v0, v4, vcc_lo
.LBB93_4:
	s_or_b32 exec_lo, exec_lo, s2
	s_load_b128 s[24:27], s[0:1], 0x20
	v_mul_lo_u32 v6, v1, s4
	s_delay_alu instid0(VALU_DEP_2) | instskip(SKIP_3) | instid1(VALU_DEP_2)
	v_mul_lo_u32 v7, v0, s5
	v_mad_co_u64_u32 v[4:5], null, v0, s4, 0
	s_wait_kmcnt 0x0
	v_cmp_gt_i64_e64 s2, s[20:21], v[0:1]
	v_add3_u32 v5, v5, v7, v6
	s_delay_alu instid0(VALU_DEP_3) | instskip(SKIP_1) | instid1(VALU_DEP_2)
	v_sub_co_u32 v2, vcc_lo, v2, v4
	s_wait_alu 0xfffd
	v_sub_co_ci_u32_e64 v3, null, v3, v5, vcc_lo
	s_delay_alu instid0(VALU_DEP_1)
	v_cmp_gt_i64_e32 vcc_lo, s[26:27], v[2:3]
	s_and_b32 s2, vcc_lo, s2
	s_wait_alu 0xfffe
	s_and_saveexec_b32 s3, s2
	s_cbranch_execz .LBB93_20
; %bb.5:
	s_load_b256 s[4:11], s[0:1], 0x38
	v_lshlrev_b64_e32 v[5:6], 2, v[0:1]
	s_load_b256 s[12:19], s[0:1], 0x0
	s_add_nc_u64 s[2:3], s[20:21], -1
                                        ; implicit-def: $vgpr12
	s_wait_kmcnt 0x0
	s_delay_alu instid0(VALU_DEP_1)
	v_add_co_u32 v5, vcc_lo, s10, v5
	s_wait_alu 0xfffd
	v_add_co_ci_u32_e64 v6, null, s11, v6, vcc_lo
	s_wait_alu 0xfffe
	v_cmp_ne_u64_e32 vcc_lo, s[2:3], v[0:1]
	global_load_b32 v4, v[5:6], off
	s_and_saveexec_b32 s2, vcc_lo
	s_wait_alu 0xfffe
	s_xor_b32 s2, exec_lo, s2
	s_cbranch_execz .LBB93_7
; %bb.6:
	global_load_b32 v12, v[5:6], off offset:4
.LBB93_7:
	s_wait_alu 0xfffe
	s_and_not1_saveexec_b32 s2, s2
	s_cbranch_execz .LBB93_9
; %bb.8:
	s_wait_loadcnt 0x0
	v_mov_b32_e32 v12, s24
.LBB93_9:
	s_wait_alu 0xfffe
	s_or_b32 exec_lo, exec_lo, s2
	v_mov_b32_e32 v13, 0
	s_mov_b32 s2, exec_lo
	s_wait_loadcnt 0x0
	v_cmpx_lt_i32_e64 v4, v12
	s_cbranch_execz .LBB93_19
; %bb.10:
	s_load_b32 s0, s[0:1], 0x30
	v_ashrrev_i32_e32 v5, 31, v4
	v_lshlrev_b64_e32 v[6:7], 1, v[2:3]
	s_cmp_lg_u64 s[18:19], 0
	v_mov_b32_e32 v13, 0
	s_cselect_b32 s1, -1, 0
	v_lshlrev_b64_e32 v[8:9], 2, v[4:5]
	s_cmp_lg_u64 s[6:7], 0
	v_add_co_u32 v14, vcc_lo, s14, v6
	s_wait_alu 0xfffd
	v_add_co_ci_u32_e64 v15, null, s15, v7, vcc_lo
	s_delay_alu instid0(VALU_DEP_3)
	v_add_co_u32 v5, vcc_lo, s12, v8
	s_wait_alu 0xfffd
	v_add_co_ci_u32_e64 v6, null, s13, v9, vcc_lo
	v_add_co_u32 v7, vcc_lo, s18, v8
	s_wait_alu 0xfffd
	v_add_co_ci_u32_e64 v8, null, s19, v9, vcc_lo
	s_cselect_b32 s3, -1, 0
	s_wait_kmcnt 0x0
	s_cmp_lg_u32 s0, 0
	s_mov_b32 s11, 0
	s_cselect_b32 s10, -1, 0
	s_branch .LBB93_12
.LBB93_11:                              ;   in Loop: Header=BB93_12 Depth=1
	s_delay_alu instid0(VALU_DEP_1) | instskip(SKIP_3) | instid1(VALU_DEP_3)
	v_dual_fmac_f32 v13, v16, v11 :: v_dual_add_nc_u32 v4, 1, v4
	v_add_co_u32 v5, vcc_lo, v5, 4
	s_wait_alu 0xfffd
	v_add_co_ci_u32_e64 v6, null, 0, v6, vcc_lo
	v_cmp_ge_i32_e32 vcc_lo, v4, v12
	v_add_co_u32 v7, s0, v7, 4
	s_wait_alu 0xf1ff
	v_add_co_ci_u32_e64 v8, null, 0, v8, s0
	s_or_b32 s11, vcc_lo, s11
	s_wait_alu 0xfffe
	s_and_not1_b32 exec_lo, exec_lo, s11
	s_cbranch_execz .LBB93_18
.LBB93_12:                              ; =>This Inner Loop Header: Depth=1
	global_load_b32 v10, v[5:6], off
	s_wait_loadcnt 0x0
	v_ashrrev_i32_e32 v11, 31, v10
	s_delay_alu instid0(VALU_DEP_1) | instskip(NEXT) | instid1(VALU_DEP_1)
	v_lshlrev_b64_e32 v[16:17], 2, v[10:11]
	v_add_co_u32 v16, vcc_lo, s16, v16
	s_wait_alu 0xfffd
	s_delay_alu instid0(VALU_DEP_2)
	v_add_co_ci_u32_e64 v17, null, s17, v17, vcc_lo
	s_wait_alu 0xfffe
	s_and_not1_b32 vcc_lo, exec_lo, s1
	global_load_b32 v9, v[16:17], off
	s_wait_alu 0xfffe
	s_cbranch_vccnz .LBB93_17
; %bb.13:                               ;   in Loop: Header=BB93_12 Depth=1
	global_load_b32 v16, v[7:8], off
	s_wait_loadcnt 0x0
	v_cvt_f64_i32_e32 v[16:17], v16
	s_delay_alu instid0(VALU_DEP_1) | instskip(NEXT) | instid1(VALU_DEP_1)
	v_div_scale_f64 v[18:19], null, v[16:17], v[16:17], 1.0
	v_rcp_f64_e32 v[20:21], v[18:19]
	s_delay_alu instid0(TRANS32_DEP_1) | instskip(NEXT) | instid1(VALU_DEP_1)
	v_fma_f64 v[22:23], -v[18:19], v[20:21], 1.0
	v_fma_f64 v[20:21], v[20:21], v[22:23], v[20:21]
	s_delay_alu instid0(VALU_DEP_1) | instskip(NEXT) | instid1(VALU_DEP_1)
	v_fma_f64 v[22:23], -v[18:19], v[20:21], 1.0
	v_fma_f64 v[20:21], v[20:21], v[22:23], v[20:21]
	v_div_scale_f64 v[22:23], vcc_lo, 1.0, v[16:17], 1.0
	s_delay_alu instid0(VALU_DEP_1) | instskip(NEXT) | instid1(VALU_DEP_1)
	v_mul_f64_e32 v[24:25], v[22:23], v[20:21]
	v_fma_f64 v[18:19], -v[18:19], v[24:25], v[22:23]
	s_wait_alu 0xfffd
	s_delay_alu instid0(VALU_DEP_1) | instskip(NEXT) | instid1(VALU_DEP_1)
	v_div_fmas_f64 v[18:19], v[18:19], v[20:21], v[24:25]
	v_div_fixup_f64 v[16:17], v[18:19], v[16:17], 1.0
	s_delay_alu instid0(VALU_DEP_1)
	v_cvt_f32_f64_e32 v16, v[16:17]
	s_and_not1_b32 vcc_lo, exec_lo, s3
	s_wait_alu 0xfffe
	s_cbranch_vccnz .LBB93_15
.LBB93_14:                              ;   in Loop: Header=BB93_12 Depth=1
	v_mul_lo_u32 v17, s9, v10
	v_mul_lo_u32 v18, s8, v11
	v_mad_co_u64_u32 v[10:11], null, s8, v10, 0
	s_delay_alu instid0(VALU_DEP_1) | instskip(NEXT) | instid1(VALU_DEP_1)
	v_add3_u32 v11, v11, v18, v17
	v_lshlrev_b64_e32 v[10:11], 1, v[10:11]
	s_delay_alu instid0(VALU_DEP_1) | instskip(SKIP_1) | instid1(VALU_DEP_2)
	v_add_co_u32 v10, vcc_lo, s6, v10
	s_wait_alu 0xfffd
	v_add_co_ci_u32_e64 v11, null, s7, v11, vcc_lo
	global_load_u16 v10, v[10:11], off
	s_wait_loadcnt 0x0
	v_lshlrev_b32_e32 v10, 16, v10
	s_delay_alu instid0(VALU_DEP_1)
	v_mul_f32_e32 v16, v16, v10
.LBB93_15:                              ;   in Loop: Header=BB93_12 Depth=1
	s_wait_loadcnt 0x0
	v_mul_lo_u32 v10, v9, s26
	s_delay_alu instid0(VALU_DEP_1) | instskip(NEXT) | instid1(VALU_DEP_1)
	v_ashrrev_i32_e32 v11, 31, v10
	v_lshlrev_b64_e32 v[10:11], 1, v[10:11]
	s_delay_alu instid0(VALU_DEP_1) | instskip(SKIP_1) | instid1(VALU_DEP_2)
	v_add_co_u32 v10, vcc_lo, v14, v10
	s_wait_alu 0xfffd
	v_add_co_ci_u32_e64 v11, null, v15, v11, vcc_lo
	s_and_not1_b32 vcc_lo, exec_lo, s10
	global_load_u16 v10, v[10:11], off
	s_wait_loadcnt 0x0
	v_lshlrev_b32_e32 v11, 16, v10
	s_wait_alu 0xfffe
	s_cbranch_vccnz .LBB93_11
; %bb.16:                               ;   in Loop: Header=BB93_12 Depth=1
	v_ashrrev_i32_e32 v10, 31, v9
	s_delay_alu instid0(VALU_DEP_1) | instskip(NEXT) | instid1(VALU_DEP_1)
	v_lshlrev_b64_e32 v[9:10], 2, v[9:10]
	v_add_co_u32 v9, vcc_lo, s4, v9
	s_wait_alu 0xfffd
	s_delay_alu instid0(VALU_DEP_2) | instskip(SKIP_3) | instid1(VALU_DEP_1)
	v_add_co_ci_u32_e64 v10, null, s5, v10, vcc_lo
	global_load_b32 v9, v[9:10], off
	s_wait_loadcnt 0x0
	v_cvt_f32_i32_e32 v9, v9
	v_div_scale_f32 v10, null, v9, v9, v11
	s_delay_alu instid0(VALU_DEP_1) | instskip(NEXT) | instid1(TRANS32_DEP_1)
	v_rcp_f32_e32 v17, v10
	v_fma_f32 v18, -v10, v17, 1.0
	s_delay_alu instid0(VALU_DEP_1) | instskip(SKIP_1) | instid1(VALU_DEP_1)
	v_fmac_f32_e32 v17, v18, v17
	v_div_scale_f32 v18, vcc_lo, v11, v9, v11
	v_mul_f32_e32 v19, v18, v17
	s_delay_alu instid0(VALU_DEP_1) | instskip(NEXT) | instid1(VALU_DEP_1)
	v_fma_f32 v20, -v10, v19, v18
	v_fmac_f32_e32 v19, v20, v17
	s_delay_alu instid0(VALU_DEP_1) | instskip(SKIP_1) | instid1(VALU_DEP_1)
	v_fma_f32 v10, -v10, v19, v18
	s_wait_alu 0xfffd
	v_div_fmas_f32 v10, v10, v17, v19
	s_delay_alu instid0(VALU_DEP_1)
	v_div_fixup_f32 v11, v10, v9, v11
	s_branch .LBB93_11
.LBB93_17:                              ;   in Loop: Header=BB93_12 Depth=1
	v_mov_b32_e32 v16, 1.0
	s_and_not1_b32 vcc_lo, exec_lo, s3
	s_wait_alu 0xfffe
	s_cbranch_vccz .LBB93_14
	s_branch .LBB93_15
.LBB93_18:
	s_or_b32 exec_lo, exec_lo, s11
.LBB93_19:
	s_wait_alu 0xfffe
	s_or_b32 exec_lo, exec_lo, s2
	v_mul_lo_u32 v4, v1, s26
	v_mul_lo_u32 v5, v0, s27
	v_mad_co_u64_u32 v[0:1], null, v0, s26, 0
	v_lshlrev_b64_e32 v[2:3], 2, v[2:3]
	s_delay_alu instid0(VALU_DEP_2) | instskip(NEXT) | instid1(VALU_DEP_1)
	v_add3_u32 v1, v1, v5, v4
	v_lshlrev_b64_e32 v[0:1], 2, v[0:1]
	s_delay_alu instid0(VALU_DEP_1) | instskip(SKIP_1) | instid1(VALU_DEP_2)
	v_add_co_u32 v0, vcc_lo, s22, v0
	s_wait_alu 0xfffd
	v_add_co_ci_u32_e64 v1, null, s23, v1, vcc_lo
	s_delay_alu instid0(VALU_DEP_2) | instskip(SKIP_1) | instid1(VALU_DEP_2)
	v_add_co_u32 v0, vcc_lo, v0, v2
	s_wait_alu 0xfffd
	v_add_co_ci_u32_e64 v1, null, v1, v3, vcc_lo
	global_store_b32 v[0:1], v13, off
.LBB93_20:
	s_endpgm
	.section	.rodata,"a",@progbits
	.p2align	6, 0x0
	.amdhsa_kernel _ZN2at6native12_GLOBAL__N_124compute_grad_weight_bagsIN3c108BFloat16EiEEvPKT0_PKT_S7_S7_lliS7_SA_lS7_PKlPNS_14AccumulateTypeIS8_Lb1EE4typeEl
		.amdhsa_group_segment_fixed_size 0
		.amdhsa_private_segment_fixed_size 0
		.amdhsa_kernarg_size 368
		.amdhsa_user_sgpr_count 2
		.amdhsa_user_sgpr_dispatch_ptr 0
		.amdhsa_user_sgpr_queue_ptr 0
		.amdhsa_user_sgpr_kernarg_segment_ptr 1
		.amdhsa_user_sgpr_dispatch_id 0
		.amdhsa_user_sgpr_private_segment_size 0
		.amdhsa_wavefront_size32 1
		.amdhsa_uses_dynamic_stack 0
		.amdhsa_enable_private_segment 0
		.amdhsa_system_sgpr_workgroup_id_x 1
		.amdhsa_system_sgpr_workgroup_id_y 0
		.amdhsa_system_sgpr_workgroup_id_z 0
		.amdhsa_system_sgpr_workgroup_info 0
		.amdhsa_system_vgpr_workitem_id 0
		.amdhsa_next_free_vgpr 26
		.amdhsa_next_free_sgpr 28
		.amdhsa_reserve_vcc 1
		.amdhsa_float_round_mode_32 0
		.amdhsa_float_round_mode_16_64 0
		.amdhsa_float_denorm_mode_32 3
		.amdhsa_float_denorm_mode_16_64 3
		.amdhsa_fp16_overflow 0
		.amdhsa_workgroup_processor_mode 1
		.amdhsa_memory_ordered 1
		.amdhsa_forward_progress 1
		.amdhsa_inst_pref_size 17
		.amdhsa_round_robin_scheduling 0
		.amdhsa_exception_fp_ieee_invalid_op 0
		.amdhsa_exception_fp_denorm_src 0
		.amdhsa_exception_fp_ieee_div_zero 0
		.amdhsa_exception_fp_ieee_overflow 0
		.amdhsa_exception_fp_ieee_underflow 0
		.amdhsa_exception_fp_ieee_inexact 0
		.amdhsa_exception_int_div_zero 0
	.end_amdhsa_kernel
	.section	.text._ZN2at6native12_GLOBAL__N_124compute_grad_weight_bagsIN3c108BFloat16EiEEvPKT0_PKT_S7_S7_lliS7_SA_lS7_PKlPNS_14AccumulateTypeIS8_Lb1EE4typeEl,"axG",@progbits,_ZN2at6native12_GLOBAL__N_124compute_grad_weight_bagsIN3c108BFloat16EiEEvPKT0_PKT_S7_S7_lliS7_SA_lS7_PKlPNS_14AccumulateTypeIS8_Lb1EE4typeEl,comdat
.Lfunc_end93:
	.size	_ZN2at6native12_GLOBAL__N_124compute_grad_weight_bagsIN3c108BFloat16EiEEvPKT0_PKT_S7_S7_lliS7_SA_lS7_PKlPNS_14AccumulateTypeIS8_Lb1EE4typeEl, .Lfunc_end93-_ZN2at6native12_GLOBAL__N_124compute_grad_weight_bagsIN3c108BFloat16EiEEvPKT0_PKT_S7_S7_lliS7_SA_lS7_PKlPNS_14AccumulateTypeIS8_Lb1EE4typeEl
                                        ; -- End function
	.set _ZN2at6native12_GLOBAL__N_124compute_grad_weight_bagsIN3c108BFloat16EiEEvPKT0_PKT_S7_S7_lliS7_SA_lS7_PKlPNS_14AccumulateTypeIS8_Lb1EE4typeEl.num_vgpr, 26
	.set _ZN2at6native12_GLOBAL__N_124compute_grad_weight_bagsIN3c108BFloat16EiEEvPKT0_PKT_S7_S7_lliS7_SA_lS7_PKlPNS_14AccumulateTypeIS8_Lb1EE4typeEl.num_agpr, 0
	.set _ZN2at6native12_GLOBAL__N_124compute_grad_weight_bagsIN3c108BFloat16EiEEvPKT0_PKT_S7_S7_lliS7_SA_lS7_PKlPNS_14AccumulateTypeIS8_Lb1EE4typeEl.numbered_sgpr, 28
	.set _ZN2at6native12_GLOBAL__N_124compute_grad_weight_bagsIN3c108BFloat16EiEEvPKT0_PKT_S7_S7_lliS7_SA_lS7_PKlPNS_14AccumulateTypeIS8_Lb1EE4typeEl.num_named_barrier, 0
	.set _ZN2at6native12_GLOBAL__N_124compute_grad_weight_bagsIN3c108BFloat16EiEEvPKT0_PKT_S7_S7_lliS7_SA_lS7_PKlPNS_14AccumulateTypeIS8_Lb1EE4typeEl.private_seg_size, 0
	.set _ZN2at6native12_GLOBAL__N_124compute_grad_weight_bagsIN3c108BFloat16EiEEvPKT0_PKT_S7_S7_lliS7_SA_lS7_PKlPNS_14AccumulateTypeIS8_Lb1EE4typeEl.uses_vcc, 1
	.set _ZN2at6native12_GLOBAL__N_124compute_grad_weight_bagsIN3c108BFloat16EiEEvPKT0_PKT_S7_S7_lliS7_SA_lS7_PKlPNS_14AccumulateTypeIS8_Lb1EE4typeEl.uses_flat_scratch, 0
	.set _ZN2at6native12_GLOBAL__N_124compute_grad_weight_bagsIN3c108BFloat16EiEEvPKT0_PKT_S7_S7_lliS7_SA_lS7_PKlPNS_14AccumulateTypeIS8_Lb1EE4typeEl.has_dyn_sized_stack, 0
	.set _ZN2at6native12_GLOBAL__N_124compute_grad_weight_bagsIN3c108BFloat16EiEEvPKT0_PKT_S7_S7_lliS7_SA_lS7_PKlPNS_14AccumulateTypeIS8_Lb1EE4typeEl.has_recursion, 0
	.set _ZN2at6native12_GLOBAL__N_124compute_grad_weight_bagsIN3c108BFloat16EiEEvPKT0_PKT_S7_S7_lliS7_SA_lS7_PKlPNS_14AccumulateTypeIS8_Lb1EE4typeEl.has_indirect_call, 0
	.section	.AMDGPU.csdata,"",@progbits
; Kernel info:
; codeLenInByte = 2140
; TotalNumSgprs: 30
; NumVgprs: 26
; ScratchSize: 0
; MemoryBound: 0
; FloatMode: 240
; IeeeMode: 1
; LDSByteSize: 0 bytes/workgroup (compile time only)
; SGPRBlocks: 0
; VGPRBlocks: 3
; NumSGPRsForWavesPerEU: 30
; NumVGPRsForWavesPerEU: 26
; Occupancy: 16
; WaveLimiterHint : 1
; COMPUTE_PGM_RSRC2:SCRATCH_EN: 0
; COMPUTE_PGM_RSRC2:USER_SGPR: 2
; COMPUTE_PGM_RSRC2:TRAP_HANDLER: 0
; COMPUTE_PGM_RSRC2:TGID_X_EN: 1
; COMPUTE_PGM_RSRC2:TGID_Y_EN: 0
; COMPUTE_PGM_RSRC2:TGID_Z_EN: 0
; COMPUTE_PGM_RSRC2:TIDIG_COMP_CNT: 0
	.section	.text._ZN2at6native12_GLOBAL__N_119compute_grad_weightIN3c108BFloat16EiEEvPKT0_PKT_S7_llS7_PKlPNS_14AccumulateTypeIS8_Lb1EE4typeEl,"axG",@progbits,_ZN2at6native12_GLOBAL__N_119compute_grad_weightIN3c108BFloat16EiEEvPKT0_PKT_S7_llS7_PKlPNS_14AccumulateTypeIS8_Lb1EE4typeEl,comdat
	.globl	_ZN2at6native12_GLOBAL__N_119compute_grad_weightIN3c108BFloat16EiEEvPKT0_PKT_S7_llS7_PKlPNS_14AccumulateTypeIS8_Lb1EE4typeEl ; -- Begin function _ZN2at6native12_GLOBAL__N_119compute_grad_weightIN3c108BFloat16EiEEvPKT0_PKT_S7_llS7_PKlPNS_14AccumulateTypeIS8_Lb1EE4typeEl
	.p2align	8
	.type	_ZN2at6native12_GLOBAL__N_119compute_grad_weightIN3c108BFloat16EiEEvPKT0_PKT_S7_llS7_PKlPNS_14AccumulateTypeIS8_Lb1EE4typeEl,@function
_ZN2at6native12_GLOBAL__N_119compute_grad_weightIN3c108BFloat16EiEEvPKT0_PKT_S7_llS7_PKlPNS_14AccumulateTypeIS8_Lb1EE4typeEl: ; @_ZN2at6native12_GLOBAL__N_119compute_grad_weightIN3c108BFloat16EiEEvPKT0_PKT_S7_llS7_PKlPNS_14AccumulateTypeIS8_Lb1EE4typeEl
; %bb.0:
	s_clause 0x2
	s_load_b32 s20, s[0:1], 0x54
	s_load_b64 s[2:3], s[0:1], 0x40
	s_load_b512 s[4:19], s[0:1], 0x0
	v_mov_b32_e32 v1, 0
	s_delay_alu instid0(VALU_DEP_1) | instskip(SKIP_2) | instid1(SALU_CYCLE_1)
	v_mov_b32_e32 v4, v1
	s_wait_kmcnt 0x0
	s_and_b32 s0, s20, 0xffff
	v_mad_co_u64_u32 v[2:3], null, s0, ttmp9, v[0:1]
                                        ; implicit-def: $vgpr0_vgpr1
	s_mov_b32 s0, exec_lo
	v_or_b32_e32 v5, s3, v3
	s_delay_alu instid0(VALU_DEP_1)
	v_cmpx_ne_u64_e32 0, v[4:5]
	s_wait_alu 0xfffe
	s_xor_b32 s1, exec_lo, s0
	s_cbranch_execz .LBB94_2
; %bb.1:
	s_ashr_i32 s20, s3, 31
	s_mov_b32 s31, 0
	s_mov_b32 s21, s20
	v_ashrrev_i32_e32 v8, 31, v3
	s_add_nc_u64 s[22:23], s[2:3], s[20:21]
	s_delay_alu instid0(SALU_CYCLE_1) | instskip(NEXT) | instid1(VALU_DEP_1)
	s_xor_b64 s[22:23], s[22:23], s[20:21]
	v_add_co_u32 v0, vcc_lo, v2, v8
	s_cvt_f32_u32 s0, s22
	s_cvt_f32_u32 s11, s23
	s_sub_nc_u64 s[26:27], 0, s[22:23]
	v_add_co_ci_u32_e64 v1, null, v3, v8, vcc_lo
	s_wait_alu 0xfffe
	s_fmamk_f32 s0, s11, 0x4f800000, s0
	v_xor_b32_e32 v9, v0, v8
	s_delay_alu instid0(VALU_DEP_2) | instskip(SKIP_2) | instid1(TRANS32_DEP_1)
	v_xor_b32_e32 v10, v1, v8
	s_wait_alu 0xfffe
	v_s_rcp_f32 s0, s0
	s_mul_f32 s0, s0, 0x5f7ffffc
	s_wait_alu 0xfffe
	s_delay_alu instid0(SALU_CYCLE_2) | instskip(NEXT) | instid1(SALU_CYCLE_3)
	s_mul_f32 s11, s0, 0x2f800000
	s_trunc_f32 s11, s11
	s_delay_alu instid0(SALU_CYCLE_3) | instskip(SKIP_2) | instid1(SALU_CYCLE_1)
	s_fmamk_f32 s0, s11, 0xcf800000, s0
	s_cvt_u32_f32 s25, s11
	s_wait_alu 0xfffe
	s_cvt_u32_f32 s24, s0
	s_delay_alu instid0(SALU_CYCLE_3) | instskip(NEXT) | instid1(SALU_CYCLE_1)
	s_mul_u64 s[28:29], s[26:27], s[24:25]
	s_mul_hi_u32 s35, s24, s29
	s_mul_i32 s34, s24, s29
	s_mul_hi_u32 s30, s24, s28
	s_mul_i32 s11, s25, s28
	s_add_nc_u64 s[34:35], s[30:31], s[34:35]
	s_mul_hi_u32 s0, s25, s28
	s_mul_hi_u32 s21, s25, s29
	s_add_co_u32 s11, s34, s11
	s_wait_alu 0xfffe
	s_add_co_ci_u32 s30, s35, s0
	s_mul_i32 s28, s25, s29
	s_add_co_ci_u32 s29, s21, 0
	s_delay_alu instid0(SALU_CYCLE_1) | instskip(NEXT) | instid1(SALU_CYCLE_1)
	s_add_nc_u64 s[28:29], s[30:31], s[28:29]
	s_add_co_u32 s24, s24, s28
	s_cselect_b32 s0, -1, 0
	s_wait_alu 0xfffe
	s_cmp_lg_u32 s0, 0
	s_add_co_ci_u32 s25, s25, s29
	s_delay_alu instid0(SALU_CYCLE_1) | instskip(NEXT) | instid1(SALU_CYCLE_1)
	s_mul_u64 s[26:27], s[26:27], s[24:25]
	s_mul_hi_u32 s29, s24, s27
	s_mul_i32 s28, s24, s27
	s_mul_hi_u32 s30, s24, s26
	s_mul_i32 s11, s25, s26
	s_add_nc_u64 s[28:29], s[30:31], s[28:29]
	s_mul_hi_u32 s0, s25, s26
	s_mul_hi_u32 s21, s25, s27
	s_add_co_u32 s11, s28, s11
	s_wait_alu 0xfffe
	s_add_co_ci_u32 s30, s29, s0
	s_mul_i32 s26, s25, s27
	s_add_co_ci_u32 s27, s21, 0
	s_delay_alu instid0(SALU_CYCLE_1) | instskip(NEXT) | instid1(SALU_CYCLE_1)
	s_add_nc_u64 s[26:27], s[30:31], s[26:27]
	s_add_co_u32 s0, s24, s26
	s_cselect_b32 s11, -1, 0
	s_wait_alu 0xfffe
	v_mul_hi_u32 v11, v9, s0
	s_cmp_lg_u32 s11, 0
	v_mad_co_u64_u32 v[4:5], null, v10, s0, 0
	s_add_co_ci_u32 s11, s25, s27
	s_delay_alu instid0(SALU_CYCLE_1) | instskip(SKIP_1) | instid1(VALU_DEP_2)
	v_mad_co_u64_u32 v[0:1], null, v9, s11, 0
	v_mad_co_u64_u32 v[6:7], null, v10, s11, 0
	v_add_co_u32 v0, vcc_lo, v11, v0
	s_wait_alu 0xfffd
	s_delay_alu instid0(VALU_DEP_3) | instskip(NEXT) | instid1(VALU_DEP_2)
	v_add_co_ci_u32_e64 v1, null, 0, v1, vcc_lo
	v_add_co_u32 v0, vcc_lo, v0, v4
	s_wait_alu 0xfffd
	s_delay_alu instid0(VALU_DEP_2) | instskip(SKIP_2) | instid1(VALU_DEP_2)
	v_add_co_ci_u32_e32 v0, vcc_lo, v1, v5, vcc_lo
	s_wait_alu 0xfffd
	v_add_co_ci_u32_e32 v1, vcc_lo, 0, v7, vcc_lo
	v_add_co_u32 v4, vcc_lo, v0, v6
	s_wait_alu 0xfffd
	s_delay_alu instid0(VALU_DEP_2) | instskip(NEXT) | instid1(VALU_DEP_2)
	v_add_co_ci_u32_e64 v5, null, 0, v1, vcc_lo
	v_mul_lo_u32 v6, s23, v4
	v_mad_co_u64_u32 v[0:1], null, s22, v4, 0
	s_delay_alu instid0(VALU_DEP_3) | instskip(NEXT) | instid1(VALU_DEP_2)
	v_mul_lo_u32 v7, s22, v5
	v_sub_co_u32 v0, vcc_lo, v9, v0
	s_delay_alu instid0(VALU_DEP_2) | instskip(SKIP_3) | instid1(VALU_DEP_3)
	v_add3_u32 v1, v1, v7, v6
	v_add_co_u32 v7, s0, v4, 2
	s_wait_alu 0xf1ff
	v_add_co_ci_u32_e64 v9, null, 0, v5, s0
	v_sub_nc_u32_e32 v6, v10, v1
	v_sub_co_u32 v11, s0, v0, s22
	s_wait_alu 0xfffd
	v_sub_co_ci_u32_e64 v1, null, v10, v1, vcc_lo
	s_delay_alu instid0(VALU_DEP_3) | instskip(NEXT) | instid1(VALU_DEP_3)
	v_subrev_co_ci_u32_e64 v6, null, s23, v6, vcc_lo
	v_cmp_le_u32_e32 vcc_lo, s22, v11
	s_wait_alu 0xf1ff
	s_delay_alu instid0(VALU_DEP_2) | instskip(SKIP_2) | instid1(VALU_DEP_2)
	v_subrev_co_ci_u32_e64 v6, null, 0, v6, s0
	s_wait_alu 0xfffd
	v_cndmask_b32_e64 v10, 0, -1, vcc_lo
	v_cmp_le_u32_e32 vcc_lo, s23, v6
	s_wait_alu 0xfffd
	v_cndmask_b32_e64 v11, 0, -1, vcc_lo
	v_cmp_le_u32_e32 vcc_lo, s22, v0
	;; [unrolled: 3-line block ×3, first 2 shown]
	s_wait_alu 0xfffd
	v_cndmask_b32_e64 v12, 0, -1, vcc_lo
	v_cmp_eq_u32_e32 vcc_lo, s23, v6
	s_wait_alu 0xfffd
	v_cndmask_b32_e32 v6, v11, v10, vcc_lo
	v_add_co_u32 v10, vcc_lo, v4, 1
	s_wait_alu 0xfffd
	v_add_co_ci_u32_e64 v11, null, 0, v5, vcc_lo
	v_cmp_eq_u32_e32 vcc_lo, s23, v1
	s_wait_alu 0xfffd
	v_cndmask_b32_e32 v0, v12, v0, vcc_lo
	v_cmp_ne_u32_e32 vcc_lo, 0, v6
	v_xor_b32_e32 v6, s20, v8
	s_wait_alu 0xfffd
	v_cndmask_b32_e32 v1, v11, v9, vcc_lo
	v_cmp_ne_u32_e64 s0, 0, v0
	v_cndmask_b32_e32 v0, v10, v7, vcc_lo
	s_wait_alu 0xf1ff
	s_delay_alu instid0(VALU_DEP_2) | instskip(NEXT) | instid1(VALU_DEP_2)
	v_cndmask_b32_e64 v1, v5, v1, s0
	v_cndmask_b32_e64 v0, v4, v0, s0
	s_delay_alu instid0(VALU_DEP_2) | instskip(NEXT) | instid1(VALU_DEP_2)
	v_xor_b32_e32 v1, v1, v6
	v_xor_b32_e32 v0, v0, v6
	s_delay_alu instid0(VALU_DEP_1) | instskip(SKIP_1) | instid1(VALU_DEP_3)
	v_sub_co_u32 v0, vcc_lo, v0, v6
	s_wait_alu 0xfffd
	v_sub_co_ci_u32_e64 v1, null, v1, v6, vcc_lo
.LBB94_2:
	s_wait_alu 0xfffe
	s_or_saveexec_b32 s0, s1
	s_load_b64 s[16:17], s[16:17], 0x0
	s_xor_b32 exec_lo, exec_lo, s0
	s_cbranch_execz .LBB94_4
; %bb.3:
	v_cvt_f32_u32_e32 v0, s2
	s_sub_co_i32 s1, 0, s2
	s_delay_alu instid0(VALU_DEP_1) | instskip(NEXT) | instid1(TRANS32_DEP_1)
	v_rcp_iflag_f32_e32 v0, v0
	v_mul_f32_e32 v0, 0x4f7ffffe, v0
	s_delay_alu instid0(VALU_DEP_1) | instskip(SKIP_1) | instid1(VALU_DEP_1)
	v_cvt_u32_f32_e32 v0, v0
	s_wait_alu 0xfffe
	v_mul_lo_u32 v1, s1, v0
	s_delay_alu instid0(VALU_DEP_1) | instskip(NEXT) | instid1(VALU_DEP_1)
	v_mul_hi_u32 v1, v0, v1
	v_add_nc_u32_e32 v0, v0, v1
	s_delay_alu instid0(VALU_DEP_1) | instskip(NEXT) | instid1(VALU_DEP_1)
	v_mul_hi_u32 v0, v2, v0
	v_mul_lo_u32 v1, v0, s2
	v_add_nc_u32_e32 v4, 1, v0
	s_delay_alu instid0(VALU_DEP_2) | instskip(NEXT) | instid1(VALU_DEP_1)
	v_sub_nc_u32_e32 v1, v2, v1
	v_subrev_nc_u32_e32 v5, s2, v1
	v_cmp_le_u32_e32 vcc_lo, s2, v1
	s_wait_alu 0xfffd
	s_delay_alu instid0(VALU_DEP_2) | instskip(NEXT) | instid1(VALU_DEP_1)
	v_dual_cndmask_b32 v1, v1, v5 :: v_dual_cndmask_b32 v0, v0, v4
	v_cmp_le_u32_e32 vcc_lo, s2, v1
	s_delay_alu instid0(VALU_DEP_2) | instskip(SKIP_1) | instid1(VALU_DEP_1)
	v_dual_mov_b32 v1, 0 :: v_dual_add_nc_u32 v4, 1, v0
	s_wait_alu 0xfffd
	v_cndmask_b32_e32 v0, v0, v4, vcc_lo
.LBB94_4:
	s_or_b32 exec_lo, exec_lo, s0
	s_delay_alu instid0(VALU_DEP_2) | instskip(NEXT) | instid1(VALU_DEP_2)
	v_mul_lo_u32 v6, v1, s2
	v_mul_lo_u32 v7, v0, s3
	v_mad_co_u64_u32 v[4:5], null, v0, s2, 0
	s_wait_kmcnt 0x0
	v_cmp_gt_i64_e64 s0, s[16:17], v[0:1]
	s_delay_alu instid0(VALU_DEP_2) | instskip(NEXT) | instid1(VALU_DEP_3)
	v_add3_u32 v5, v5, v7, v6
	v_sub_co_u32 v2, vcc_lo, v2, v4
	s_wait_alu 0xfffd
	s_delay_alu instid0(VALU_DEP_2) | instskip(NEXT) | instid1(VALU_DEP_1)
	v_sub_co_ci_u32_e64 v3, null, v3, v5, vcc_lo
	v_cmp_gt_i64_e32 vcc_lo, s[12:13], v[2:3]
	s_and_b32 s0, vcc_lo, s0
	s_wait_alu 0xfffe
	s_and_saveexec_b32 s1, s0
	s_cbranch_execz .LBB94_17
; %bb.5:
	v_lshlrev_b64_e32 v[5:6], 2, v[0:1]
	s_add_nc_u64 s[0:1], s[16:17], -1
                                        ; implicit-def: $vgpr9
	s_delay_alu instid0(VALU_DEP_1) | instskip(SKIP_1) | instid1(VALU_DEP_2)
	v_add_co_u32 v5, vcc_lo, s14, v5
	s_wait_alu 0xfffd
	v_add_co_ci_u32_e64 v6, null, s15, v6, vcc_lo
	s_wait_alu 0xfffe
	v_cmp_ne_u64_e32 vcc_lo, s[0:1], v[0:1]
	global_load_b32 v4, v[5:6], off
	s_and_saveexec_b32 s0, vcc_lo
	s_wait_alu 0xfffe
	s_xor_b32 s0, exec_lo, s0
	s_cbranch_execz .LBB94_7
; %bb.6:
	global_load_b32 v9, v[5:6], off offset:4
.LBB94_7:
	s_wait_alu 0xfffe
	s_and_not1_saveexec_b32 s0, s0
	s_cbranch_execz .LBB94_9
; %bb.8:
	s_wait_loadcnt 0x0
	v_mov_b32_e32 v9, s10
.LBB94_9:
	s_wait_alu 0xfffe
	s_or_b32 exec_lo, exec_lo, s0
	v_mov_b32_e32 v10, 0
	s_mov_b32 s1, exec_lo
	s_wait_loadcnt 0x0
	v_cmpx_lt_i32_e64 v4, v9
	s_cbranch_execz .LBB94_16
; %bb.10:
	v_ashrrev_i32_e32 v5, 31, v4
	v_lshlrev_b64_e32 v[6:7], 1, v[2:3]
	v_mov_b32_e32 v10, 0
	s_cmp_lg_u64 s[8:9], 0
	s_mov_b32 s3, 0
	v_lshlrev_b64_e32 v[13:14], 2, v[4:5]
	s_cselect_b32 s2, -1, 0
	v_add_co_u32 v11, vcc_lo, s6, v6
	s_wait_alu 0xfffd
	v_add_co_ci_u32_e64 v12, null, s7, v7, vcc_lo
	s_delay_alu instid0(VALU_DEP_3)
	v_add_co_u32 v5, vcc_lo, s4, v13
	s_wait_alu 0xfffd
	v_add_co_ci_u32_e64 v6, null, s5, v14, vcc_lo
	v_add_co_u32 v7, vcc_lo, s8, v13
	s_wait_alu 0xfffd
	v_add_co_ci_u32_e64 v8, null, s9, v14, vcc_lo
	s_branch .LBB94_13
.LBB94_11:                              ;   in Loop: Header=BB94_13 Depth=1
	global_load_b32 v13, v[7:8], off
	s_wait_loadcnt 0x0
	v_cvt_f32_i32_e32 v13, v13
	s_delay_alu instid0(VALU_DEP_1) | instskip(NEXT) | instid1(VALU_DEP_1)
	v_div_scale_f32 v15, null, v13, v13, 1.0
	v_rcp_f32_e32 v16, v15
	s_delay_alu instid0(TRANS32_DEP_1) | instskip(NEXT) | instid1(VALU_DEP_1)
	v_fma_f32 v17, -v15, v16, 1.0
	v_fmac_f32_e32 v16, v17, v16
	v_div_scale_f32 v17, vcc_lo, 1.0, v13, 1.0
	s_delay_alu instid0(VALU_DEP_1) | instskip(NEXT) | instid1(VALU_DEP_1)
	v_mul_f32_e32 v18, v17, v16
	v_fma_f32 v19, -v15, v18, v17
	s_delay_alu instid0(VALU_DEP_1) | instskip(NEXT) | instid1(VALU_DEP_1)
	v_fmac_f32_e32 v18, v19, v16
	v_fma_f32 v15, -v15, v18, v17
	s_wait_alu 0xfffd
	s_delay_alu instid0(VALU_DEP_1) | instskip(NEXT) | instid1(VALU_DEP_1)
	v_div_fmas_f32 v15, v15, v16, v18
	v_div_fixup_f32 v13, v15, v13, 1.0
.LBB94_12:                              ;   in Loop: Header=BB94_13 Depth=1
	s_wait_loadcnt 0x0
	v_ashrrev_i32_e32 v16, 31, v14
	v_mul_lo_u32 v17, s13, v14
	v_mad_co_u64_u32 v[14:15], null, s12, v14, 0
	v_add_nc_u32_e32 v4, 1, v4
	s_delay_alu instid0(VALU_DEP_4) | instskip(SKIP_3) | instid1(VALU_DEP_3)
	v_mul_lo_u32 v16, s12, v16
	v_add_co_u32 v7, s0, v7, 4
	s_wait_alu 0xf1ff
	v_add_co_ci_u32_e64 v8, null, 0, v8, s0
	v_add3_u32 v15, v15, v16, v17
	s_delay_alu instid0(VALU_DEP_1) | instskip(NEXT) | instid1(VALU_DEP_1)
	v_lshlrev_b64_e32 v[14:15], 1, v[14:15]
	v_add_co_u32 v14, vcc_lo, v11, v14
	s_wait_alu 0xfffd
	s_delay_alu instid0(VALU_DEP_2)
	v_add_co_ci_u32_e64 v15, null, v12, v15, vcc_lo
	v_add_co_u32 v5, vcc_lo, v5, 4
	s_wait_alu 0xfffd
	v_add_co_ci_u32_e64 v6, null, 0, v6, vcc_lo
	global_load_u16 v14, v[14:15], off
	v_cmp_ge_i32_e32 vcc_lo, v4, v9
	s_or_b32 s3, vcc_lo, s3
	s_wait_loadcnt 0x0
	v_lshlrev_b32_e32 v14, 16, v14
	s_delay_alu instid0(VALU_DEP_1)
	v_fmac_f32_e32 v10, v13, v14
	s_wait_alu 0xfffe
	s_and_not1_b32 exec_lo, exec_lo, s3
	s_cbranch_execz .LBB94_15
.LBB94_13:                              ; =>This Inner Loop Header: Depth=1
	global_load_b32 v14, v[5:6], off
	s_wait_alu 0xfffe
	s_and_not1_b32 vcc_lo, exec_lo, s2
	s_wait_alu 0xfffe
	s_cbranch_vccz .LBB94_11
; %bb.14:                               ;   in Loop: Header=BB94_13 Depth=1
	v_mov_b32_e32 v13, 1.0
	s_branch .LBB94_12
.LBB94_15:
	s_or_b32 exec_lo, exec_lo, s3
.LBB94_16:
	s_wait_alu 0xfffe
	s_or_b32 exec_lo, exec_lo, s1
	v_mul_lo_u32 v4, v1, s12
	v_mul_lo_u32 v5, v0, s13
	v_mad_co_u64_u32 v[0:1], null, v0, s12, 0
	v_lshlrev_b64_e32 v[2:3], 2, v[2:3]
	s_delay_alu instid0(VALU_DEP_2) | instskip(NEXT) | instid1(VALU_DEP_1)
	v_add3_u32 v1, v1, v5, v4
	v_lshlrev_b64_e32 v[0:1], 2, v[0:1]
	s_delay_alu instid0(VALU_DEP_1) | instskip(SKIP_1) | instid1(VALU_DEP_2)
	v_add_co_u32 v0, vcc_lo, s18, v0
	s_wait_alu 0xfffd
	v_add_co_ci_u32_e64 v1, null, s19, v1, vcc_lo
	s_delay_alu instid0(VALU_DEP_2) | instskip(SKIP_1) | instid1(VALU_DEP_2)
	v_add_co_u32 v0, vcc_lo, v0, v2
	s_wait_alu 0xfffd
	v_add_co_ci_u32_e64 v1, null, v1, v3, vcc_lo
	global_store_b32 v[0:1], v10, off
.LBB94_17:
	s_endpgm
	.section	.rodata,"a",@progbits
	.p2align	6, 0x0
	.amdhsa_kernel _ZN2at6native12_GLOBAL__N_119compute_grad_weightIN3c108BFloat16EiEEvPKT0_PKT_S7_llS7_PKlPNS_14AccumulateTypeIS8_Lb1EE4typeEl
		.amdhsa_group_segment_fixed_size 0
		.amdhsa_private_segment_fixed_size 0
		.amdhsa_kernarg_size 328
		.amdhsa_user_sgpr_count 2
		.amdhsa_user_sgpr_dispatch_ptr 0
		.amdhsa_user_sgpr_queue_ptr 0
		.amdhsa_user_sgpr_kernarg_segment_ptr 1
		.amdhsa_user_sgpr_dispatch_id 0
		.amdhsa_user_sgpr_private_segment_size 0
		.amdhsa_wavefront_size32 1
		.amdhsa_uses_dynamic_stack 0
		.amdhsa_enable_private_segment 0
		.amdhsa_system_sgpr_workgroup_id_x 1
		.amdhsa_system_sgpr_workgroup_id_y 0
		.amdhsa_system_sgpr_workgroup_id_z 0
		.amdhsa_system_sgpr_workgroup_info 0
		.amdhsa_system_vgpr_workitem_id 0
		.amdhsa_next_free_vgpr 20
		.amdhsa_next_free_sgpr 36
		.amdhsa_reserve_vcc 1
		.amdhsa_float_round_mode_32 0
		.amdhsa_float_round_mode_16_64 0
		.amdhsa_float_denorm_mode_32 3
		.amdhsa_float_denorm_mode_16_64 3
		.amdhsa_fp16_overflow 0
		.amdhsa_workgroup_processor_mode 1
		.amdhsa_memory_ordered 1
		.amdhsa_forward_progress 1
		.amdhsa_inst_pref_size 14
		.amdhsa_round_robin_scheduling 0
		.amdhsa_exception_fp_ieee_invalid_op 0
		.amdhsa_exception_fp_denorm_src 0
		.amdhsa_exception_fp_ieee_div_zero 0
		.amdhsa_exception_fp_ieee_overflow 0
		.amdhsa_exception_fp_ieee_underflow 0
		.amdhsa_exception_fp_ieee_inexact 0
		.amdhsa_exception_int_div_zero 0
	.end_amdhsa_kernel
	.section	.text._ZN2at6native12_GLOBAL__N_119compute_grad_weightIN3c108BFloat16EiEEvPKT0_PKT_S7_llS7_PKlPNS_14AccumulateTypeIS8_Lb1EE4typeEl,"axG",@progbits,_ZN2at6native12_GLOBAL__N_119compute_grad_weightIN3c108BFloat16EiEEvPKT0_PKT_S7_llS7_PKlPNS_14AccumulateTypeIS8_Lb1EE4typeEl,comdat
.Lfunc_end94:
	.size	_ZN2at6native12_GLOBAL__N_119compute_grad_weightIN3c108BFloat16EiEEvPKT0_PKT_S7_llS7_PKlPNS_14AccumulateTypeIS8_Lb1EE4typeEl, .Lfunc_end94-_ZN2at6native12_GLOBAL__N_119compute_grad_weightIN3c108BFloat16EiEEvPKT0_PKT_S7_llS7_PKlPNS_14AccumulateTypeIS8_Lb1EE4typeEl
                                        ; -- End function
	.set _ZN2at6native12_GLOBAL__N_119compute_grad_weightIN3c108BFloat16EiEEvPKT0_PKT_S7_llS7_PKlPNS_14AccumulateTypeIS8_Lb1EE4typeEl.num_vgpr, 20
	.set _ZN2at6native12_GLOBAL__N_119compute_grad_weightIN3c108BFloat16EiEEvPKT0_PKT_S7_llS7_PKlPNS_14AccumulateTypeIS8_Lb1EE4typeEl.num_agpr, 0
	.set _ZN2at6native12_GLOBAL__N_119compute_grad_weightIN3c108BFloat16EiEEvPKT0_PKT_S7_llS7_PKlPNS_14AccumulateTypeIS8_Lb1EE4typeEl.numbered_sgpr, 36
	.set _ZN2at6native12_GLOBAL__N_119compute_grad_weightIN3c108BFloat16EiEEvPKT0_PKT_S7_llS7_PKlPNS_14AccumulateTypeIS8_Lb1EE4typeEl.num_named_barrier, 0
	.set _ZN2at6native12_GLOBAL__N_119compute_grad_weightIN3c108BFloat16EiEEvPKT0_PKT_S7_llS7_PKlPNS_14AccumulateTypeIS8_Lb1EE4typeEl.private_seg_size, 0
	.set _ZN2at6native12_GLOBAL__N_119compute_grad_weightIN3c108BFloat16EiEEvPKT0_PKT_S7_llS7_PKlPNS_14AccumulateTypeIS8_Lb1EE4typeEl.uses_vcc, 1
	.set _ZN2at6native12_GLOBAL__N_119compute_grad_weightIN3c108BFloat16EiEEvPKT0_PKT_S7_llS7_PKlPNS_14AccumulateTypeIS8_Lb1EE4typeEl.uses_flat_scratch, 0
	.set _ZN2at6native12_GLOBAL__N_119compute_grad_weightIN3c108BFloat16EiEEvPKT0_PKT_S7_llS7_PKlPNS_14AccumulateTypeIS8_Lb1EE4typeEl.has_dyn_sized_stack, 0
	.set _ZN2at6native12_GLOBAL__N_119compute_grad_weightIN3c108BFloat16EiEEvPKT0_PKT_S7_llS7_PKlPNS_14AccumulateTypeIS8_Lb1EE4typeEl.has_recursion, 0
	.set _ZN2at6native12_GLOBAL__N_119compute_grad_weightIN3c108BFloat16EiEEvPKT0_PKT_S7_llS7_PKlPNS_14AccumulateTypeIS8_Lb1EE4typeEl.has_indirect_call, 0
	.section	.AMDGPU.csdata,"",@progbits
; Kernel info:
; codeLenInByte = 1760
; TotalNumSgprs: 38
; NumVgprs: 20
; ScratchSize: 0
; MemoryBound: 0
; FloatMode: 240
; IeeeMode: 1
; LDSByteSize: 0 bytes/workgroup (compile time only)
; SGPRBlocks: 0
; VGPRBlocks: 2
; NumSGPRsForWavesPerEU: 38
; NumVGPRsForWavesPerEU: 20
; Occupancy: 16
; WaveLimiterHint : 1
; COMPUTE_PGM_RSRC2:SCRATCH_EN: 0
; COMPUTE_PGM_RSRC2:USER_SGPR: 2
; COMPUTE_PGM_RSRC2:TRAP_HANDLER: 0
; COMPUTE_PGM_RSRC2:TGID_X_EN: 1
; COMPUTE_PGM_RSRC2:TGID_Y_EN: 0
; COMPUTE_PGM_RSRC2:TGID_Z_EN: 0
; COMPUTE_PGM_RSRC2:TIDIG_COMP_CNT: 0
	.section	.text._ZN2at6native12_GLOBAL__N_115sum_and_scatterIN3c108BFloat16EiEEvPKT0_PT_lS7_PKlPKNS_14AccumulateTypeIS8_Lb1EE4typeES7_SB_ll,"axG",@progbits,_ZN2at6native12_GLOBAL__N_115sum_and_scatterIN3c108BFloat16EiEEvPKT0_PT_lS7_PKlPKNS_14AccumulateTypeIS8_Lb1EE4typeES7_SB_ll,comdat
	.globl	_ZN2at6native12_GLOBAL__N_115sum_and_scatterIN3c108BFloat16EiEEvPKT0_PT_lS7_PKlPKNS_14AccumulateTypeIS8_Lb1EE4typeES7_SB_ll ; -- Begin function _ZN2at6native12_GLOBAL__N_115sum_and_scatterIN3c108BFloat16EiEEvPKT0_PT_lS7_PKlPKNS_14AccumulateTypeIS8_Lb1EE4typeES7_SB_ll
	.p2align	8
	.type	_ZN2at6native12_GLOBAL__N_115sum_and_scatterIN3c108BFloat16EiEEvPKT0_PT_lS7_PKlPKNS_14AccumulateTypeIS8_Lb1EE4typeES7_SB_ll,@function
_ZN2at6native12_GLOBAL__N_115sum_and_scatterIN3c108BFloat16EiEEvPKT0_PT_lS7_PKlPKNS_14AccumulateTypeIS8_Lb1EE4typeES7_SB_ll: ; @_ZN2at6native12_GLOBAL__N_115sum_and_scatterIN3c108BFloat16EiEEvPKT0_PT_lS7_PKlPKNS_14AccumulateTypeIS8_Lb1EE4typeES7_SB_ll
; %bb.0:
	s_clause 0x2
	s_load_b32 s2, s[0:1], 0x5c
	s_load_b128 s[20:23], s[0:1], 0x40
	s_load_b512 s[4:19], s[0:1], 0x0
	v_mov_b32_e32 v1, 0
                                        ; implicit-def: $vgpr8_vgpr9
	s_delay_alu instid0(VALU_DEP_1) | instskip(SKIP_2) | instid1(SALU_CYCLE_1)
	v_mov_b32_e32 v4, v1
	s_wait_kmcnt 0x0
	s_and_b32 s0, s2, 0xffff
	v_mad_co_u64_u32 v[2:3], null, s0, ttmp9, v[0:1]
	s_mov_b32 s0, exec_lo
	v_or_b32_e32 v5, s23, v3
	s_delay_alu instid0(VALU_DEP_1)
	v_cmpx_ne_u64_e32 0, v[4:5]
	s_wait_alu 0xfffe
	s_xor_b32 s1, exec_lo, s0
	s_cbranch_execz .LBB95_2
; %bb.1:
	s_ashr_i32 s2, s23, 31
	s_mov_b32 s35, 0
	s_mov_b32 s3, s2
	v_ashrrev_i32_e32 v8, 31, v3
	s_add_nc_u64 s[24:25], s[22:23], s[2:3]
	s_delay_alu instid0(SALU_CYCLE_1) | instskip(NEXT) | instid1(VALU_DEP_1)
	s_xor_b64 s[24:25], s[24:25], s[2:3]
	v_add_co_u32 v0, vcc_lo, v2, v8
	s_cvt_f32_u32 s0, s24
	s_cvt_f32_u32 s3, s25
	s_sub_nc_u64 s[28:29], 0, s[24:25]
	v_add_co_ci_u32_e64 v1, null, v3, v8, vcc_lo
	s_wait_alu 0xfffe
	s_fmamk_f32 s0, s3, 0x4f800000, s0
	v_xor_b32_e32 v9, v0, v8
	s_delay_alu instid0(VALU_DEP_2) | instskip(SKIP_2) | instid1(TRANS32_DEP_1)
	v_xor_b32_e32 v10, v1, v8
	s_wait_alu 0xfffe
	v_s_rcp_f32 s0, s0
	s_mul_f32 s0, s0, 0x5f7ffffc
	s_wait_alu 0xfffe
	s_delay_alu instid0(SALU_CYCLE_2) | instskip(NEXT) | instid1(SALU_CYCLE_3)
	s_mul_f32 s3, s0, 0x2f800000
	s_trunc_f32 s3, s3
	s_delay_alu instid0(SALU_CYCLE_3) | instskip(SKIP_2) | instid1(SALU_CYCLE_1)
	s_fmamk_f32 s0, s3, 0xcf800000, s0
	s_cvt_u32_f32 s27, s3
	s_wait_alu 0xfffe
	s_cvt_u32_f32 s26, s0
	s_delay_alu instid0(SALU_CYCLE_3) | instskip(NEXT) | instid1(SALU_CYCLE_1)
	s_mul_u64 s[30:31], s[28:29], s[26:27]
	s_mul_hi_u32 s37, s26, s31
	s_mul_i32 s36, s26, s31
	s_mul_hi_u32 s34, s26, s30
	s_mul_i32 s3, s27, s30
	s_add_nc_u64 s[36:37], s[34:35], s[36:37]
	s_mul_hi_u32 s0, s27, s30
	s_mul_hi_u32 s33, s27, s31
	s_add_co_u32 s3, s36, s3
	s_wait_alu 0xfffe
	s_add_co_ci_u32 s34, s37, s0
	s_mul_i32 s30, s27, s31
	s_add_co_ci_u32 s31, s33, 0
	s_delay_alu instid0(SALU_CYCLE_1) | instskip(NEXT) | instid1(SALU_CYCLE_1)
	s_add_nc_u64 s[30:31], s[34:35], s[30:31]
	s_add_co_u32 s26, s26, s30
	s_cselect_b32 s0, -1, 0
	s_wait_alu 0xfffe
	s_cmp_lg_u32 s0, 0
	s_add_co_ci_u32 s27, s27, s31
	s_delay_alu instid0(SALU_CYCLE_1) | instskip(NEXT) | instid1(SALU_CYCLE_1)
	s_mul_u64 s[28:29], s[28:29], s[26:27]
	s_mul_hi_u32 s31, s26, s29
	s_mul_i32 s30, s26, s29
	s_mul_hi_u32 s34, s26, s28
	s_mul_i32 s3, s27, s28
	s_add_nc_u64 s[30:31], s[34:35], s[30:31]
	s_mul_hi_u32 s0, s27, s28
	s_mul_hi_u32 s33, s27, s29
	s_add_co_u32 s3, s30, s3
	s_wait_alu 0xfffe
	s_add_co_ci_u32 s34, s31, s0
	s_mul_i32 s28, s27, s29
	s_add_co_ci_u32 s29, s33, 0
	s_delay_alu instid0(SALU_CYCLE_1) | instskip(NEXT) | instid1(SALU_CYCLE_1)
	s_add_nc_u64 s[28:29], s[34:35], s[28:29]
	s_add_co_u32 s0, s26, s28
	s_cselect_b32 s3, -1, 0
	s_wait_alu 0xfffe
	v_mul_hi_u32 v11, v9, s0
	s_cmp_lg_u32 s3, 0
	v_mad_co_u64_u32 v[4:5], null, v10, s0, 0
	s_add_co_ci_u32 s3, s27, s29
	s_delay_alu instid0(SALU_CYCLE_1) | instskip(SKIP_1) | instid1(VALU_DEP_2)
	v_mad_co_u64_u32 v[0:1], null, v9, s3, 0
	v_mad_co_u64_u32 v[6:7], null, v10, s3, 0
	v_add_co_u32 v0, vcc_lo, v11, v0
	s_wait_alu 0xfffd
	s_delay_alu instid0(VALU_DEP_3) | instskip(NEXT) | instid1(VALU_DEP_2)
	v_add_co_ci_u32_e64 v1, null, 0, v1, vcc_lo
	v_add_co_u32 v0, vcc_lo, v0, v4
	s_wait_alu 0xfffd
	s_delay_alu instid0(VALU_DEP_2) | instskip(SKIP_2) | instid1(VALU_DEP_2)
	v_add_co_ci_u32_e32 v0, vcc_lo, v1, v5, vcc_lo
	s_wait_alu 0xfffd
	v_add_co_ci_u32_e32 v1, vcc_lo, 0, v7, vcc_lo
	v_add_co_u32 v4, vcc_lo, v0, v6
	s_wait_alu 0xfffd
	s_delay_alu instid0(VALU_DEP_2) | instskip(NEXT) | instid1(VALU_DEP_2)
	v_add_co_ci_u32_e64 v5, null, 0, v1, vcc_lo
	v_mul_lo_u32 v6, s25, v4
	v_mad_co_u64_u32 v[0:1], null, s24, v4, 0
	s_delay_alu instid0(VALU_DEP_3) | instskip(NEXT) | instid1(VALU_DEP_2)
	v_mul_lo_u32 v7, s24, v5
	v_sub_co_u32 v0, vcc_lo, v9, v0
	s_delay_alu instid0(VALU_DEP_2) | instskip(SKIP_3) | instid1(VALU_DEP_3)
	v_add3_u32 v1, v1, v7, v6
	v_add_co_u32 v7, s0, v4, 2
	s_wait_alu 0xf1ff
	v_add_co_ci_u32_e64 v9, null, 0, v5, s0
	v_sub_nc_u32_e32 v6, v10, v1
	v_sub_co_u32 v11, s0, v0, s24
	s_wait_alu 0xfffd
	v_sub_co_ci_u32_e64 v1, null, v10, v1, vcc_lo
	s_delay_alu instid0(VALU_DEP_3) | instskip(NEXT) | instid1(VALU_DEP_3)
	v_subrev_co_ci_u32_e64 v6, null, s25, v6, vcc_lo
	v_cmp_le_u32_e32 vcc_lo, s24, v11
	s_wait_alu 0xf1ff
	s_delay_alu instid0(VALU_DEP_2) | instskip(SKIP_2) | instid1(VALU_DEP_2)
	v_subrev_co_ci_u32_e64 v6, null, 0, v6, s0
	s_wait_alu 0xfffd
	v_cndmask_b32_e64 v10, 0, -1, vcc_lo
	v_cmp_le_u32_e32 vcc_lo, s25, v6
	s_wait_alu 0xfffd
	v_cndmask_b32_e64 v11, 0, -1, vcc_lo
	v_cmp_le_u32_e32 vcc_lo, s24, v0
	;; [unrolled: 3-line block ×3, first 2 shown]
	s_wait_alu 0xfffd
	v_cndmask_b32_e64 v12, 0, -1, vcc_lo
	v_cmp_eq_u32_e32 vcc_lo, s25, v6
	s_wait_alu 0xfffd
	v_cndmask_b32_e32 v6, v11, v10, vcc_lo
	v_add_co_u32 v10, vcc_lo, v4, 1
	s_wait_alu 0xfffd
	v_add_co_ci_u32_e64 v11, null, 0, v5, vcc_lo
	v_cmp_eq_u32_e32 vcc_lo, s25, v1
	s_wait_alu 0xfffd
	v_cndmask_b32_e32 v0, v12, v0, vcc_lo
	v_cmp_ne_u32_e32 vcc_lo, 0, v6
	v_xor_b32_e32 v6, s2, v8
	s_wait_alu 0xfffd
	v_cndmask_b32_e32 v1, v11, v9, vcc_lo
	v_cmp_ne_u32_e64 s0, 0, v0
	v_cndmask_b32_e32 v0, v10, v7, vcc_lo
	s_wait_alu 0xf1ff
	s_delay_alu instid0(VALU_DEP_2) | instskip(NEXT) | instid1(VALU_DEP_2)
	v_cndmask_b32_e64 v1, v5, v1, s0
	v_cndmask_b32_e64 v0, v4, v0, s0
	s_delay_alu instid0(VALU_DEP_2) | instskip(NEXT) | instid1(VALU_DEP_2)
	v_xor_b32_e32 v1, v1, v6
	v_xor_b32_e32 v0, v0, v6
	s_delay_alu instid0(VALU_DEP_1) | instskip(SKIP_1) | instid1(VALU_DEP_3)
	v_sub_co_u32 v8, vcc_lo, v0, v6
	s_wait_alu 0xfffd
	v_sub_co_ci_u32_e64 v9, null, v1, v6, vcc_lo
.LBB95_2:
	s_wait_alu 0xfffe
	s_or_saveexec_b32 s0, s1
	s_load_b64 s[2:3], s[12:13], 0x0
	s_xor_b32 exec_lo, exec_lo, s0
	s_cbranch_execz .LBB95_4
; %bb.3:
	v_cvt_f32_u32_e32 v0, s22
	s_sub_co_i32 s1, 0, s22
	v_mov_b32_e32 v9, 0
	s_delay_alu instid0(VALU_DEP_2) | instskip(NEXT) | instid1(TRANS32_DEP_1)
	v_rcp_iflag_f32_e32 v0, v0
	v_mul_f32_e32 v0, 0x4f7ffffe, v0
	s_delay_alu instid0(VALU_DEP_1) | instskip(SKIP_1) | instid1(VALU_DEP_1)
	v_cvt_u32_f32_e32 v0, v0
	s_wait_alu 0xfffe
	v_mul_lo_u32 v1, s1, v0
	s_delay_alu instid0(VALU_DEP_1) | instskip(NEXT) | instid1(VALU_DEP_1)
	v_mul_hi_u32 v1, v0, v1
	v_add_nc_u32_e32 v0, v0, v1
	s_delay_alu instid0(VALU_DEP_1) | instskip(NEXT) | instid1(VALU_DEP_1)
	v_mul_hi_u32 v0, v2, v0
	v_mul_lo_u32 v1, v0, s22
	v_add_nc_u32_e32 v4, 1, v0
	s_delay_alu instid0(VALU_DEP_2) | instskip(NEXT) | instid1(VALU_DEP_1)
	v_sub_nc_u32_e32 v1, v2, v1
	v_subrev_nc_u32_e32 v5, s22, v1
	v_cmp_le_u32_e32 vcc_lo, s22, v1
	s_wait_alu 0xfffd
	s_delay_alu instid0(VALU_DEP_2) | instskip(NEXT) | instid1(VALU_DEP_1)
	v_dual_cndmask_b32 v1, v1, v5 :: v_dual_cndmask_b32 v0, v0, v4
	v_cmp_le_u32_e32 vcc_lo, s22, v1
	s_delay_alu instid0(VALU_DEP_2) | instskip(SKIP_1) | instid1(VALU_DEP_1)
	v_add_nc_u32_e32 v4, 1, v0
	s_wait_alu 0xfffd
	v_cndmask_b32_e32 v8, v0, v4, vcc_lo
.LBB95_4:
	s_or_b32 exec_lo, exec_lo, s0
	v_mul_lo_u32 v0, v9, s22
	s_delay_alu instid0(VALU_DEP_2) | instskip(SKIP_3) | instid1(VALU_DEP_2)
	v_mul_lo_u32 v1, v8, s23
	v_mad_co_u64_u32 v[6:7], null, v8, s22, 0
	s_wait_kmcnt 0x0
	v_cmp_gt_i64_e64 s0, s[2:3], v[8:9]
	v_add3_u32 v7, v7, v1, v0
	s_delay_alu instid0(VALU_DEP_3) | instskip(SKIP_1) | instid1(VALU_DEP_2)
	v_sub_co_u32 v0, vcc_lo, v2, v6
	s_wait_alu 0xfffd
	v_sub_co_ci_u32_e64 v1, null, v3, v7, vcc_lo
	s_delay_alu instid0(VALU_DEP_1)
	v_cmp_gt_i64_e32 vcc_lo, s[8:9], v[0:1]
	s_and_b32 s0, vcc_lo, s0
	s_wait_alu 0xfffe
	s_and_saveexec_b32 s1, s0
	s_cbranch_execz .LBB95_13
; %bb.5:
	v_lshlrev_b64_e32 v[4:5], 2, v[8:9]
	s_load_b64 s[0:1], s[18:19], 0x0
	s_add_nc_u64 s[2:3], s[2:3], -1
	s_delay_alu instid0(VALU_DEP_1) | instskip(SKIP_1) | instid1(VALU_DEP_2)
	v_add_co_u32 v10, vcc_lo, s16, v4
	s_wait_alu 0xfffd
	v_add_co_ci_u32_e64 v11, null, s17, v5, vcc_lo
	s_wait_alu 0xfffe
	v_cmp_ne_u64_e32 vcc_lo, s[2:3], v[8:9]
	global_load_b32 v12, v[10:11], off
	s_wait_kmcnt 0x0
	v_mov_b32_e32 v9, s0
	s_and_saveexec_b32 s0, vcc_lo
	s_wait_alu 0xfffe
	s_xor_b32 s0, exec_lo, s0
	s_cbranch_execz .LBB95_7
; %bb.6:
	global_load_b32 v9, v[10:11], off offset:4
.LBB95_7:
	s_wait_alu 0xfffe
	s_and_not1_saveexec_b32 s0, s0
	s_wait_alu 0xfffe
	s_or_b32 exec_lo, exec_lo, s0
	v_mov_b32_e32 v8, 0
	s_mov_b32 s1, exec_lo
	s_wait_loadcnt 0x0
	v_cmpx_lt_i32_e64 v12, v9
	s_cbranch_execz .LBB95_11
; %bb.8:
	v_ashrrev_i32_e32 v8, 31, v12
	v_mul_lo_u32 v13, s9, v12
	v_mad_co_u64_u32 v[10:11], null, s8, v12, 0
	v_lshlrev_b64_e32 v[2:3], 2, v[2:3]
	s_delay_alu instid0(VALU_DEP_4) | instskip(SKIP_3) | instid1(VALU_DEP_2)
	v_mul_lo_u32 v8, s8, v8
	v_lshlrev_b64_e32 v[6:7], 2, v[6:7]
	s_lshl_b64 s[2:3], s[8:9], 2
	s_mov_b32 s12, 0
	v_add3_u32 v11, v11, v8, v13
	v_mov_b32_e32 v8, 0
	s_delay_alu instid0(VALU_DEP_2) | instskip(NEXT) | instid1(VALU_DEP_1)
	v_lshlrev_b64_e32 v[10:11], 2, v[10:11]
	v_add_co_u32 v2, vcc_lo, v10, v2
	s_wait_alu 0xfffd
	s_delay_alu instid0(VALU_DEP_2) | instskip(NEXT) | instid1(VALU_DEP_2)
	v_add_co_ci_u32_e64 v3, null, v11, v3, vcc_lo
	v_sub_co_u32 v2, vcc_lo, v2, v6
	s_wait_alu 0xfffd
	s_delay_alu instid0(VALU_DEP_2) | instskip(NEXT) | instid1(VALU_DEP_2)
	v_sub_co_ci_u32_e64 v3, null, v3, v7, vcc_lo
	v_add_co_u32 v2, vcc_lo, s14, v2
	s_wait_alu 0xfffd
	s_delay_alu instid0(VALU_DEP_2)
	v_add_co_ci_u32_e64 v3, null, s15, v3, vcc_lo
.LBB95_9:                               ; =>This Inner Loop Header: Depth=1
	global_load_b32 v6, v[2:3], off
	v_add_nc_u32_e32 v12, 1, v12
	s_wait_alu 0xfffe
	v_add_co_u32 v2, vcc_lo, v2, s2
	s_wait_alu 0xfffd
	v_add_co_ci_u32_e64 v3, null, s3, v3, vcc_lo
	v_cmp_ge_i32_e64 s0, v12, v9
	s_or_b32 s12, s0, s12
	s_wait_loadcnt 0x0
	v_add_f32_e32 v8, v8, v6
	s_and_not1_b32 exec_lo, exec_lo, s12
	s_cbranch_execnz .LBB95_9
; %bb.10:
	s_or_b32 exec_lo, exec_lo, s12
.LBB95_11:
	s_wait_alu 0xfffe
	s_or_b32 exec_lo, exec_lo, s1
	v_add_co_u32 v2, vcc_lo, s10, v4
	s_wait_alu 0xfffd
	v_add_co_ci_u32_e64 v3, null, s11, v5, vcc_lo
	global_load_b32 v2, v[2:3], off
	s_wait_loadcnt 0x0
	v_ashrrev_i32_e32 v3, 31, v2
	s_delay_alu instid0(VALU_DEP_1) | instskip(NEXT) | instid1(VALU_DEP_1)
	v_lshlrev_b64_e32 v[2:3], 2, v[2:3]
	v_add_co_u32 v2, vcc_lo, s4, v2
	s_wait_alu 0xfffd
	s_delay_alu instid0(VALU_DEP_2) | instskip(SKIP_3) | instid1(VALU_DEP_1)
	v_add_co_ci_u32_e64 v3, null, s5, v3, vcc_lo
	global_load_b32 v2, v[2:3], off
	s_wait_loadcnt 0x0
	v_ashrrev_i32_e32 v3, 31, v2
	v_cmp_ne_u64_e32 vcc_lo, s[20:21], v[2:3]
	s_and_b32 exec_lo, exec_lo, vcc_lo
	s_cbranch_execz .LBB95_13
; %bb.12:
	v_mul_lo_u32 v4, s9, v2
	v_mul_lo_u32 v5, s8, v3
	v_mad_co_u64_u32 v[2:3], null, s8, v2, 0
	v_bfe_u32 v6, v8, 16, 1
	v_lshlrev_b64_e32 v[0:1], 1, v[0:1]
	s_delay_alu instid0(VALU_DEP_3) | instskip(NEXT) | instid1(VALU_DEP_3)
	v_add3_u32 v3, v3, v5, v4
	v_add3_u32 v4, v8, v6, 0x7fff
	s_delay_alu instid0(VALU_DEP_2) | instskip(NEXT) | instid1(VALU_DEP_2)
	v_lshlrev_b64_e32 v[2:3], 1, v[2:3]
	v_lshrrev_b32_e32 v4, 16, v4
	s_delay_alu instid0(VALU_DEP_2) | instskip(SKIP_1) | instid1(VALU_DEP_3)
	v_add_co_u32 v2, vcc_lo, s6, v2
	s_wait_alu 0xfffd
	v_add_co_ci_u32_e64 v3, null, s7, v3, vcc_lo
	v_cmp_o_f32_e32 vcc_lo, v8, v8
	s_wait_alu 0xfffd
	v_cndmask_b32_e32 v4, 0x7fc0, v4, vcc_lo
	v_add_co_u32 v0, vcc_lo, v2, v0
	s_wait_alu 0xfffd
	v_add_co_ci_u32_e64 v1, null, v3, v1, vcc_lo
	global_store_b16 v[0:1], v4, off
.LBB95_13:
	s_endpgm
	.section	.rodata,"a",@progbits
	.p2align	6, 0x0
	.amdhsa_kernel _ZN2at6native12_GLOBAL__N_115sum_and_scatterIN3c108BFloat16EiEEvPKT0_PT_lS7_PKlPKNS_14AccumulateTypeIS8_Lb1EE4typeES7_SB_ll
		.amdhsa_group_segment_fixed_size 0
		.amdhsa_private_segment_fixed_size 0
		.amdhsa_kernarg_size 336
		.amdhsa_user_sgpr_count 2
		.amdhsa_user_sgpr_dispatch_ptr 0
		.amdhsa_user_sgpr_queue_ptr 0
		.amdhsa_user_sgpr_kernarg_segment_ptr 1
		.amdhsa_user_sgpr_dispatch_id 0
		.amdhsa_user_sgpr_private_segment_size 0
		.amdhsa_wavefront_size32 1
		.amdhsa_uses_dynamic_stack 0
		.amdhsa_enable_private_segment 0
		.amdhsa_system_sgpr_workgroup_id_x 1
		.amdhsa_system_sgpr_workgroup_id_y 0
		.amdhsa_system_sgpr_workgroup_id_z 0
		.amdhsa_system_sgpr_workgroup_info 0
		.amdhsa_system_vgpr_workitem_id 0
		.amdhsa_next_free_vgpr 14
		.amdhsa_next_free_sgpr 38
		.amdhsa_reserve_vcc 1
		.amdhsa_float_round_mode_32 0
		.amdhsa_float_round_mode_16_64 0
		.amdhsa_float_denorm_mode_32 3
		.amdhsa_float_denorm_mode_16_64 3
		.amdhsa_fp16_overflow 0
		.amdhsa_workgroup_processor_mode 1
		.amdhsa_memory_ordered 1
		.amdhsa_forward_progress 1
		.amdhsa_inst_pref_size 14
		.amdhsa_round_robin_scheduling 0
		.amdhsa_exception_fp_ieee_invalid_op 0
		.amdhsa_exception_fp_denorm_src 0
		.amdhsa_exception_fp_ieee_div_zero 0
		.amdhsa_exception_fp_ieee_overflow 0
		.amdhsa_exception_fp_ieee_underflow 0
		.amdhsa_exception_fp_ieee_inexact 0
		.amdhsa_exception_int_div_zero 0
	.end_amdhsa_kernel
	.section	.text._ZN2at6native12_GLOBAL__N_115sum_and_scatterIN3c108BFloat16EiEEvPKT0_PT_lS7_PKlPKNS_14AccumulateTypeIS8_Lb1EE4typeES7_SB_ll,"axG",@progbits,_ZN2at6native12_GLOBAL__N_115sum_and_scatterIN3c108BFloat16EiEEvPKT0_PT_lS7_PKlPKNS_14AccumulateTypeIS8_Lb1EE4typeES7_SB_ll,comdat
.Lfunc_end95:
	.size	_ZN2at6native12_GLOBAL__N_115sum_and_scatterIN3c108BFloat16EiEEvPKT0_PT_lS7_PKlPKNS_14AccumulateTypeIS8_Lb1EE4typeES7_SB_ll, .Lfunc_end95-_ZN2at6native12_GLOBAL__N_115sum_and_scatterIN3c108BFloat16EiEEvPKT0_PT_lS7_PKlPKNS_14AccumulateTypeIS8_Lb1EE4typeES7_SB_ll
                                        ; -- End function
	.set _ZN2at6native12_GLOBAL__N_115sum_and_scatterIN3c108BFloat16EiEEvPKT0_PT_lS7_PKlPKNS_14AccumulateTypeIS8_Lb1EE4typeES7_SB_ll.num_vgpr, 14
	.set _ZN2at6native12_GLOBAL__N_115sum_and_scatterIN3c108BFloat16EiEEvPKT0_PT_lS7_PKlPKNS_14AccumulateTypeIS8_Lb1EE4typeES7_SB_ll.num_agpr, 0
	.set _ZN2at6native12_GLOBAL__N_115sum_and_scatterIN3c108BFloat16EiEEvPKT0_PT_lS7_PKlPKNS_14AccumulateTypeIS8_Lb1EE4typeES7_SB_ll.numbered_sgpr, 38
	.set _ZN2at6native12_GLOBAL__N_115sum_and_scatterIN3c108BFloat16EiEEvPKT0_PT_lS7_PKlPKNS_14AccumulateTypeIS8_Lb1EE4typeES7_SB_ll.num_named_barrier, 0
	.set _ZN2at6native12_GLOBAL__N_115sum_and_scatterIN3c108BFloat16EiEEvPKT0_PT_lS7_PKlPKNS_14AccumulateTypeIS8_Lb1EE4typeES7_SB_ll.private_seg_size, 0
	.set _ZN2at6native12_GLOBAL__N_115sum_and_scatterIN3c108BFloat16EiEEvPKT0_PT_lS7_PKlPKNS_14AccumulateTypeIS8_Lb1EE4typeES7_SB_ll.uses_vcc, 1
	.set _ZN2at6native12_GLOBAL__N_115sum_and_scatterIN3c108BFloat16EiEEvPKT0_PT_lS7_PKlPKNS_14AccumulateTypeIS8_Lb1EE4typeES7_SB_ll.uses_flat_scratch, 0
	.set _ZN2at6native12_GLOBAL__N_115sum_and_scatterIN3c108BFloat16EiEEvPKT0_PT_lS7_PKlPKNS_14AccumulateTypeIS8_Lb1EE4typeES7_SB_ll.has_dyn_sized_stack, 0
	.set _ZN2at6native12_GLOBAL__N_115sum_and_scatterIN3c108BFloat16EiEEvPKT0_PT_lS7_PKlPKNS_14AccumulateTypeIS8_Lb1EE4typeES7_SB_ll.has_recursion, 0
	.set _ZN2at6native12_GLOBAL__N_115sum_and_scatterIN3c108BFloat16EiEEvPKT0_PT_lS7_PKlPKNS_14AccumulateTypeIS8_Lb1EE4typeES7_SB_ll.has_indirect_call, 0
	.section	.AMDGPU.csdata,"",@progbits
; Kernel info:
; codeLenInByte = 1700
; TotalNumSgprs: 40
; NumVgprs: 14
; ScratchSize: 0
; MemoryBound: 0
; FloatMode: 240
; IeeeMode: 1
; LDSByteSize: 0 bytes/workgroup (compile time only)
; SGPRBlocks: 0
; VGPRBlocks: 1
; NumSGPRsForWavesPerEU: 40
; NumVGPRsForWavesPerEU: 14
; Occupancy: 16
; WaveLimiterHint : 1
; COMPUTE_PGM_RSRC2:SCRATCH_EN: 0
; COMPUTE_PGM_RSRC2:USER_SGPR: 2
; COMPUTE_PGM_RSRC2:TRAP_HANDLER: 0
; COMPUTE_PGM_RSRC2:TGID_X_EN: 1
; COMPUTE_PGM_RSRC2:TGID_Y_EN: 0
; COMPUTE_PGM_RSRC2:TGID_Z_EN: 0
; COMPUTE_PGM_RSRC2:TIDIG_COMP_CNT: 0
	.section	.text._ZN2at6native12_GLOBAL__N_124krn_partials_per_segmentIlEEvPT_PKS3_PKll,"axG",@progbits,_ZN2at6native12_GLOBAL__N_124krn_partials_per_segmentIlEEvPT_PKS3_PKll,comdat
	.globl	_ZN2at6native12_GLOBAL__N_124krn_partials_per_segmentIlEEvPT_PKS3_PKll ; -- Begin function _ZN2at6native12_GLOBAL__N_124krn_partials_per_segmentIlEEvPT_PKS3_PKll
	.p2align	8
	.type	_ZN2at6native12_GLOBAL__N_124krn_partials_per_segmentIlEEvPT_PKS3_PKll,@function
_ZN2at6native12_GLOBAL__N_124krn_partials_per_segmentIlEEvPT_PKS3_PKll: ; @_ZN2at6native12_GLOBAL__N_124krn_partials_per_segmentIlEEvPT_PKS3_PKll
; %bb.0:
	s_clause 0x1
	s_load_b256 s[4:11], s[0:1], 0x0
	s_load_b32 s2, s[0:1], 0x2c
	s_wait_kmcnt 0x0
	s_load_b64 s[0:1], s[8:9], 0x0
	s_and_b32 s2, s2, 0xffff
	s_delay_alu instid0(SALU_CYCLE_1) | instskip(SKIP_3) | instid1(VALU_DEP_1)
	v_mad_co_u64_u32 v[2:3], null, ttmp9, s2, v[0:1]
	s_mov_b32 s2, exec_lo
	v_ashrrev_i32_e32 v3, 31, v2
	s_wait_kmcnt 0x0
	v_cmpx_gt_i64_e64 s[0:1], v[2:3]
	s_cbranch_execz .LBB96_4
; %bb.1:
	v_lshlrev_b64_e32 v[0:1], 3, v[2:3]
	s_add_nc_u64 s[0:1], s[0:1], -1
	s_delay_alu instid0(VALU_DEP_1) | instskip(NEXT) | instid1(VALU_DEP_1)
	v_add_co_u32 v6, vcc_lo, s6, v0
	v_add_co_ci_u32_e64 v7, null, s7, v1, vcc_lo
	s_wait_alu 0xfffe
	v_cmp_ne_u64_e32 vcc_lo, s[0:1], v[2:3]
	v_dual_mov_b32 v2, s10 :: v_dual_mov_b32 v3, s11
	global_load_b64 v[4:5], v[6:7], off
	s_and_saveexec_b32 s0, vcc_lo
	s_cbranch_execz .LBB96_3
; %bb.2:
	global_load_b64 v[2:3], v[6:7], off offset:8
.LBB96_3:
	s_wait_alu 0xfffe
	s_or_b32 exec_lo, exec_lo, s0
	s_wait_loadcnt 0x0
	v_sub_co_u32 v2, vcc_lo, v2, v4
	s_wait_alu 0xfffd
	v_sub_co_ci_u32_e64 v3, null, v3, v5, vcc_lo
	s_delay_alu instid0(VALU_DEP_2) | instskip(SKIP_1) | instid1(VALU_DEP_2)
	v_add_co_u32 v6, vcc_lo, v2, 9
	s_wait_alu 0xfffd
	v_add_co_ci_u32_e64 v7, null, 0, v3, vcc_lo
	v_mov_b32_e32 v3, 0
	s_delay_alu instid0(VALU_DEP_3) | instskip(NEXT) | instid1(VALU_DEP_1)
	v_mul_hi_u32 v2, 0x66666667, v6
	v_mad_co_u64_u32 v[4:5], null, 0x66666667, v7, v[2:3]
	s_delay_alu instid0(VALU_DEP_1) | instskip(SKIP_1) | instid1(VALU_DEP_2)
	v_mov_b32_e32 v2, v4
	v_ashrrev_i32_e32 v4, 31, v7
	v_mad_co_u64_u32 v[2:3], null, 0x66666666, v6, v[2:3]
	s_delay_alu instid0(VALU_DEP_2) | instskip(NEXT) | instid1(VALU_DEP_2)
	v_mul_lo_u32 v6, 0x66666667, v4
	v_add_co_u32 v2, s0, v5, v3
	s_wait_alu 0xf1ff
	v_add_co_ci_u32_e64 v3, null, 0, 0, s0
	v_mul_lo_u32 v5, 0x66666666, v4
	s_delay_alu instid0(VALU_DEP_2) | instskip(NEXT) | instid1(VALU_DEP_1)
	v_mad_co_u64_u32 v[2:3], null, 0x66666666, v7, v[2:3]
	v_mad_co_u64_u32 v[2:3], null, 0x66666667, v4, v[2:3]
	s_delay_alu instid0(VALU_DEP_1) | instskip(NEXT) | instid1(VALU_DEP_1)
	v_add3_u32 v3, v6, v3, v5
	v_ashrrev_i64 v[4:5], 2, v[2:3]
	v_lshrrev_b32_e32 v2, 31, v3
	s_delay_alu instid0(VALU_DEP_1) | instskip(SKIP_1) | instid1(VALU_DEP_3)
	v_add_co_u32 v2, vcc_lo, v4, v2
	s_wait_alu 0xfffd
	v_add_co_ci_u32_e64 v3, null, 0, v5, vcc_lo
	v_add_co_u32 v0, vcc_lo, s4, v0
	s_wait_alu 0xfffd
	v_add_co_ci_u32_e64 v1, null, s5, v1, vcc_lo
	global_store_b64 v[0:1], v[2:3], off
.LBB96_4:
	s_endpgm
	.section	.rodata,"a",@progbits
	.p2align	6, 0x0
	.amdhsa_kernel _ZN2at6native12_GLOBAL__N_124krn_partials_per_segmentIlEEvPT_PKS3_PKll
		.amdhsa_group_segment_fixed_size 0
		.amdhsa_private_segment_fixed_size 0
		.amdhsa_kernarg_size 288
		.amdhsa_user_sgpr_count 2
		.amdhsa_user_sgpr_dispatch_ptr 0
		.amdhsa_user_sgpr_queue_ptr 0
		.amdhsa_user_sgpr_kernarg_segment_ptr 1
		.amdhsa_user_sgpr_dispatch_id 0
		.amdhsa_user_sgpr_private_segment_size 0
		.amdhsa_wavefront_size32 1
		.amdhsa_uses_dynamic_stack 0
		.amdhsa_enable_private_segment 0
		.amdhsa_system_sgpr_workgroup_id_x 1
		.amdhsa_system_sgpr_workgroup_id_y 0
		.amdhsa_system_sgpr_workgroup_id_z 0
		.amdhsa_system_sgpr_workgroup_info 0
		.amdhsa_system_vgpr_workitem_id 0
		.amdhsa_next_free_vgpr 8
		.amdhsa_next_free_sgpr 12
		.amdhsa_reserve_vcc 1
		.amdhsa_float_round_mode_32 0
		.amdhsa_float_round_mode_16_64 0
		.amdhsa_float_denorm_mode_32 3
		.amdhsa_float_denorm_mode_16_64 3
		.amdhsa_fp16_overflow 0
		.amdhsa_workgroup_processor_mode 1
		.amdhsa_memory_ordered 1
		.amdhsa_forward_progress 1
		.amdhsa_inst_pref_size 4
		.amdhsa_round_robin_scheduling 0
		.amdhsa_exception_fp_ieee_invalid_op 0
		.amdhsa_exception_fp_denorm_src 0
		.amdhsa_exception_fp_ieee_div_zero 0
		.amdhsa_exception_fp_ieee_overflow 0
		.amdhsa_exception_fp_ieee_underflow 0
		.amdhsa_exception_fp_ieee_inexact 0
		.amdhsa_exception_int_div_zero 0
	.end_amdhsa_kernel
	.section	.text._ZN2at6native12_GLOBAL__N_124krn_partials_per_segmentIlEEvPT_PKS3_PKll,"axG",@progbits,_ZN2at6native12_GLOBAL__N_124krn_partials_per_segmentIlEEvPT_PKS3_PKll,comdat
.Lfunc_end96:
	.size	_ZN2at6native12_GLOBAL__N_124krn_partials_per_segmentIlEEvPT_PKS3_PKll, .Lfunc_end96-_ZN2at6native12_GLOBAL__N_124krn_partials_per_segmentIlEEvPT_PKS3_PKll
                                        ; -- End function
	.set _ZN2at6native12_GLOBAL__N_124krn_partials_per_segmentIlEEvPT_PKS3_PKll.num_vgpr, 8
	.set _ZN2at6native12_GLOBAL__N_124krn_partials_per_segmentIlEEvPT_PKS3_PKll.num_agpr, 0
	.set _ZN2at6native12_GLOBAL__N_124krn_partials_per_segmentIlEEvPT_PKS3_PKll.numbered_sgpr, 12
	.set _ZN2at6native12_GLOBAL__N_124krn_partials_per_segmentIlEEvPT_PKS3_PKll.num_named_barrier, 0
	.set _ZN2at6native12_GLOBAL__N_124krn_partials_per_segmentIlEEvPT_PKS3_PKll.private_seg_size, 0
	.set _ZN2at6native12_GLOBAL__N_124krn_partials_per_segmentIlEEvPT_PKS3_PKll.uses_vcc, 1
	.set _ZN2at6native12_GLOBAL__N_124krn_partials_per_segmentIlEEvPT_PKS3_PKll.uses_flat_scratch, 0
	.set _ZN2at6native12_GLOBAL__N_124krn_partials_per_segmentIlEEvPT_PKS3_PKll.has_dyn_sized_stack, 0
	.set _ZN2at6native12_GLOBAL__N_124krn_partials_per_segmentIlEEvPT_PKS3_PKll.has_recursion, 0
	.set _ZN2at6native12_GLOBAL__N_124krn_partials_per_segmentIlEEvPT_PKS3_PKll.has_indirect_call, 0
	.section	.AMDGPU.csdata,"",@progbits
; Kernel info:
; codeLenInByte = 424
; TotalNumSgprs: 14
; NumVgprs: 8
; ScratchSize: 0
; MemoryBound: 0
; FloatMode: 240
; IeeeMode: 1
; LDSByteSize: 0 bytes/workgroup (compile time only)
; SGPRBlocks: 0
; VGPRBlocks: 0
; NumSGPRsForWavesPerEU: 14
; NumVGPRsForWavesPerEU: 8
; Occupancy: 16
; WaveLimiterHint : 0
; COMPUTE_PGM_RSRC2:SCRATCH_EN: 0
; COMPUTE_PGM_RSRC2:USER_SGPR: 2
; COMPUTE_PGM_RSRC2:TRAP_HANDLER: 0
; COMPUTE_PGM_RSRC2:TGID_X_EN: 1
; COMPUTE_PGM_RSRC2:TGID_Y_EN: 0
; COMPUTE_PGM_RSRC2:TGID_Z_EN: 0
; COMPUTE_PGM_RSRC2:TIDIG_COMP_CNT: 0
	.section	.text._ZN2at6native12_GLOBAL__N_131compute_num_of_partial_segmentsIlEEvPKT_S5_PKlPl,"axG",@progbits,_ZN2at6native12_GLOBAL__N_131compute_num_of_partial_segmentsIlEEvPKT_S5_PKlPl,comdat
	.globl	_ZN2at6native12_GLOBAL__N_131compute_num_of_partial_segmentsIlEEvPKT_S5_PKlPl ; -- Begin function _ZN2at6native12_GLOBAL__N_131compute_num_of_partial_segmentsIlEEvPKT_S5_PKlPl
	.p2align	8
	.type	_ZN2at6native12_GLOBAL__N_131compute_num_of_partial_segmentsIlEEvPKT_S5_PKlPl,@function
_ZN2at6native12_GLOBAL__N_131compute_num_of_partial_segmentsIlEEvPKT_S5_PKlPl: ; @_ZN2at6native12_GLOBAL__N_131compute_num_of_partial_segmentsIlEEvPKT_S5_PKlPl
; %bb.0:
	s_load_b256 s[0:7], s[0:1], 0x0
	s_wait_kmcnt 0x0
	s_load_b64 s[4:5], s[4:5], 0x0
	s_wait_kmcnt 0x0
	s_lshl_b64 s[4:5], s[4:5], 3
	s_delay_alu instid0(SALU_CYCLE_1)
	s_add_nc_u64 s[0:1], s[0:1], s[4:5]
	s_add_nc_u64 s[2:3], s[2:3], s[4:5]
	s_add_nc_u64 s[0:1], s[0:1], -8
	s_add_nc_u64 s[2:3], s[2:3], -8
	s_load_b64 s[0:1], s[0:1], 0x0
	s_load_b64 s[2:3], s[2:3], 0x0
	s_wait_kmcnt 0x0
	s_add_nc_u64 s[0:1], s[2:3], s[0:1]
	v_mov_b32_e32 v2, 0
	v_dual_mov_b32 v0, s0 :: v_dual_mov_b32 v1, s1
	global_store_b64 v2, v[0:1], s[6:7]
	s_endpgm
	.section	.rodata,"a",@progbits
	.p2align	6, 0x0
	.amdhsa_kernel _ZN2at6native12_GLOBAL__N_131compute_num_of_partial_segmentsIlEEvPKT_S5_PKlPl
		.amdhsa_group_segment_fixed_size 0
		.amdhsa_private_segment_fixed_size 0
		.amdhsa_kernarg_size 32
		.amdhsa_user_sgpr_count 2
		.amdhsa_user_sgpr_dispatch_ptr 0
		.amdhsa_user_sgpr_queue_ptr 0
		.amdhsa_user_sgpr_kernarg_segment_ptr 1
		.amdhsa_user_sgpr_dispatch_id 0
		.amdhsa_user_sgpr_private_segment_size 0
		.amdhsa_wavefront_size32 1
		.amdhsa_uses_dynamic_stack 0
		.amdhsa_enable_private_segment 0
		.amdhsa_system_sgpr_workgroup_id_x 1
		.amdhsa_system_sgpr_workgroup_id_y 0
		.amdhsa_system_sgpr_workgroup_id_z 0
		.amdhsa_system_sgpr_workgroup_info 0
		.amdhsa_system_vgpr_workitem_id 0
		.amdhsa_next_free_vgpr 3
		.amdhsa_next_free_sgpr 8
		.amdhsa_reserve_vcc 0
		.amdhsa_float_round_mode_32 0
		.amdhsa_float_round_mode_16_64 0
		.amdhsa_float_denorm_mode_32 3
		.amdhsa_float_denorm_mode_16_64 3
		.amdhsa_fp16_overflow 0
		.amdhsa_workgroup_processor_mode 1
		.amdhsa_memory_ordered 1
		.amdhsa_forward_progress 1
		.amdhsa_inst_pref_size 1
		.amdhsa_round_robin_scheduling 0
		.amdhsa_exception_fp_ieee_invalid_op 0
		.amdhsa_exception_fp_denorm_src 0
		.amdhsa_exception_fp_ieee_div_zero 0
		.amdhsa_exception_fp_ieee_overflow 0
		.amdhsa_exception_fp_ieee_underflow 0
		.amdhsa_exception_fp_ieee_inexact 0
		.amdhsa_exception_int_div_zero 0
	.end_amdhsa_kernel
	.section	.text._ZN2at6native12_GLOBAL__N_131compute_num_of_partial_segmentsIlEEvPKT_S5_PKlPl,"axG",@progbits,_ZN2at6native12_GLOBAL__N_131compute_num_of_partial_segmentsIlEEvPKT_S5_PKlPl,comdat
.Lfunc_end97:
	.size	_ZN2at6native12_GLOBAL__N_131compute_num_of_partial_segmentsIlEEvPKT_S5_PKlPl, .Lfunc_end97-_ZN2at6native12_GLOBAL__N_131compute_num_of_partial_segmentsIlEEvPKT_S5_PKlPl
                                        ; -- End function
	.set _ZN2at6native12_GLOBAL__N_131compute_num_of_partial_segmentsIlEEvPKT_S5_PKlPl.num_vgpr, 3
	.set _ZN2at6native12_GLOBAL__N_131compute_num_of_partial_segmentsIlEEvPKT_S5_PKlPl.num_agpr, 0
	.set _ZN2at6native12_GLOBAL__N_131compute_num_of_partial_segmentsIlEEvPKT_S5_PKlPl.numbered_sgpr, 8
	.set _ZN2at6native12_GLOBAL__N_131compute_num_of_partial_segmentsIlEEvPKT_S5_PKlPl.num_named_barrier, 0
	.set _ZN2at6native12_GLOBAL__N_131compute_num_of_partial_segmentsIlEEvPKT_S5_PKlPl.private_seg_size, 0
	.set _ZN2at6native12_GLOBAL__N_131compute_num_of_partial_segmentsIlEEvPKT_S5_PKlPl.uses_vcc, 0
	.set _ZN2at6native12_GLOBAL__N_131compute_num_of_partial_segmentsIlEEvPKT_S5_PKlPl.uses_flat_scratch, 0
	.set _ZN2at6native12_GLOBAL__N_131compute_num_of_partial_segmentsIlEEvPKT_S5_PKlPl.has_dyn_sized_stack, 0
	.set _ZN2at6native12_GLOBAL__N_131compute_num_of_partial_segmentsIlEEvPKT_S5_PKlPl.has_recursion, 0
	.set _ZN2at6native12_GLOBAL__N_131compute_num_of_partial_segmentsIlEEvPKT_S5_PKlPl.has_indirect_call, 0
	.section	.AMDGPU.csdata,"",@progbits
; Kernel info:
; codeLenInByte = 100
; TotalNumSgprs: 8
; NumVgprs: 3
; ScratchSize: 0
; MemoryBound: 1
; FloatMode: 240
; IeeeMode: 1
; LDSByteSize: 0 bytes/workgroup (compile time only)
; SGPRBlocks: 0
; VGPRBlocks: 0
; NumSGPRsForWavesPerEU: 8
; NumVGPRsForWavesPerEU: 3
; Occupancy: 16
; WaveLimiterHint : 1
; COMPUTE_PGM_RSRC2:SCRATCH_EN: 0
; COMPUTE_PGM_RSRC2:USER_SGPR: 2
; COMPUTE_PGM_RSRC2:TRAP_HANDLER: 0
; COMPUTE_PGM_RSRC2:TGID_X_EN: 1
; COMPUTE_PGM_RSRC2:TGID_Y_EN: 0
; COMPUTE_PGM_RSRC2:TGID_Z_EN: 0
; COMPUTE_PGM_RSRC2:TIDIG_COMP_CNT: 0
	.section	.text._ZN2at6native12_GLOBAL__N_126krn_partial_segment_offsetIlEEvPT_PKS3_S6_S6_PKl,"axG",@progbits,_ZN2at6native12_GLOBAL__N_126krn_partial_segment_offsetIlEEvPT_PKS3_S6_S6_PKl,comdat
	.globl	_ZN2at6native12_GLOBAL__N_126krn_partial_segment_offsetIlEEvPT_PKS3_S6_S6_PKl ; -- Begin function _ZN2at6native12_GLOBAL__N_126krn_partial_segment_offsetIlEEvPT_PKS3_S6_S6_PKl
	.p2align	8
	.type	_ZN2at6native12_GLOBAL__N_126krn_partial_segment_offsetIlEEvPT_PKS3_S6_S6_PKl,@function
_ZN2at6native12_GLOBAL__N_126krn_partial_segment_offsetIlEEvPT_PKS3_S6_S6_PKl: ; @_ZN2at6native12_GLOBAL__N_126krn_partial_segment_offsetIlEEvPT_PKS3_S6_S6_PKl
; %bb.0:
	s_clause 0x1
	s_load_b64 s[2:3], s[0:1], 0x20
	s_load_b32 s4, s[0:1], 0x34
	s_wait_kmcnt 0x0
	s_load_b64 s[2:3], s[2:3], 0x0
	s_and_b32 s4, s4, 0xffff
	s_delay_alu instid0(SALU_CYCLE_1) | instskip(NEXT) | instid1(VALU_DEP_1)
	v_mad_co_u64_u32 v[0:1], null, ttmp9, s4, v[0:1]
	v_ashrrev_i32_e32 v1, 31, v0
	s_wait_kmcnt 0x0
	s_delay_alu instid0(VALU_DEP_1)
	v_cmp_gt_i64_e32 vcc_lo, s[2:3], v[0:1]
	s_and_saveexec_b32 s2, vcc_lo
	s_cbranch_execz .LBB98_4
; %bb.1:
	s_load_b256 s[0:7], s[0:1], 0x0
	v_lshlrev_b64_e32 v[2:3], 3, v[0:1]
	s_wait_kmcnt 0x0
	s_delay_alu instid0(VALU_DEP_1) | instskip(NEXT) | instid1(VALU_DEP_1)
	v_add_co_u32 v0, vcc_lo, s2, v2
	v_add_co_ci_u32_e64 v1, null, s3, v3, vcc_lo
	global_load_b64 v[0:1], v[0:1], off
	s_wait_loadcnt 0x0
	v_cmp_lt_i64_e32 vcc_lo, 0, v[0:1]
	s_and_b32 exec_lo, exec_lo, vcc_lo
	s_cbranch_execz .LBB98_4
; %bb.2:
	v_add_co_u32 v4, vcc_lo, s4, v2
	s_wait_alu 0xfffd
	v_add_co_ci_u32_e64 v5, null, s5, v3, vcc_lo
	v_add_co_u32 v2, vcc_lo, s6, v2
	s_wait_alu 0xfffd
	v_add_co_ci_u32_e64 v3, null, s7, v3, vcc_lo
	global_load_b64 v[4:5], v[4:5], off
	global_load_b64 v[2:3], v[2:3], off
	s_wait_loadcnt 0x1
	v_lshlrev_b64_e32 v[4:5], 3, v[4:5]
	s_delay_alu instid0(VALU_DEP_1) | instskip(SKIP_1) | instid1(VALU_DEP_2)
	v_add_co_u32 v4, vcc_lo, s0, v4
	s_wait_alu 0xfffd
	v_add_co_ci_u32_e64 v5, null, s1, v5, vcc_lo
	s_mov_b32 s1, 0
.LBB98_3:                               ; =>This Inner Loop Header: Depth=1
	v_add_co_u32 v0, vcc_lo, v0, -1
	s_wait_alu 0xfffd
	v_add_co_ci_u32_e64 v1, null, -1, v1, vcc_lo
	s_wait_loadcnt 0x0
	global_store_b64 v[4:5], v[2:3], off
	v_add_co_u32 v2, vcc_lo, v2, 10
	s_wait_alu 0xfffd
	v_add_co_ci_u32_e64 v3, null, 0, v3, vcc_lo
	v_cmp_eq_u64_e32 vcc_lo, 0, v[0:1]
	v_add_co_u32 v4, s0, v4, 8
	s_wait_alu 0xf1ff
	v_add_co_ci_u32_e64 v5, null, 0, v5, s0
	s_wait_alu 0xfffe
	s_or_b32 s1, vcc_lo, s1
	s_wait_alu 0xfffe
	s_and_not1_b32 exec_lo, exec_lo, s1
	s_cbranch_execnz .LBB98_3
.LBB98_4:
	s_endpgm
	.section	.rodata,"a",@progbits
	.p2align	6, 0x0
	.amdhsa_kernel _ZN2at6native12_GLOBAL__N_126krn_partial_segment_offsetIlEEvPT_PKS3_S6_S6_PKl
		.amdhsa_group_segment_fixed_size 0
		.amdhsa_private_segment_fixed_size 0
		.amdhsa_kernarg_size 296
		.amdhsa_user_sgpr_count 2
		.amdhsa_user_sgpr_dispatch_ptr 0
		.amdhsa_user_sgpr_queue_ptr 0
		.amdhsa_user_sgpr_kernarg_segment_ptr 1
		.amdhsa_user_sgpr_dispatch_id 0
		.amdhsa_user_sgpr_private_segment_size 0
		.amdhsa_wavefront_size32 1
		.amdhsa_uses_dynamic_stack 0
		.amdhsa_enable_private_segment 0
		.amdhsa_system_sgpr_workgroup_id_x 1
		.amdhsa_system_sgpr_workgroup_id_y 0
		.amdhsa_system_sgpr_workgroup_id_z 0
		.amdhsa_system_sgpr_workgroup_info 0
		.amdhsa_system_vgpr_workitem_id 0
		.amdhsa_next_free_vgpr 6
		.amdhsa_next_free_sgpr 8
		.amdhsa_reserve_vcc 1
		.amdhsa_float_round_mode_32 0
		.amdhsa_float_round_mode_16_64 0
		.amdhsa_float_denorm_mode_32 3
		.amdhsa_float_denorm_mode_16_64 3
		.amdhsa_fp16_overflow 0
		.amdhsa_workgroup_processor_mode 1
		.amdhsa_memory_ordered 1
		.amdhsa_forward_progress 1
		.amdhsa_inst_pref_size 3
		.amdhsa_round_robin_scheduling 0
		.amdhsa_exception_fp_ieee_invalid_op 0
		.amdhsa_exception_fp_denorm_src 0
		.amdhsa_exception_fp_ieee_div_zero 0
		.amdhsa_exception_fp_ieee_overflow 0
		.amdhsa_exception_fp_ieee_underflow 0
		.amdhsa_exception_fp_ieee_inexact 0
		.amdhsa_exception_int_div_zero 0
	.end_amdhsa_kernel
	.section	.text._ZN2at6native12_GLOBAL__N_126krn_partial_segment_offsetIlEEvPT_PKS3_S6_S6_PKl,"axG",@progbits,_ZN2at6native12_GLOBAL__N_126krn_partial_segment_offsetIlEEvPT_PKS3_S6_S6_PKl,comdat
.Lfunc_end98:
	.size	_ZN2at6native12_GLOBAL__N_126krn_partial_segment_offsetIlEEvPT_PKS3_S6_S6_PKl, .Lfunc_end98-_ZN2at6native12_GLOBAL__N_126krn_partial_segment_offsetIlEEvPT_PKS3_S6_S6_PKl
                                        ; -- End function
	.set _ZN2at6native12_GLOBAL__N_126krn_partial_segment_offsetIlEEvPT_PKS3_S6_S6_PKl.num_vgpr, 6
	.set _ZN2at6native12_GLOBAL__N_126krn_partial_segment_offsetIlEEvPT_PKS3_S6_S6_PKl.num_agpr, 0
	.set _ZN2at6native12_GLOBAL__N_126krn_partial_segment_offsetIlEEvPT_PKS3_S6_S6_PKl.numbered_sgpr, 8
	.set _ZN2at6native12_GLOBAL__N_126krn_partial_segment_offsetIlEEvPT_PKS3_S6_S6_PKl.num_named_barrier, 0
	.set _ZN2at6native12_GLOBAL__N_126krn_partial_segment_offsetIlEEvPT_PKS3_S6_S6_PKl.private_seg_size, 0
	.set _ZN2at6native12_GLOBAL__N_126krn_partial_segment_offsetIlEEvPT_PKS3_S6_S6_PKl.uses_vcc, 1
	.set _ZN2at6native12_GLOBAL__N_126krn_partial_segment_offsetIlEEvPT_PKS3_S6_S6_PKl.uses_flat_scratch, 0
	.set _ZN2at6native12_GLOBAL__N_126krn_partial_segment_offsetIlEEvPT_PKS3_S6_S6_PKl.has_dyn_sized_stack, 0
	.set _ZN2at6native12_GLOBAL__N_126krn_partial_segment_offsetIlEEvPT_PKS3_S6_S6_PKl.has_recursion, 0
	.set _ZN2at6native12_GLOBAL__N_126krn_partial_segment_offsetIlEEvPT_PKS3_S6_S6_PKl.has_indirect_call, 0
	.section	.AMDGPU.csdata,"",@progbits
; Kernel info:
; codeLenInByte = 344
; TotalNumSgprs: 10
; NumVgprs: 6
; ScratchSize: 0
; MemoryBound: 0
; FloatMode: 240
; IeeeMode: 1
; LDSByteSize: 0 bytes/workgroup (compile time only)
; SGPRBlocks: 0
; VGPRBlocks: 0
; NumSGPRsForWavesPerEU: 10
; NumVGPRsForWavesPerEU: 6
; Occupancy: 16
; WaveLimiterHint : 0
; COMPUTE_PGM_RSRC2:SCRATCH_EN: 0
; COMPUTE_PGM_RSRC2:USER_SGPR: 2
; COMPUTE_PGM_RSRC2:TRAP_HANDLER: 0
; COMPUTE_PGM_RSRC2:TGID_X_EN: 1
; COMPUTE_PGM_RSRC2:TGID_Y_EN: 0
; COMPUTE_PGM_RSRC2:TGID_Z_EN: 0
; COMPUTE_PGM_RSRC2:TIDIG_COMP_CNT: 0
	.section	.text._ZN2at6native12_GLOBAL__N_126krn_partial_to_segment_idxIlEEvPT_PKS3_S6_PKl,"axG",@progbits,_ZN2at6native12_GLOBAL__N_126krn_partial_to_segment_idxIlEEvPT_PKS3_S6_PKl,comdat
	.globl	_ZN2at6native12_GLOBAL__N_126krn_partial_to_segment_idxIlEEvPT_PKS3_S6_PKl ; -- Begin function _ZN2at6native12_GLOBAL__N_126krn_partial_to_segment_idxIlEEvPT_PKS3_S6_PKl
	.p2align	8
	.type	_ZN2at6native12_GLOBAL__N_126krn_partial_to_segment_idxIlEEvPT_PKS3_S6_PKl,@function
_ZN2at6native12_GLOBAL__N_126krn_partial_to_segment_idxIlEEvPT_PKS3_S6_PKl: ; @_ZN2at6native12_GLOBAL__N_126krn_partial_to_segment_idxIlEEvPT_PKS3_S6_PKl
; %bb.0:
	s_clause 0x1
	s_load_b256 s[4:11], s[0:1], 0x0
	s_load_b32 s2, s[0:1], 0x2c
	s_wait_kmcnt 0x0
	s_load_b64 s[0:1], s[10:11], 0x0
	s_and_b32 s2, s2, 0xffff
	s_delay_alu instid0(SALU_CYCLE_1) | instskip(NEXT) | instid1(VALU_DEP_1)
	v_mad_co_u64_u32 v[0:1], null, ttmp9, s2, v[0:1]
	v_ashrrev_i32_e32 v1, 31, v0
	s_wait_kmcnt 0x0
	s_delay_alu instid0(VALU_DEP_1)
	v_cmp_gt_i64_e32 vcc_lo, s[0:1], v[0:1]
	s_and_saveexec_b32 s0, vcc_lo
	s_cbranch_execz .LBB99_4
; %bb.1:
	v_lshlrev_b64_e32 v[4:5], 3, v[0:1]
	s_delay_alu instid0(VALU_DEP_1) | instskip(NEXT) | instid1(VALU_DEP_1)
	v_add_co_u32 v2, vcc_lo, s6, v4
	v_add_co_ci_u32_e64 v3, null, s7, v5, vcc_lo
	global_load_b64 v[2:3], v[2:3], off
	s_wait_loadcnt 0x0
	v_cmp_lt_i64_e32 vcc_lo, 0, v[2:3]
	s_and_b32 exec_lo, exec_lo, vcc_lo
	s_cbranch_execz .LBB99_4
; %bb.2:
	v_add_co_u32 v4, vcc_lo, s8, v4
	s_wait_alu 0xfffd
	v_add_co_ci_u32_e64 v5, null, s9, v5, vcc_lo
	s_mov_b32 s1, 0
	global_load_b64 v[4:5], v[4:5], off
	s_wait_loadcnt 0x0
	v_lshlrev_b64_e32 v[4:5], 3, v[4:5]
	s_delay_alu instid0(VALU_DEP_1) | instskip(SKIP_1) | instid1(VALU_DEP_2)
	v_add_co_u32 v4, vcc_lo, s4, v4
	s_wait_alu 0xfffd
	v_add_co_ci_u32_e64 v5, null, s5, v5, vcc_lo
.LBB99_3:                               ; =>This Inner Loop Header: Depth=1
	v_add_co_u32 v2, vcc_lo, v2, -1
	s_wait_alu 0xfffd
	v_add_co_ci_u32_e64 v3, null, -1, v3, vcc_lo
	global_store_b64 v[4:5], v[0:1], off
	v_add_co_u32 v4, s0, v4, 8
	v_cmp_eq_u64_e32 vcc_lo, 0, v[2:3]
	s_wait_alu 0xf1fe
	v_add_co_ci_u32_e64 v5, null, 0, v5, s0
	s_or_b32 s1, vcc_lo, s1
	s_wait_alu 0xfffe
	s_and_not1_b32 exec_lo, exec_lo, s1
	s_cbranch_execnz .LBB99_3
.LBB99_4:
	s_endpgm
	.section	.rodata,"a",@progbits
	.p2align	6, 0x0
	.amdhsa_kernel _ZN2at6native12_GLOBAL__N_126krn_partial_to_segment_idxIlEEvPT_PKS3_S6_PKl
		.amdhsa_group_segment_fixed_size 0
		.amdhsa_private_segment_fixed_size 0
		.amdhsa_kernarg_size 288
		.amdhsa_user_sgpr_count 2
		.amdhsa_user_sgpr_dispatch_ptr 0
		.amdhsa_user_sgpr_queue_ptr 0
		.amdhsa_user_sgpr_kernarg_segment_ptr 1
		.amdhsa_user_sgpr_dispatch_id 0
		.amdhsa_user_sgpr_private_segment_size 0
		.amdhsa_wavefront_size32 1
		.amdhsa_uses_dynamic_stack 0
		.amdhsa_enable_private_segment 0
		.amdhsa_system_sgpr_workgroup_id_x 1
		.amdhsa_system_sgpr_workgroup_id_y 0
		.amdhsa_system_sgpr_workgroup_id_z 0
		.amdhsa_system_sgpr_workgroup_info 0
		.amdhsa_system_vgpr_workitem_id 0
		.amdhsa_next_free_vgpr 6
		.amdhsa_next_free_sgpr 12
		.amdhsa_reserve_vcc 1
		.amdhsa_float_round_mode_32 0
		.amdhsa_float_round_mode_16_64 0
		.amdhsa_float_denorm_mode_32 3
		.amdhsa_float_denorm_mode_16_64 3
		.amdhsa_fp16_overflow 0
		.amdhsa_workgroup_processor_mode 1
		.amdhsa_memory_ordered 1
		.amdhsa_forward_progress 1
		.amdhsa_inst_pref_size 3
		.amdhsa_round_robin_scheduling 0
		.amdhsa_exception_fp_ieee_invalid_op 0
		.amdhsa_exception_fp_denorm_src 0
		.amdhsa_exception_fp_ieee_div_zero 0
		.amdhsa_exception_fp_ieee_overflow 0
		.amdhsa_exception_fp_ieee_underflow 0
		.amdhsa_exception_fp_ieee_inexact 0
		.amdhsa_exception_int_div_zero 0
	.end_amdhsa_kernel
	.section	.text._ZN2at6native12_GLOBAL__N_126krn_partial_to_segment_idxIlEEvPT_PKS3_S6_PKl,"axG",@progbits,_ZN2at6native12_GLOBAL__N_126krn_partial_to_segment_idxIlEEvPT_PKS3_S6_PKl,comdat
.Lfunc_end99:
	.size	_ZN2at6native12_GLOBAL__N_126krn_partial_to_segment_idxIlEEvPT_PKS3_S6_PKl, .Lfunc_end99-_ZN2at6native12_GLOBAL__N_126krn_partial_to_segment_idxIlEEvPT_PKS3_S6_PKl
                                        ; -- End function
	.set _ZN2at6native12_GLOBAL__N_126krn_partial_to_segment_idxIlEEvPT_PKS3_S6_PKl.num_vgpr, 6
	.set _ZN2at6native12_GLOBAL__N_126krn_partial_to_segment_idxIlEEvPT_PKS3_S6_PKl.num_agpr, 0
	.set _ZN2at6native12_GLOBAL__N_126krn_partial_to_segment_idxIlEEvPT_PKS3_S6_PKl.numbered_sgpr, 12
	.set _ZN2at6native12_GLOBAL__N_126krn_partial_to_segment_idxIlEEvPT_PKS3_S6_PKl.num_named_barrier, 0
	.set _ZN2at6native12_GLOBAL__N_126krn_partial_to_segment_idxIlEEvPT_PKS3_S6_PKl.private_seg_size, 0
	.set _ZN2at6native12_GLOBAL__N_126krn_partial_to_segment_idxIlEEvPT_PKS3_S6_PKl.uses_vcc, 1
	.set _ZN2at6native12_GLOBAL__N_126krn_partial_to_segment_idxIlEEvPT_PKS3_S6_PKl.uses_flat_scratch, 0
	.set _ZN2at6native12_GLOBAL__N_126krn_partial_to_segment_idxIlEEvPT_PKS3_S6_PKl.has_dyn_sized_stack, 0
	.set _ZN2at6native12_GLOBAL__N_126krn_partial_to_segment_idxIlEEvPT_PKS3_S6_PKl.has_recursion, 0
	.set _ZN2at6native12_GLOBAL__N_126krn_partial_to_segment_idxIlEEvPT_PKS3_S6_PKl.has_indirect_call, 0
	.section	.AMDGPU.csdata,"",@progbits
; Kernel info:
; codeLenInByte = 272
; TotalNumSgprs: 14
; NumVgprs: 6
; ScratchSize: 0
; MemoryBound: 0
; FloatMode: 240
; IeeeMode: 1
; LDSByteSize: 0 bytes/workgroup (compile time only)
; SGPRBlocks: 0
; VGPRBlocks: 0
; NumSGPRsForWavesPerEU: 14
; NumVGPRsForWavesPerEU: 6
; Occupancy: 16
; WaveLimiterHint : 0
; COMPUTE_PGM_RSRC2:SCRATCH_EN: 0
; COMPUTE_PGM_RSRC2:USER_SGPR: 2
; COMPUTE_PGM_RSRC2:TRAP_HANDLER: 0
; COMPUTE_PGM_RSRC2:TGID_X_EN: 1
; COMPUTE_PGM_RSRC2:TGID_Y_EN: 0
; COMPUTE_PGM_RSRC2:TGID_Z_EN: 0
; COMPUTE_PGM_RSRC2:TIDIG_COMP_CNT: 0
	.section	.text._ZN2at6native12_GLOBAL__N_137compute_grad_weight_atomic_accumulateIddlEEvPKT1_PKT_S5_llS5_PKlS5_S5_S5_PT0_ll,"axG",@progbits,_ZN2at6native12_GLOBAL__N_137compute_grad_weight_atomic_accumulateIddlEEvPKT1_PKT_S5_llS5_PKlS5_S5_S5_PT0_ll,comdat
	.globl	_ZN2at6native12_GLOBAL__N_137compute_grad_weight_atomic_accumulateIddlEEvPKT1_PKT_S5_llS5_PKlS5_S5_S5_PT0_ll ; -- Begin function _ZN2at6native12_GLOBAL__N_137compute_grad_weight_atomic_accumulateIddlEEvPKT1_PKT_S5_llS5_PKlS5_S5_S5_PT0_ll
	.p2align	8
	.type	_ZN2at6native12_GLOBAL__N_137compute_grad_weight_atomic_accumulateIddlEEvPKT1_PKT_S5_llS5_PKlS5_S5_S5_PT0_ll,@function
_ZN2at6native12_GLOBAL__N_137compute_grad_weight_atomic_accumulateIddlEEvPKT1_PKT_S5_llS5_PKlS5_S5_S5_PT0_ll: ; @_ZN2at6native12_GLOBAL__N_137compute_grad_weight_atomic_accumulateIddlEEvPKT1_PKT_S5_llS5_PKlS5_S5_S5_PT0_ll
; %bb.0:
	s_clause 0x1
	s_load_b32 s2, s[0:1], 0x74
	s_load_b64 s[20:21], s[0:1], 0x60
	v_mov_b32_e32 v2, 0
	s_wait_kmcnt 0x0
	s_and_b32 s2, s2, 0xffff
	s_delay_alu instid0(SALU_CYCLE_1) | instskip(NEXT) | instid1(VALU_DEP_1)
	v_mad_co_u64_u32 v[0:1], null, ttmp9, s2, v[0:1]
	v_ashrrev_i32_e32 v1, 31, v0
	s_delay_alu instid0(VALU_DEP_1) | instskip(NEXT) | instid1(VALU_DEP_1)
	v_or_b32_e32 v3, s21, v1
	v_cmp_ne_u64_e32 vcc_lo, 0, v[2:3]
                                        ; implicit-def: $vgpr2_vgpr3
	s_and_saveexec_b32 s2, vcc_lo
	s_wait_alu 0xfffe
	s_xor_b32 s3, exec_lo, s2
	s_cbranch_execz .LBB100_2
; %bb.1:
	s_ashr_i32 s4, s21, 31
	s_mov_b32 s15, 0
	s_mov_b32 s5, s4
	v_ashrrev_i32_e32 v8, 31, v1
	s_add_nc_u64 s[6:7], s[20:21], s[4:5]
	s_delay_alu instid0(SALU_CYCLE_1) | instskip(NEXT) | instid1(VALU_DEP_1)
	s_xor_b64 s[6:7], s[6:7], s[4:5]
	v_add_co_u32 v2, vcc_lo, v0, v8
	s_cvt_f32_u32 s2, s6
	s_cvt_f32_u32 s5, s7
	s_sub_nc_u64 s[10:11], 0, s[6:7]
	v_add_co_ci_u32_e64 v3, null, v1, v8, vcc_lo
	s_wait_alu 0xfffe
	s_fmamk_f32 s2, s5, 0x4f800000, s2
	v_xor_b32_e32 v9, v2, v8
	s_delay_alu instid0(VALU_DEP_2) | instskip(SKIP_2) | instid1(TRANS32_DEP_1)
	v_xor_b32_e32 v10, v3, v8
	s_wait_alu 0xfffe
	v_s_rcp_f32 s2, s2
	s_mul_f32 s2, s2, 0x5f7ffffc
	s_wait_alu 0xfffe
	s_delay_alu instid0(SALU_CYCLE_2) | instskip(NEXT) | instid1(SALU_CYCLE_3)
	s_mul_f32 s5, s2, 0x2f800000
	s_trunc_f32 s5, s5
	s_delay_alu instid0(SALU_CYCLE_3) | instskip(SKIP_2) | instid1(SALU_CYCLE_1)
	s_fmamk_f32 s2, s5, 0xcf800000, s2
	s_cvt_u32_f32 s9, s5
	s_wait_alu 0xfffe
	s_cvt_u32_f32 s8, s2
	s_delay_alu instid0(SALU_CYCLE_3) | instskip(NEXT) | instid1(SALU_CYCLE_1)
	s_mul_u64 s[12:13], s[10:11], s[8:9]
	s_mul_hi_u32 s17, s8, s13
	s_mul_i32 s16, s8, s13
	s_mul_hi_u32 s14, s8, s12
	s_mul_i32 s5, s9, s12
	s_add_nc_u64 s[16:17], s[14:15], s[16:17]
	s_mul_hi_u32 s2, s9, s12
	s_mul_hi_u32 s18, s9, s13
	s_add_co_u32 s5, s16, s5
	s_wait_alu 0xfffe
	s_add_co_ci_u32 s14, s17, s2
	s_mul_i32 s12, s9, s13
	s_add_co_ci_u32 s13, s18, 0
	s_delay_alu instid0(SALU_CYCLE_1) | instskip(NEXT) | instid1(SALU_CYCLE_1)
	s_add_nc_u64 s[12:13], s[14:15], s[12:13]
	s_add_co_u32 s8, s8, s12
	s_cselect_b32 s2, -1, 0
	s_wait_alu 0xfffe
	s_cmp_lg_u32 s2, 0
	s_add_co_ci_u32 s9, s9, s13
	s_delay_alu instid0(SALU_CYCLE_1) | instskip(NEXT) | instid1(SALU_CYCLE_1)
	s_mul_u64 s[10:11], s[10:11], s[8:9]
	s_mul_hi_u32 s13, s8, s11
	s_mul_i32 s12, s8, s11
	s_mul_hi_u32 s14, s8, s10
	s_mul_i32 s5, s9, s10
	s_add_nc_u64 s[12:13], s[14:15], s[12:13]
	s_mul_hi_u32 s2, s9, s10
	s_mul_hi_u32 s16, s9, s11
	s_add_co_u32 s5, s12, s5
	s_wait_alu 0xfffe
	s_add_co_ci_u32 s14, s13, s2
	s_mul_i32 s10, s9, s11
	s_add_co_ci_u32 s11, s16, 0
	s_delay_alu instid0(SALU_CYCLE_1) | instskip(NEXT) | instid1(SALU_CYCLE_1)
	s_add_nc_u64 s[10:11], s[14:15], s[10:11]
	s_add_co_u32 s2, s8, s10
	s_cselect_b32 s5, -1, 0
	s_wait_alu 0xfffe
	v_mul_hi_u32 v11, v9, s2
	s_cmp_lg_u32 s5, 0
	v_mad_co_u64_u32 v[4:5], null, v10, s2, 0
	s_add_co_ci_u32 s5, s9, s11
	s_delay_alu instid0(SALU_CYCLE_1) | instskip(SKIP_1) | instid1(VALU_DEP_2)
	v_mad_co_u64_u32 v[2:3], null, v9, s5, 0
	v_mad_co_u64_u32 v[6:7], null, v10, s5, 0
	v_add_co_u32 v2, vcc_lo, v11, v2
	s_wait_alu 0xfffd
	s_delay_alu instid0(VALU_DEP_3) | instskip(NEXT) | instid1(VALU_DEP_2)
	v_add_co_ci_u32_e64 v3, null, 0, v3, vcc_lo
	v_add_co_u32 v2, vcc_lo, v2, v4
	s_wait_alu 0xfffd
	s_delay_alu instid0(VALU_DEP_2) | instskip(SKIP_2) | instid1(VALU_DEP_2)
	v_add_co_ci_u32_e32 v2, vcc_lo, v3, v5, vcc_lo
	s_wait_alu 0xfffd
	v_add_co_ci_u32_e32 v3, vcc_lo, 0, v7, vcc_lo
	v_add_co_u32 v4, vcc_lo, v2, v6
	s_wait_alu 0xfffd
	s_delay_alu instid0(VALU_DEP_2) | instskip(NEXT) | instid1(VALU_DEP_2)
	v_add_co_ci_u32_e64 v5, null, 0, v3, vcc_lo
	v_mul_lo_u32 v6, s7, v4
	v_mad_co_u64_u32 v[2:3], null, s6, v4, 0
	s_delay_alu instid0(VALU_DEP_3) | instskip(NEXT) | instid1(VALU_DEP_2)
	v_mul_lo_u32 v7, s6, v5
	v_sub_co_u32 v2, vcc_lo, v9, v2
	s_delay_alu instid0(VALU_DEP_2) | instskip(SKIP_3) | instid1(VALU_DEP_3)
	v_add3_u32 v3, v3, v7, v6
	v_add_co_u32 v7, s2, v4, 2
	s_wait_alu 0xf1ff
	v_add_co_ci_u32_e64 v9, null, 0, v5, s2
	v_sub_nc_u32_e32 v6, v10, v3
	v_sub_co_u32 v11, s2, v2, s6
	s_wait_alu 0xfffd
	v_sub_co_ci_u32_e64 v3, null, v10, v3, vcc_lo
	s_delay_alu instid0(VALU_DEP_3) | instskip(NEXT) | instid1(VALU_DEP_3)
	v_subrev_co_ci_u32_e64 v6, null, s7, v6, vcc_lo
	v_cmp_le_u32_e32 vcc_lo, s6, v11
	s_wait_alu 0xf1ff
	s_delay_alu instid0(VALU_DEP_2) | instskip(SKIP_2) | instid1(VALU_DEP_2)
	v_subrev_co_ci_u32_e64 v6, null, 0, v6, s2
	s_wait_alu 0xfffd
	v_cndmask_b32_e64 v10, 0, -1, vcc_lo
	v_cmp_le_u32_e32 vcc_lo, s7, v6
	s_wait_alu 0xfffd
	v_cndmask_b32_e64 v11, 0, -1, vcc_lo
	v_cmp_le_u32_e32 vcc_lo, s6, v2
	;; [unrolled: 3-line block ×3, first 2 shown]
	s_wait_alu 0xfffd
	v_cndmask_b32_e64 v12, 0, -1, vcc_lo
	v_cmp_eq_u32_e32 vcc_lo, s7, v6
	s_wait_alu 0xfffd
	v_cndmask_b32_e32 v6, v11, v10, vcc_lo
	v_add_co_u32 v10, vcc_lo, v4, 1
	s_wait_alu 0xfffd
	v_add_co_ci_u32_e64 v11, null, 0, v5, vcc_lo
	v_cmp_eq_u32_e32 vcc_lo, s7, v3
	s_wait_alu 0xfffd
	v_cndmask_b32_e32 v2, v12, v2, vcc_lo
	v_cmp_ne_u32_e32 vcc_lo, 0, v6
	v_xor_b32_e32 v6, s4, v8
	s_wait_alu 0xfffd
	v_cndmask_b32_e32 v3, v11, v9, vcc_lo
	v_cmp_ne_u32_e64 s2, 0, v2
	v_cndmask_b32_e32 v2, v10, v7, vcc_lo
	s_wait_alu 0xf1ff
	s_delay_alu instid0(VALU_DEP_2) | instskip(NEXT) | instid1(VALU_DEP_2)
	v_cndmask_b32_e64 v3, v5, v3, s2
	v_cndmask_b32_e64 v2, v4, v2, s2
	s_delay_alu instid0(VALU_DEP_2) | instskip(NEXT) | instid1(VALU_DEP_2)
	v_xor_b32_e32 v3, v3, v6
	v_xor_b32_e32 v2, v2, v6
	s_delay_alu instid0(VALU_DEP_1) | instskip(SKIP_1) | instid1(VALU_DEP_3)
	v_sub_co_u32 v2, vcc_lo, v2, v6
	s_wait_alu 0xfffd
	v_sub_co_ci_u32_e64 v3, null, v3, v6, vcc_lo
.LBB100_2:
	s_wait_alu 0xfffe
	s_or_saveexec_b32 s2, s3
	s_load_b512 s[4:19], s[0:1], 0x0
	s_xor_b32 exec_lo, exec_lo, s2
	s_cbranch_execz .LBB100_4
; %bb.3:
	v_cvt_f32_u32_e32 v2, s20
	s_sub_co_i32 s3, 0, s20
	s_delay_alu instid0(VALU_DEP_1) | instskip(NEXT) | instid1(TRANS32_DEP_1)
	v_rcp_iflag_f32_e32 v2, v2
	v_mul_f32_e32 v2, 0x4f7ffffe, v2
	s_delay_alu instid0(VALU_DEP_1) | instskip(SKIP_1) | instid1(VALU_DEP_1)
	v_cvt_u32_f32_e32 v2, v2
	s_wait_alu 0xfffe
	v_mul_lo_u32 v3, s3, v2
	s_delay_alu instid0(VALU_DEP_1) | instskip(NEXT) | instid1(VALU_DEP_1)
	v_mul_hi_u32 v3, v2, v3
	v_add_nc_u32_e32 v2, v2, v3
	s_delay_alu instid0(VALU_DEP_1) | instskip(NEXT) | instid1(VALU_DEP_1)
	v_mul_hi_u32 v2, v0, v2
	v_mul_lo_u32 v3, v2, s20
	v_add_nc_u32_e32 v4, 1, v2
	s_delay_alu instid0(VALU_DEP_2) | instskip(NEXT) | instid1(VALU_DEP_1)
	v_sub_nc_u32_e32 v3, v0, v3
	v_subrev_nc_u32_e32 v5, s20, v3
	v_cmp_le_u32_e32 vcc_lo, s20, v3
	s_wait_alu 0xfffd
	s_delay_alu instid0(VALU_DEP_2) | instskip(NEXT) | instid1(VALU_DEP_1)
	v_dual_cndmask_b32 v3, v3, v5 :: v_dual_cndmask_b32 v2, v2, v4
	v_cmp_le_u32_e32 vcc_lo, s20, v3
	s_delay_alu instid0(VALU_DEP_2) | instskip(SKIP_1) | instid1(VALU_DEP_1)
	v_dual_mov_b32 v3, 0 :: v_dual_add_nc_u32 v4, 1, v2
	s_wait_alu 0xfffd
	v_cndmask_b32_e32 v2, v2, v4, vcc_lo
.LBB100_4:
	s_or_b32 exec_lo, exec_lo, s2
	s_delay_alu instid0(VALU_DEP_2) | instskip(NEXT) | instid1(VALU_DEP_2)
	v_mul_lo_u32 v5, v3, s20
	v_mul_lo_u32 v6, v2, s21
	v_mad_co_u64_u32 v[3:4], null, v2, s20, 0
	s_mov_b32 s2, exec_lo
	v_add3_u32 v4, v4, v6, v5
	v_sub_co_u32 v10, vcc_lo, v0, v3
	s_wait_alu 0xfffd
	s_delay_alu instid0(VALU_DEP_2) | instskip(SKIP_1) | instid1(VALU_DEP_1)
	v_sub_co_ci_u32_e64 v11, null, v1, v4, vcc_lo
	s_wait_kmcnt 0x0
	v_cmpx_gt_i64_e64 s[12:13], v[10:11]
	s_cbranch_execz .LBB100_18
; %bb.5:
	s_load_b64 s[2:3], s[16:17], 0x0
	v_ashrrev_i32_e32 v3, 31, v2
	s_wait_kmcnt 0x0
	s_delay_alu instid0(VALU_DEP_1)
	v_cmp_gt_i64_e32 vcc_lo, s[2:3], v[2:3]
	s_and_b32 exec_lo, exec_lo, vcc_lo
	s_cbranch_execz .LBB100_18
; %bb.6:
	v_lshlrev_b64_e32 v[0:1], 3, v[2:3]
	s_load_b256 s[20:27], s[0:1], 0x40
	s_add_nc_u64 s[0:1], s[2:3], -1
	v_dual_mov_b32 v8, s10 :: v_dual_mov_b32 v9, s11
	s_delay_alu instid0(VALU_DEP_2)
	v_add_co_u32 v4, vcc_lo, s14, v0
	s_wait_alu 0xfffd
	v_add_co_ci_u32_e64 v5, null, s15, v1, vcc_lo
	s_wait_alu 0xfffe
	v_cmp_ne_u64_e32 vcc_lo, s[0:1], v[2:3]
	global_load_b64 v[6:7], v[4:5], off
	s_and_saveexec_b32 s0, vcc_lo
	s_cbranch_execz .LBB100_8
; %bb.7:
	v_dual_mov_b32 v3, 0 :: v_dual_add_nc_u32 v4, 1, v2
	s_delay_alu instid0(VALU_DEP_1) | instskip(NEXT) | instid1(VALU_DEP_1)
	v_ashrrev_i64 v[2:3], 29, v[3:4]
	v_add_co_u32 v2, vcc_lo, s14, v2
	s_wait_alu 0xfffd
	s_delay_alu instid0(VALU_DEP_2)
	v_add_co_ci_u32_e64 v3, null, s15, v3, vcc_lo
	global_load_b64 v[8:9], v[2:3], off
.LBB100_8:
	s_wait_alu 0xfffe
	s_or_b32 exec_lo, exec_lo, s0
	v_mov_b32_e32 v4, 0
	v_lshlrev_b64_e32 v[2:3], 3, v[10:11]
	v_mov_b32_e32 v5, 0
	s_mov_b32 s1, exec_lo
	s_wait_loadcnt 0x0
	v_cmpx_lt_i64_e64 v[6:7], v[8:9]
	s_cbranch_execz .LBB100_15
; %bb.9:
	v_lshlrev_b64_e32 v[4:5], 3, v[6:7]
	v_add_co_u32 v18, vcc_lo, s6, v2
	s_wait_alu 0xfffd
	v_add_co_ci_u32_e64 v19, null, s7, v3, vcc_lo
	s_cmp_lg_u64 s[8:9], 0
	v_add_co_u32 v10, vcc_lo, s8, v4
	s_wait_alu 0xfffd
	v_add_co_ci_u32_e64 v11, null, s9, v5, vcc_lo
	v_add_co_u32 v12, vcc_lo, s4, v4
	s_wait_alu 0xfffd
	v_add_co_ci_u32_e64 v13, null, s5, v5, vcc_lo
	v_mov_b32_e32 v4, 0
	v_mov_b32_e32 v5, 0
	s_cselect_b32 s2, -1, 0
	s_mov_b32 s3, 0
	s_branch .LBB100_12
.LBB100_10:                             ;   in Loop: Header=BB100_12 Depth=1
	global_load_b64 v[16:17], v[10:11], off
	s_wait_loadcnt 0x0
	v_cvt_f64_i32_e32 v[20:21], v17
	v_cvt_f64_u32_e32 v[16:17], v16
	s_delay_alu instid0(VALU_DEP_2) | instskip(NEXT) | instid1(VALU_DEP_1)
	v_ldexp_f64 v[20:21], v[20:21], 32
	v_add_f64_e32 v[16:17], v[20:21], v[16:17]
	s_delay_alu instid0(VALU_DEP_1) | instskip(NEXT) | instid1(VALU_DEP_1)
	v_div_scale_f64 v[20:21], null, v[16:17], v[16:17], 1.0
	v_rcp_f64_e32 v[22:23], v[20:21]
	s_delay_alu instid0(TRANS32_DEP_1) | instskip(NEXT) | instid1(VALU_DEP_1)
	v_fma_f64 v[24:25], -v[20:21], v[22:23], 1.0
	v_fma_f64 v[22:23], v[22:23], v[24:25], v[22:23]
	s_delay_alu instid0(VALU_DEP_1) | instskip(NEXT) | instid1(VALU_DEP_1)
	v_fma_f64 v[24:25], -v[20:21], v[22:23], 1.0
	v_fma_f64 v[22:23], v[22:23], v[24:25], v[22:23]
	v_div_scale_f64 v[24:25], vcc_lo, 1.0, v[16:17], 1.0
	s_delay_alu instid0(VALU_DEP_1) | instskip(NEXT) | instid1(VALU_DEP_1)
	v_mul_f64_e32 v[26:27], v[24:25], v[22:23]
	v_fma_f64 v[20:21], -v[20:21], v[26:27], v[24:25]
	s_wait_alu 0xfffd
	s_delay_alu instid0(VALU_DEP_1) | instskip(NEXT) | instid1(VALU_DEP_1)
	v_div_fmas_f64 v[20:21], v[20:21], v[22:23], v[26:27]
	v_div_fixup_f64 v[16:17], v[20:21], v[16:17], 1.0
.LBB100_11:                             ;   in Loop: Header=BB100_12 Depth=1
	s_wait_loadcnt 0x0
	v_mul_lo_u32 v20, v15, s12
	v_mul_lo_u32 v21, v14, s13
	v_mad_co_u64_u32 v[14:15], null, v14, s12, 0
	v_add_co_u32 v12, s0, v12, 8
	s_wait_alu 0xf1ff
	v_add_co_ci_u32_e64 v13, null, 0, v13, s0
	s_delay_alu instid0(VALU_DEP_3) | instskip(NEXT) | instid1(VALU_DEP_1)
	v_add3_u32 v15, v15, v21, v20
	v_lshlrev_b64_e32 v[14:15], 3, v[14:15]
	s_delay_alu instid0(VALU_DEP_1) | instskip(SKIP_1) | instid1(VALU_DEP_2)
	v_add_co_u32 v14, vcc_lo, v18, v14
	s_wait_alu 0xfffd
	v_add_co_ci_u32_e64 v15, null, v19, v15, vcc_lo
	v_add_co_u32 v6, vcc_lo, v6, 1
	s_wait_alu 0xfffd
	v_add_co_ci_u32_e64 v7, null, 0, v7, vcc_lo
	global_load_b64 v[14:15], v[14:15], off
	v_add_co_u32 v10, vcc_lo, v10, 8
	s_wait_alu 0xfffd
	v_add_co_ci_u32_e64 v11, null, 0, v11, vcc_lo
	v_cmp_ge_i64_e32 vcc_lo, v[6:7], v[8:9]
	s_or_b32 s3, vcc_lo, s3
	s_wait_loadcnt 0x0
	v_fma_f64 v[4:5], v[16:17], v[14:15], v[4:5]
	s_wait_alu 0xfffe
	s_and_not1_b32 exec_lo, exec_lo, s3
	s_cbranch_execz .LBB100_14
.LBB100_12:                             ; =>This Inner Loop Header: Depth=1
	global_load_b64 v[14:15], v[12:13], off
	s_wait_alu 0xfffe
	s_and_not1_b32 vcc_lo, exec_lo, s2
	s_wait_alu 0xfffe
	s_cbranch_vccz .LBB100_10
; %bb.13:                               ;   in Loop: Header=BB100_12 Depth=1
	v_mov_b32_e32 v16, 0
	v_mov_b32_e32 v17, 0x3ff00000
	s_branch .LBB100_11
.LBB100_14:
	s_or_b32 exec_lo, exec_lo, s3
.LBB100_15:
	s_wait_alu 0xfffe
	s_or_b32 exec_lo, exec_lo, s1
	s_wait_kmcnt 0x0
	v_add_co_u32 v0, vcc_lo, s20, v0
	s_wait_alu 0xfffd
	v_add_co_ci_u32_e64 v1, null, s21, v1, vcc_lo
	global_load_b64 v[0:1], v[0:1], off
	s_wait_loadcnt 0x0
	v_lshlrev_b64_e32 v[0:1], 3, v[0:1]
	s_delay_alu instid0(VALU_DEP_1) | instskip(SKIP_1) | instid1(VALU_DEP_2)
	v_add_co_u32 v0, vcc_lo, s22, v0
	s_wait_alu 0xfffd
	v_add_co_ci_u32_e64 v1, null, s23, v1, vcc_lo
	global_load_b64 v[0:1], v[0:1], off
	s_wait_loadcnt 0x0
	v_lshlrev_b64_e32 v[0:1], 3, v[0:1]
	s_delay_alu instid0(VALU_DEP_1) | instskip(SKIP_1) | instid1(VALU_DEP_2)
	v_add_co_u32 v0, vcc_lo, s18, v0
	s_wait_alu 0xfffd
	v_add_co_ci_u32_e64 v1, null, s19, v1, vcc_lo
	global_load_b64 v[0:1], v[0:1], off
	s_wait_loadcnt 0x0
	v_cmp_ne_u64_e32 vcc_lo, s[26:27], v[0:1]
	s_and_b32 exec_lo, exec_lo, vcc_lo
	s_cbranch_execz .LBB100_18
; %bb.16:
	v_mul_lo_u32 v6, v1, s12
	v_mul_lo_u32 v7, v0, s13
	v_mad_co_u64_u32 v[0:1], null, v0, s12, 0
	s_mov_b32 s0, 0
	v_add3_u32 v1, v1, v7, v6
	s_delay_alu instid0(VALU_DEP_1) | instskip(NEXT) | instid1(VALU_DEP_1)
	v_lshlrev_b64_e32 v[0:1], 3, v[0:1]
	v_add_co_u32 v0, vcc_lo, s24, v0
	s_wait_alu 0xfffd
	s_delay_alu instid0(VALU_DEP_2) | instskip(NEXT) | instid1(VALU_DEP_2)
	v_add_co_ci_u32_e64 v1, null, s25, v1, vcc_lo
	v_add_co_u32 v6, vcc_lo, v0, v2
	s_wait_alu 0xfffd
	s_delay_alu instid0(VALU_DEP_2)
	v_add_co_ci_u32_e64 v7, null, v1, v3, vcc_lo
	global_load_b64 v[2:3], v[6:7], off
.LBB100_17:                             ; =>This Inner Loop Header: Depth=1
	s_wait_loadcnt 0x0
	v_add_f64_e32 v[0:1], v[2:3], v[4:5]
	global_atomic_cmpswap_b64 v[0:1], v[6:7], v[0:3], off th:TH_ATOMIC_RETURN scope:SCOPE_DEV
	s_wait_loadcnt 0x0
	v_cmp_eq_u64_e32 vcc_lo, v[0:1], v[2:3]
	v_dual_mov_b32 v3, v1 :: v_dual_mov_b32 v2, v0
	s_wait_alu 0xfffe
	s_or_b32 s0, vcc_lo, s0
	s_wait_alu 0xfffe
	s_and_not1_b32 exec_lo, exec_lo, s0
	s_cbranch_execnz .LBB100_17
.LBB100_18:
	s_endpgm
	.section	.rodata,"a",@progbits
	.p2align	6, 0x0
	.amdhsa_kernel _ZN2at6native12_GLOBAL__N_137compute_grad_weight_atomic_accumulateIddlEEvPKT1_PKT_S5_llS5_PKlS5_S5_S5_PT0_ll
		.amdhsa_group_segment_fixed_size 0
		.amdhsa_private_segment_fixed_size 0
		.amdhsa_kernarg_size 360
		.amdhsa_user_sgpr_count 2
		.amdhsa_user_sgpr_dispatch_ptr 0
		.amdhsa_user_sgpr_queue_ptr 0
		.amdhsa_user_sgpr_kernarg_segment_ptr 1
		.amdhsa_user_sgpr_dispatch_id 0
		.amdhsa_user_sgpr_private_segment_size 0
		.amdhsa_wavefront_size32 1
		.amdhsa_uses_dynamic_stack 0
		.amdhsa_enable_private_segment 0
		.amdhsa_system_sgpr_workgroup_id_x 1
		.amdhsa_system_sgpr_workgroup_id_y 0
		.amdhsa_system_sgpr_workgroup_id_z 0
		.amdhsa_system_sgpr_workgroup_info 0
		.amdhsa_system_vgpr_workitem_id 0
		.amdhsa_next_free_vgpr 28
		.amdhsa_next_free_sgpr 28
		.amdhsa_reserve_vcc 1
		.amdhsa_float_round_mode_32 0
		.amdhsa_float_round_mode_16_64 0
		.amdhsa_float_denorm_mode_32 3
		.amdhsa_float_denorm_mode_16_64 3
		.amdhsa_fp16_overflow 0
		.amdhsa_workgroup_processor_mode 1
		.amdhsa_memory_ordered 1
		.amdhsa_forward_progress 1
		.amdhsa_inst_pref_size 16
		.amdhsa_round_robin_scheduling 0
		.amdhsa_exception_fp_ieee_invalid_op 0
		.amdhsa_exception_fp_denorm_src 0
		.amdhsa_exception_fp_ieee_div_zero 0
		.amdhsa_exception_fp_ieee_overflow 0
		.amdhsa_exception_fp_ieee_underflow 0
		.amdhsa_exception_fp_ieee_inexact 0
		.amdhsa_exception_int_div_zero 0
	.end_amdhsa_kernel
	.section	.text._ZN2at6native12_GLOBAL__N_137compute_grad_weight_atomic_accumulateIddlEEvPKT1_PKT_S5_llS5_PKlS5_S5_S5_PT0_ll,"axG",@progbits,_ZN2at6native12_GLOBAL__N_137compute_grad_weight_atomic_accumulateIddlEEvPKT1_PKT_S5_llS5_PKlS5_S5_S5_PT0_ll,comdat
.Lfunc_end100:
	.size	_ZN2at6native12_GLOBAL__N_137compute_grad_weight_atomic_accumulateIddlEEvPKT1_PKT_S5_llS5_PKlS5_S5_S5_PT0_ll, .Lfunc_end100-_ZN2at6native12_GLOBAL__N_137compute_grad_weight_atomic_accumulateIddlEEvPKT1_PKT_S5_llS5_PKlS5_S5_S5_PT0_ll
                                        ; -- End function
	.set _ZN2at6native12_GLOBAL__N_137compute_grad_weight_atomic_accumulateIddlEEvPKT1_PKT_S5_llS5_PKlS5_S5_S5_PT0_ll.num_vgpr, 28
	.set _ZN2at6native12_GLOBAL__N_137compute_grad_weight_atomic_accumulateIddlEEvPKT1_PKT_S5_llS5_PKlS5_S5_S5_PT0_ll.num_agpr, 0
	.set _ZN2at6native12_GLOBAL__N_137compute_grad_weight_atomic_accumulateIddlEEvPKT1_PKT_S5_llS5_PKlS5_S5_S5_PT0_ll.numbered_sgpr, 28
	.set _ZN2at6native12_GLOBAL__N_137compute_grad_weight_atomic_accumulateIddlEEvPKT1_PKT_S5_llS5_PKlS5_S5_S5_PT0_ll.num_named_barrier, 0
	.set _ZN2at6native12_GLOBAL__N_137compute_grad_weight_atomic_accumulateIddlEEvPKT1_PKT_S5_llS5_PKlS5_S5_S5_PT0_ll.private_seg_size, 0
	.set _ZN2at6native12_GLOBAL__N_137compute_grad_weight_atomic_accumulateIddlEEvPKT1_PKT_S5_llS5_PKlS5_S5_S5_PT0_ll.uses_vcc, 1
	.set _ZN2at6native12_GLOBAL__N_137compute_grad_weight_atomic_accumulateIddlEEvPKT1_PKT_S5_llS5_PKlS5_S5_S5_PT0_ll.uses_flat_scratch, 0
	.set _ZN2at6native12_GLOBAL__N_137compute_grad_weight_atomic_accumulateIddlEEvPKT1_PKT_S5_llS5_PKlS5_S5_S5_PT0_ll.has_dyn_sized_stack, 0
	.set _ZN2at6native12_GLOBAL__N_137compute_grad_weight_atomic_accumulateIddlEEvPKT1_PKT_S5_llS5_PKlS5_S5_S5_PT0_ll.has_recursion, 0
	.set _ZN2at6native12_GLOBAL__N_137compute_grad_weight_atomic_accumulateIddlEEvPKT1_PKT_S5_llS5_PKlS5_S5_S5_PT0_ll.has_indirect_call, 0
	.section	.AMDGPU.csdata,"",@progbits
; Kernel info:
; codeLenInByte = 2036
; TotalNumSgprs: 30
; NumVgprs: 28
; ScratchSize: 0
; MemoryBound: 0
; FloatMode: 240
; IeeeMode: 1
; LDSByteSize: 0 bytes/workgroup (compile time only)
; SGPRBlocks: 0
; VGPRBlocks: 3
; NumSGPRsForWavesPerEU: 30
; NumVGPRsForWavesPerEU: 28
; Occupancy: 16
; WaveLimiterHint : 1
; COMPUTE_PGM_RSRC2:SCRATCH_EN: 0
; COMPUTE_PGM_RSRC2:USER_SGPR: 2
; COMPUTE_PGM_RSRC2:TRAP_HANDLER: 0
; COMPUTE_PGM_RSRC2:TGID_X_EN: 1
; COMPUTE_PGM_RSRC2:TGID_Y_EN: 0
; COMPUTE_PGM_RSRC2:TGID_Z_EN: 0
; COMPUTE_PGM_RSRC2:TIDIG_COMP_CNT: 0
	.section	.text._ZN2at6native12_GLOBAL__N_124compute_grad_weight_bagsIdlEEvPKT0_PKT_S5_S5_lliS5_S8_lS5_PKlPNS_14AccumulateTypeIS6_Lb1EE4typeEl,"axG",@progbits,_ZN2at6native12_GLOBAL__N_124compute_grad_weight_bagsIdlEEvPKT0_PKT_S5_S5_lliS5_S8_lS5_PKlPNS_14AccumulateTypeIS6_Lb1EE4typeEl,comdat
	.globl	_ZN2at6native12_GLOBAL__N_124compute_grad_weight_bagsIdlEEvPKT0_PKT_S5_S5_lliS5_S8_lS5_PKlPNS_14AccumulateTypeIS6_Lb1EE4typeEl ; -- Begin function _ZN2at6native12_GLOBAL__N_124compute_grad_weight_bagsIdlEEvPKT0_PKT_S5_S5_lliS5_S8_lS5_PKlPNS_14AccumulateTypeIS6_Lb1EE4typeEl
	.p2align	8
	.type	_ZN2at6native12_GLOBAL__N_124compute_grad_weight_bagsIdlEEvPKT0_PKT_S5_S5_lliS5_S8_lS5_PKlPNS_14AccumulateTypeIS6_Lb1EE4typeEl,@function
_ZN2at6native12_GLOBAL__N_124compute_grad_weight_bagsIdlEEvPKT0_PKT_S5_S5_lliS5_S8_lS5_PKlPNS_14AccumulateTypeIS6_Lb1EE4typeEl: ; @_ZN2at6native12_GLOBAL__N_124compute_grad_weight_bagsIdlEEvPKT0_PKT_S5_S5_lliS5_S8_lS5_PKlPNS_14AccumulateTypeIS6_Lb1EE4typeEl
; %bb.0:
	s_clause 0x2
	s_load_b32 s2, s[0:1], 0x7c
	s_load_b64 s[4:5], s[0:1], 0x68
	s_load_b128 s[20:23], s[0:1], 0x58
	v_mov_b32_e32 v1, 0
	s_delay_alu instid0(VALU_DEP_1) | instskip(SKIP_2) | instid1(SALU_CYCLE_1)
	v_mov_b32_e32 v4, v1
	s_wait_kmcnt 0x0
	s_and_b32 s2, s2, 0xffff
	v_mad_co_u64_u32 v[2:3], null, s2, ttmp9, v[0:1]
                                        ; implicit-def: $vgpr0_vgpr1
	s_mov_b32 s2, exec_lo
	v_or_b32_e32 v5, s5, v3
	s_delay_alu instid0(VALU_DEP_1)
	v_cmpx_ne_u64_e32 0, v[4:5]
	s_wait_alu 0xfffe
	s_xor_b32 s3, exec_lo, s2
	s_cbranch_execz .LBB101_2
; %bb.1:
	s_ashr_i32 s6, s5, 31
	s_mov_b32 s17, 0
	s_mov_b32 s7, s6
	v_ashrrev_i32_e32 v8, 31, v3
	s_add_nc_u64 s[8:9], s[4:5], s[6:7]
	s_delay_alu instid0(SALU_CYCLE_1) | instskip(NEXT) | instid1(VALU_DEP_1)
	s_xor_b64 s[8:9], s[8:9], s[6:7]
	v_add_co_u32 v0, vcc_lo, v2, v8
	s_cvt_f32_u32 s2, s8
	s_cvt_f32_u32 s7, s9
	s_sub_nc_u64 s[12:13], 0, s[8:9]
	v_add_co_ci_u32_e64 v1, null, v3, v8, vcc_lo
	s_wait_alu 0xfffe
	s_fmamk_f32 s2, s7, 0x4f800000, s2
	v_xor_b32_e32 v9, v0, v8
	s_delay_alu instid0(VALU_DEP_2) | instskip(SKIP_2) | instid1(TRANS32_DEP_1)
	v_xor_b32_e32 v10, v1, v8
	s_wait_alu 0xfffe
	v_s_rcp_f32 s2, s2
	s_mul_f32 s2, s2, 0x5f7ffffc
	s_wait_alu 0xfffe
	s_delay_alu instid0(SALU_CYCLE_2) | instskip(NEXT) | instid1(SALU_CYCLE_3)
	s_mul_f32 s7, s2, 0x2f800000
	s_trunc_f32 s7, s7
	s_delay_alu instid0(SALU_CYCLE_3) | instskip(SKIP_2) | instid1(SALU_CYCLE_1)
	s_fmamk_f32 s2, s7, 0xcf800000, s2
	s_cvt_u32_f32 s11, s7
	s_wait_alu 0xfffe
	s_cvt_u32_f32 s10, s2
	s_delay_alu instid0(SALU_CYCLE_3) | instskip(NEXT) | instid1(SALU_CYCLE_1)
	s_mul_u64 s[14:15], s[12:13], s[10:11]
	s_mul_hi_u32 s19, s10, s15
	s_mul_i32 s18, s10, s15
	s_mul_hi_u32 s16, s10, s14
	s_mul_i32 s7, s11, s14
	s_add_nc_u64 s[18:19], s[16:17], s[18:19]
	s_mul_hi_u32 s2, s11, s14
	s_mul_hi_u32 s24, s11, s15
	s_add_co_u32 s7, s18, s7
	s_wait_alu 0xfffe
	s_add_co_ci_u32 s16, s19, s2
	s_mul_i32 s14, s11, s15
	s_add_co_ci_u32 s15, s24, 0
	s_delay_alu instid0(SALU_CYCLE_1) | instskip(NEXT) | instid1(SALU_CYCLE_1)
	s_add_nc_u64 s[14:15], s[16:17], s[14:15]
	s_add_co_u32 s10, s10, s14
	s_cselect_b32 s2, -1, 0
	s_wait_alu 0xfffe
	s_cmp_lg_u32 s2, 0
	s_add_co_ci_u32 s11, s11, s15
	s_delay_alu instid0(SALU_CYCLE_1) | instskip(NEXT) | instid1(SALU_CYCLE_1)
	s_mul_u64 s[12:13], s[12:13], s[10:11]
	s_mul_hi_u32 s15, s10, s13
	s_mul_i32 s14, s10, s13
	s_mul_hi_u32 s16, s10, s12
	s_mul_i32 s7, s11, s12
	s_add_nc_u64 s[14:15], s[16:17], s[14:15]
	s_mul_hi_u32 s2, s11, s12
	s_mul_hi_u32 s18, s11, s13
	s_add_co_u32 s7, s14, s7
	s_wait_alu 0xfffe
	s_add_co_ci_u32 s16, s15, s2
	s_mul_i32 s12, s11, s13
	s_add_co_ci_u32 s13, s18, 0
	s_delay_alu instid0(SALU_CYCLE_1) | instskip(NEXT) | instid1(SALU_CYCLE_1)
	s_add_nc_u64 s[12:13], s[16:17], s[12:13]
	s_add_co_u32 s2, s10, s12
	s_cselect_b32 s7, -1, 0
	s_wait_alu 0xfffe
	v_mul_hi_u32 v11, v9, s2
	s_cmp_lg_u32 s7, 0
	v_mad_co_u64_u32 v[4:5], null, v10, s2, 0
	s_add_co_ci_u32 s7, s11, s13
	s_delay_alu instid0(SALU_CYCLE_1) | instskip(SKIP_1) | instid1(VALU_DEP_2)
	v_mad_co_u64_u32 v[0:1], null, v9, s7, 0
	v_mad_co_u64_u32 v[6:7], null, v10, s7, 0
	v_add_co_u32 v0, vcc_lo, v11, v0
	s_wait_alu 0xfffd
	s_delay_alu instid0(VALU_DEP_3) | instskip(NEXT) | instid1(VALU_DEP_2)
	v_add_co_ci_u32_e64 v1, null, 0, v1, vcc_lo
	v_add_co_u32 v0, vcc_lo, v0, v4
	s_wait_alu 0xfffd
	s_delay_alu instid0(VALU_DEP_2) | instskip(SKIP_2) | instid1(VALU_DEP_2)
	v_add_co_ci_u32_e32 v0, vcc_lo, v1, v5, vcc_lo
	s_wait_alu 0xfffd
	v_add_co_ci_u32_e32 v1, vcc_lo, 0, v7, vcc_lo
	v_add_co_u32 v4, vcc_lo, v0, v6
	s_wait_alu 0xfffd
	s_delay_alu instid0(VALU_DEP_2) | instskip(NEXT) | instid1(VALU_DEP_2)
	v_add_co_ci_u32_e64 v5, null, 0, v1, vcc_lo
	v_mul_lo_u32 v6, s9, v4
	v_mad_co_u64_u32 v[0:1], null, s8, v4, 0
	s_delay_alu instid0(VALU_DEP_3) | instskip(NEXT) | instid1(VALU_DEP_2)
	v_mul_lo_u32 v7, s8, v5
	v_sub_co_u32 v0, vcc_lo, v9, v0
	s_delay_alu instid0(VALU_DEP_2) | instskip(SKIP_3) | instid1(VALU_DEP_3)
	v_add3_u32 v1, v1, v7, v6
	v_add_co_u32 v7, s2, v4, 2
	s_wait_alu 0xf1ff
	v_add_co_ci_u32_e64 v9, null, 0, v5, s2
	v_sub_nc_u32_e32 v6, v10, v1
	v_sub_co_u32 v11, s2, v0, s8
	s_wait_alu 0xfffd
	v_sub_co_ci_u32_e64 v1, null, v10, v1, vcc_lo
	s_delay_alu instid0(VALU_DEP_3) | instskip(NEXT) | instid1(VALU_DEP_3)
	v_subrev_co_ci_u32_e64 v6, null, s9, v6, vcc_lo
	v_cmp_le_u32_e32 vcc_lo, s8, v11
	s_wait_alu 0xf1ff
	s_delay_alu instid0(VALU_DEP_2) | instskip(SKIP_2) | instid1(VALU_DEP_2)
	v_subrev_co_ci_u32_e64 v6, null, 0, v6, s2
	s_wait_alu 0xfffd
	v_cndmask_b32_e64 v10, 0, -1, vcc_lo
	v_cmp_le_u32_e32 vcc_lo, s9, v6
	s_wait_alu 0xfffd
	v_cndmask_b32_e64 v11, 0, -1, vcc_lo
	v_cmp_le_u32_e32 vcc_lo, s8, v0
	;; [unrolled: 3-line block ×3, first 2 shown]
	s_wait_alu 0xfffd
	v_cndmask_b32_e64 v12, 0, -1, vcc_lo
	v_cmp_eq_u32_e32 vcc_lo, s9, v6
	s_wait_alu 0xfffd
	v_cndmask_b32_e32 v6, v11, v10, vcc_lo
	v_add_co_u32 v10, vcc_lo, v4, 1
	s_wait_alu 0xfffd
	v_add_co_ci_u32_e64 v11, null, 0, v5, vcc_lo
	v_cmp_eq_u32_e32 vcc_lo, s9, v1
	s_wait_alu 0xfffd
	v_cndmask_b32_e32 v0, v12, v0, vcc_lo
	v_cmp_ne_u32_e32 vcc_lo, 0, v6
	v_xor_b32_e32 v6, s6, v8
	s_wait_alu 0xfffd
	v_cndmask_b32_e32 v1, v11, v9, vcc_lo
	v_cmp_ne_u32_e64 s2, 0, v0
	v_cndmask_b32_e32 v0, v10, v7, vcc_lo
	s_wait_alu 0xf1ff
	s_delay_alu instid0(VALU_DEP_2) | instskip(NEXT) | instid1(VALU_DEP_2)
	v_cndmask_b32_e64 v1, v5, v1, s2
	v_cndmask_b32_e64 v0, v4, v0, s2
	s_delay_alu instid0(VALU_DEP_2) | instskip(NEXT) | instid1(VALU_DEP_2)
	v_xor_b32_e32 v1, v1, v6
	v_xor_b32_e32 v0, v0, v6
	s_delay_alu instid0(VALU_DEP_1) | instskip(SKIP_1) | instid1(VALU_DEP_3)
	v_sub_co_u32 v0, vcc_lo, v0, v6
	s_wait_alu 0xfffd
	v_sub_co_ci_u32_e64 v1, null, v1, v6, vcc_lo
.LBB101_2:
	s_wait_alu 0xfffe
	s_or_saveexec_b32 s2, s3
	s_load_b64 s[20:21], s[20:21], 0x0
	s_xor_b32 exec_lo, exec_lo, s2
	s_cbranch_execz .LBB101_4
; %bb.3:
	v_cvt_f32_u32_e32 v0, s4
	s_sub_co_i32 s3, 0, s4
	s_delay_alu instid0(VALU_DEP_1) | instskip(NEXT) | instid1(TRANS32_DEP_1)
	v_rcp_iflag_f32_e32 v0, v0
	v_mul_f32_e32 v0, 0x4f7ffffe, v0
	s_delay_alu instid0(VALU_DEP_1) | instskip(SKIP_1) | instid1(VALU_DEP_1)
	v_cvt_u32_f32_e32 v0, v0
	s_wait_alu 0xfffe
	v_mul_lo_u32 v1, s3, v0
	s_delay_alu instid0(VALU_DEP_1) | instskip(NEXT) | instid1(VALU_DEP_1)
	v_mul_hi_u32 v1, v0, v1
	v_add_nc_u32_e32 v0, v0, v1
	s_delay_alu instid0(VALU_DEP_1) | instskip(NEXT) | instid1(VALU_DEP_1)
	v_mul_hi_u32 v0, v2, v0
	v_mul_lo_u32 v1, v0, s4
	v_add_nc_u32_e32 v4, 1, v0
	s_delay_alu instid0(VALU_DEP_2) | instskip(NEXT) | instid1(VALU_DEP_1)
	v_sub_nc_u32_e32 v1, v2, v1
	v_subrev_nc_u32_e32 v5, s4, v1
	v_cmp_le_u32_e32 vcc_lo, s4, v1
	s_wait_alu 0xfffd
	s_delay_alu instid0(VALU_DEP_2) | instskip(NEXT) | instid1(VALU_DEP_1)
	v_dual_cndmask_b32 v1, v1, v5 :: v_dual_cndmask_b32 v0, v0, v4
	v_cmp_le_u32_e32 vcc_lo, s4, v1
	s_delay_alu instid0(VALU_DEP_2) | instskip(SKIP_1) | instid1(VALU_DEP_1)
	v_dual_mov_b32 v1, 0 :: v_dual_add_nc_u32 v4, 1, v0
	s_wait_alu 0xfffd
	v_cndmask_b32_e32 v0, v0, v4, vcc_lo
.LBB101_4:
	s_or_b32 exec_lo, exec_lo, s2
	s_load_b128 s[24:27], s[0:1], 0x20
	v_mul_lo_u32 v6, v1, s4
	s_delay_alu instid0(VALU_DEP_2) | instskip(SKIP_3) | instid1(VALU_DEP_2)
	v_mul_lo_u32 v7, v0, s5
	v_mad_co_u64_u32 v[4:5], null, v0, s4, 0
	s_wait_kmcnt 0x0
	v_cmp_gt_i64_e64 s2, s[20:21], v[0:1]
	v_add3_u32 v5, v5, v7, v6
	s_delay_alu instid0(VALU_DEP_3) | instskip(SKIP_1) | instid1(VALU_DEP_2)
	v_sub_co_u32 v4, vcc_lo, v2, v4
	s_wait_alu 0xfffd
	v_sub_co_ci_u32_e64 v5, null, v3, v5, vcc_lo
	s_delay_alu instid0(VALU_DEP_1)
	v_cmp_gt_i64_e32 vcc_lo, s[26:27], v[4:5]
	s_and_b32 s2, vcc_lo, s2
	s_wait_alu 0xfffe
	s_and_saveexec_b32 s3, s2
	s_cbranch_execz .LBB101_18
; %bb.5:
	s_load_b256 s[4:11], s[0:1], 0x38
	v_lshlrev_b64_e32 v[2:3], 3, v[0:1]
	s_load_b256 s[12:19], s[0:1], 0x0
	s_add_nc_u64 s[2:3], s[20:21], -1
	v_dual_mov_b32 v6, s24 :: v_dual_mov_b32 v7, s25
	s_wait_kmcnt 0x0
	s_delay_alu instid0(VALU_DEP_2)
	v_add_co_u32 v8, vcc_lo, s10, v2
	s_wait_alu 0xfffd
	v_add_co_ci_u32_e64 v9, null, s11, v3, vcc_lo
	s_wait_alu 0xfffe
	v_cmp_ne_u64_e32 vcc_lo, s[2:3], v[0:1]
	global_load_b64 v[2:3], v[8:9], off
	s_and_saveexec_b32 s2, vcc_lo
	s_cbranch_execz .LBB101_7
; %bb.6:
	global_load_b64 v[6:7], v[8:9], off offset:8
.LBB101_7:
	s_wait_alu 0xfffe
	s_or_b32 exec_lo, exec_lo, s2
	s_wait_loadcnt 0x0
	v_mov_b32_e32 v7, 0
	v_lshlrev_b64_e32 v[4:5], 3, v[4:5]
	v_mov_b32_e32 v8, 0
	s_mov_b32 s2, exec_lo
	v_cmpx_lt_i32_e64 v2, v6
	s_cbranch_execz .LBB101_17
; %bb.8:
	s_load_b32 s0, s[0:1], 0x30
	v_ashrrev_i32_e32 v3, 31, v2
	v_add_co_u32 v21, vcc_lo, s14, v4
	s_wait_alu 0xfffd
	v_add_co_ci_u32_e64 v22, null, s15, v5, vcc_lo
	s_delay_alu instid0(VALU_DEP_3)
	v_lshlrev_b64_e32 v[11:12], 3, v[2:3]
	s_cmp_lg_u64 s[18:19], 0
	v_mov_b32_e32 v7, 0
	s_cselect_b32 s1, -1, 0
	s_cmp_lg_u64 s[6:7], 0
	v_dual_mov_b32 v8, 0 :: v_dual_mov_b32 v13, 0
	v_add_co_u32 v9, vcc_lo, s12, v11
	s_wait_alu 0xfffd
	v_add_co_ci_u32_e64 v10, null, s13, v12, vcc_lo
	v_add_co_u32 v11, vcc_lo, s18, v11
	s_wait_alu 0xfffd
	v_add_co_ci_u32_e64 v12, null, s19, v12, vcc_lo
	s_cselect_b32 s3, -1, 0
	s_wait_kmcnt 0x0
	s_cmp_lg_u32 s0, 0
	s_mov_b32 s11, 0
	s_cselect_b32 s10, -1, 0
	s_mov_b32 s12, s26
	s_branch .LBB101_10
.LBB101_9:                              ;   in Loop: Header=BB101_10 Depth=1
	s_wait_loadcnt 0x0
	s_delay_alu instid0(VALU_DEP_1) | instskip(SKIP_4) | instid1(VALU_DEP_3)
	v_fma_f64 v[7:8], v[15:16], v[18:19], v[7:8]
	v_add_nc_u32_e32 v2, 1, v2
	v_add_co_u32 v9, vcc_lo, v9, 8
	s_wait_alu 0xfffd
	v_add_co_ci_u32_e64 v10, null, 0, v10, vcc_lo
	v_cmp_ge_i32_e32 vcc_lo, v2, v6
	v_add_co_u32 v11, s0, v11, 8
	s_wait_alu 0xf1ff
	v_add_co_ci_u32_e64 v12, null, 0, v12, s0
	s_or_b32 s11, vcc_lo, s11
	s_wait_alu 0xfffe
	s_and_not1_b32 exec_lo, exec_lo, s11
	s_cbranch_execz .LBB101_16
.LBB101_10:                             ; =>This Inner Loop Header: Depth=1
	global_load_b64 v[19:20], v[9:10], off
	s_wait_loadcnt 0x0
	v_mov_b32_e32 v14, v19
	s_delay_alu instid0(VALU_DEP_1) | instskip(NEXT) | instid1(VALU_DEP_1)
	v_ashrrev_i64 v[14:15], 29, v[13:14]
	v_add_co_u32 v14, vcc_lo, s16, v14
	s_wait_alu 0xfffd
	s_delay_alu instid0(VALU_DEP_2)
	v_add_co_ci_u32_e64 v15, null, s17, v15, vcc_lo
	s_wait_alu 0xfffe
	s_and_not1_b32 vcc_lo, exec_lo, s1
	global_load_b64 v[17:18], v[14:15], off
	s_wait_alu 0xfffe
	s_cbranch_vccnz .LBB101_15
; %bb.11:                               ;   in Loop: Header=BB101_10 Depth=1
	global_load_b64 v[14:15], v[11:12], off
	s_wait_loadcnt 0x0
	v_cvt_f64_i32_e32 v[15:16], v15
	v_cvt_f64_u32_e32 v[23:24], v14
	s_delay_alu instid0(VALU_DEP_2) | instskip(NEXT) | instid1(VALU_DEP_1)
	v_ldexp_f64 v[14:15], v[15:16], 32
	v_add_f64_e32 v[14:15], v[14:15], v[23:24]
	s_delay_alu instid0(VALU_DEP_1) | instskip(NEXT) | instid1(VALU_DEP_1)
	v_div_scale_f64 v[23:24], null, v[14:15], v[14:15], 1.0
	v_rcp_f64_e32 v[25:26], v[23:24]
	s_delay_alu instid0(TRANS32_DEP_1) | instskip(NEXT) | instid1(VALU_DEP_1)
	v_fma_f64 v[27:28], -v[23:24], v[25:26], 1.0
	v_fma_f64 v[25:26], v[25:26], v[27:28], v[25:26]
	s_delay_alu instid0(VALU_DEP_1) | instskip(NEXT) | instid1(VALU_DEP_1)
	v_fma_f64 v[27:28], -v[23:24], v[25:26], 1.0
	v_fma_f64 v[25:26], v[25:26], v[27:28], v[25:26]
	v_div_scale_f64 v[27:28], vcc_lo, 1.0, v[14:15], 1.0
	s_delay_alu instid0(VALU_DEP_1) | instskip(NEXT) | instid1(VALU_DEP_1)
	v_mul_f64_e32 v[29:30], v[27:28], v[25:26]
	v_fma_f64 v[23:24], -v[23:24], v[29:30], v[27:28]
	s_wait_alu 0xfffd
	s_delay_alu instid0(VALU_DEP_1) | instskip(NEXT) | instid1(VALU_DEP_1)
	v_div_fmas_f64 v[23:24], v[23:24], v[25:26], v[29:30]
	v_div_fixup_f64 v[15:16], v[23:24], v[14:15], 1.0
	s_and_not1_b32 vcc_lo, exec_lo, s3
	s_wait_alu 0xfffe
	s_cbranch_vccnz .LBB101_13
.LBB101_12:                             ;   in Loop: Header=BB101_10 Depth=1
	v_ashrrev_i32_e32 v3, 31, v19
	v_mul_lo_u32 v14, v19, s9
	v_mad_co_u64_u32 v[19:20], null, v19, s8, 0
	s_delay_alu instid0(VALU_DEP_3) | instskip(NEXT) | instid1(VALU_DEP_1)
	v_mul_lo_u32 v3, v3, s8
	v_add3_u32 v20, v20, v14, v3
	s_delay_alu instid0(VALU_DEP_1) | instskip(NEXT) | instid1(VALU_DEP_1)
	v_lshlrev_b64_e32 v[19:20], 3, v[19:20]
	v_add_co_u32 v19, vcc_lo, s6, v19
	s_wait_alu 0xfffd
	s_delay_alu instid0(VALU_DEP_2)
	v_add_co_ci_u32_e64 v20, null, s7, v20, vcc_lo
	global_load_b64 v[19:20], v[19:20], off
	s_wait_loadcnt 0x0
	v_mul_f64_e32 v[15:16], v[15:16], v[19:20]
.LBB101_13:                             ;   in Loop: Header=BB101_10 Depth=1
	s_wait_loadcnt 0x0
	v_mul_lo_u32 v3, s12, v17
	v_mul_lo_u32 v14, 0, v18
	v_mad_co_u64_u32 v[18:19], null, 0, v17, 0
	s_delay_alu instid0(VALU_DEP_1) | instskip(NEXT) | instid1(VALU_DEP_1)
	v_add3_u32 v19, v19, v14, v3
	v_ashrrev_i64 v[18:19], 29, v[18:19]
	s_delay_alu instid0(VALU_DEP_1) | instskip(SKIP_1) | instid1(VALU_DEP_2)
	v_add_co_u32 v18, vcc_lo, v21, v18
	s_wait_alu 0xfffd
	v_add_co_ci_u32_e64 v19, null, v22, v19, vcc_lo
	s_and_not1_b32 vcc_lo, exec_lo, s10
	global_load_b64 v[18:19], v[18:19], off
	s_wait_alu 0xfffe
	s_cbranch_vccnz .LBB101_9
; %bb.14:                               ;   in Loop: Header=BB101_10 Depth=1
	v_mov_b32_e32 v14, v17
	s_delay_alu instid0(VALU_DEP_1) | instskip(NEXT) | instid1(VALU_DEP_1)
	v_ashrrev_i64 v[23:24], 29, v[13:14]
	v_add_co_u32 v23, vcc_lo, s4, v23
	s_wait_alu 0xfffd
	s_delay_alu instid0(VALU_DEP_2) | instskip(SKIP_4) | instid1(VALU_DEP_2)
	v_add_co_ci_u32_e64 v24, null, s5, v24, vcc_lo
	global_load_b64 v[23:24], v[23:24], off
	s_wait_loadcnt 0x0
	v_cvt_f64_i32_e32 v[24:25], v24
	v_cvt_f64_u32_e32 v[26:27], v23
	v_ldexp_f64 v[23:24], v[24:25], 32
	s_delay_alu instid0(VALU_DEP_1) | instskip(NEXT) | instid1(VALU_DEP_1)
	v_add_f64_e32 v[23:24], v[23:24], v[26:27]
	v_div_scale_f64 v[25:26], null, v[23:24], v[23:24], v[18:19]
	s_delay_alu instid0(VALU_DEP_1) | instskip(NEXT) | instid1(TRANS32_DEP_1)
	v_rcp_f64_e32 v[27:28], v[25:26]
	v_fma_f64 v[29:30], -v[25:26], v[27:28], 1.0
	s_delay_alu instid0(VALU_DEP_1) | instskip(NEXT) | instid1(VALU_DEP_1)
	v_fma_f64 v[27:28], v[27:28], v[29:30], v[27:28]
	v_fma_f64 v[29:30], -v[25:26], v[27:28], 1.0
	s_delay_alu instid0(VALU_DEP_1) | instskip(SKIP_1) | instid1(VALU_DEP_1)
	v_fma_f64 v[27:28], v[27:28], v[29:30], v[27:28]
	v_div_scale_f64 v[29:30], vcc_lo, v[18:19], v[23:24], v[18:19]
	v_mul_f64_e32 v[31:32], v[29:30], v[27:28]
	s_delay_alu instid0(VALU_DEP_1) | instskip(SKIP_1) | instid1(VALU_DEP_1)
	v_fma_f64 v[25:26], -v[25:26], v[31:32], v[29:30]
	s_wait_alu 0xfffd
	v_div_fmas_f64 v[25:26], v[25:26], v[27:28], v[31:32]
	s_delay_alu instid0(VALU_DEP_1)
	v_div_fixup_f64 v[18:19], v[25:26], v[23:24], v[18:19]
	s_branch .LBB101_9
.LBB101_15:                             ;   in Loop: Header=BB101_10 Depth=1
	v_mov_b32_e32 v15, 0
	v_mov_b32_e32 v16, 0x3ff00000
	s_and_not1_b32 vcc_lo, exec_lo, s3
	s_wait_alu 0xfffe
	s_cbranch_vccz .LBB101_12
	s_branch .LBB101_13
.LBB101_16:
	s_or_b32 exec_lo, exec_lo, s11
.LBB101_17:
	s_wait_alu 0xfffe
	s_or_b32 exec_lo, exec_lo, s2
	v_mul_lo_u32 v2, v1, s26
	v_mul_lo_u32 v3, v0, s27
	v_mad_co_u64_u32 v[0:1], null, v0, s26, 0
	s_delay_alu instid0(VALU_DEP_1) | instskip(NEXT) | instid1(VALU_DEP_1)
	v_add3_u32 v1, v1, v3, v2
	v_lshlrev_b64_e32 v[0:1], 3, v[0:1]
	s_delay_alu instid0(VALU_DEP_1) | instskip(SKIP_1) | instid1(VALU_DEP_2)
	v_add_co_u32 v0, vcc_lo, s22, v0
	s_wait_alu 0xfffd
	v_add_co_ci_u32_e64 v1, null, s23, v1, vcc_lo
	s_delay_alu instid0(VALU_DEP_2) | instskip(SKIP_1) | instid1(VALU_DEP_2)
	v_add_co_u32 v0, vcc_lo, v0, v4
	s_wait_alu 0xfffd
	v_add_co_ci_u32_e64 v1, null, v1, v5, vcc_lo
	global_store_b64 v[0:1], v[7:8], off
.LBB101_18:
	s_endpgm
	.section	.rodata,"a",@progbits
	.p2align	6, 0x0
	.amdhsa_kernel _ZN2at6native12_GLOBAL__N_124compute_grad_weight_bagsIdlEEvPKT0_PKT_S5_S5_lliS5_S8_lS5_PKlPNS_14AccumulateTypeIS6_Lb1EE4typeEl
		.amdhsa_group_segment_fixed_size 0
		.amdhsa_private_segment_fixed_size 0
		.amdhsa_kernarg_size 368
		.amdhsa_user_sgpr_count 2
		.amdhsa_user_sgpr_dispatch_ptr 0
		.amdhsa_user_sgpr_queue_ptr 0
		.amdhsa_user_sgpr_kernarg_segment_ptr 1
		.amdhsa_user_sgpr_dispatch_id 0
		.amdhsa_user_sgpr_private_segment_size 0
		.amdhsa_wavefront_size32 1
		.amdhsa_uses_dynamic_stack 0
		.amdhsa_enable_private_segment 0
		.amdhsa_system_sgpr_workgroup_id_x 1
		.amdhsa_system_sgpr_workgroup_id_y 0
		.amdhsa_system_sgpr_workgroup_id_z 0
		.amdhsa_system_sgpr_workgroup_info 0
		.amdhsa_system_vgpr_workitem_id 0
		.amdhsa_next_free_vgpr 33
		.amdhsa_next_free_sgpr 28
		.amdhsa_reserve_vcc 1
		.amdhsa_float_round_mode_32 0
		.amdhsa_float_round_mode_16_64 0
		.amdhsa_float_denorm_mode_32 3
		.amdhsa_float_denorm_mode_16_64 3
		.amdhsa_fp16_overflow 0
		.amdhsa_workgroup_processor_mode 1
		.amdhsa_memory_ordered 1
		.amdhsa_forward_progress 1
		.amdhsa_inst_pref_size 18
		.amdhsa_round_robin_scheduling 0
		.amdhsa_exception_fp_ieee_invalid_op 0
		.amdhsa_exception_fp_denorm_src 0
		.amdhsa_exception_fp_ieee_div_zero 0
		.amdhsa_exception_fp_ieee_overflow 0
		.amdhsa_exception_fp_ieee_underflow 0
		.amdhsa_exception_fp_ieee_inexact 0
		.amdhsa_exception_int_div_zero 0
	.end_amdhsa_kernel
	.section	.text._ZN2at6native12_GLOBAL__N_124compute_grad_weight_bagsIdlEEvPKT0_PKT_S5_S5_lliS5_S8_lS5_PKlPNS_14AccumulateTypeIS6_Lb1EE4typeEl,"axG",@progbits,_ZN2at6native12_GLOBAL__N_124compute_grad_weight_bagsIdlEEvPKT0_PKT_S5_S5_lliS5_S8_lS5_PKlPNS_14AccumulateTypeIS6_Lb1EE4typeEl,comdat
.Lfunc_end101:
	.size	_ZN2at6native12_GLOBAL__N_124compute_grad_weight_bagsIdlEEvPKT0_PKT_S5_S5_lliS5_S8_lS5_PKlPNS_14AccumulateTypeIS6_Lb1EE4typeEl, .Lfunc_end101-_ZN2at6native12_GLOBAL__N_124compute_grad_weight_bagsIdlEEvPKT0_PKT_S5_S5_lliS5_S8_lS5_PKlPNS_14AccumulateTypeIS6_Lb1EE4typeEl
                                        ; -- End function
	.set _ZN2at6native12_GLOBAL__N_124compute_grad_weight_bagsIdlEEvPKT0_PKT_S5_S5_lliS5_S8_lS5_PKlPNS_14AccumulateTypeIS6_Lb1EE4typeEl.num_vgpr, 33
	.set _ZN2at6native12_GLOBAL__N_124compute_grad_weight_bagsIdlEEvPKT0_PKT_S5_S5_lliS5_S8_lS5_PKlPNS_14AccumulateTypeIS6_Lb1EE4typeEl.num_agpr, 0
	.set _ZN2at6native12_GLOBAL__N_124compute_grad_weight_bagsIdlEEvPKT0_PKT_S5_S5_lliS5_S8_lS5_PKlPNS_14AccumulateTypeIS6_Lb1EE4typeEl.numbered_sgpr, 28
	.set _ZN2at6native12_GLOBAL__N_124compute_grad_weight_bagsIdlEEvPKT0_PKT_S5_S5_lliS5_S8_lS5_PKlPNS_14AccumulateTypeIS6_Lb1EE4typeEl.num_named_barrier, 0
	.set _ZN2at6native12_GLOBAL__N_124compute_grad_weight_bagsIdlEEvPKT0_PKT_S5_S5_lliS5_S8_lS5_PKlPNS_14AccumulateTypeIS6_Lb1EE4typeEl.private_seg_size, 0
	.set _ZN2at6native12_GLOBAL__N_124compute_grad_weight_bagsIdlEEvPKT0_PKT_S5_S5_lliS5_S8_lS5_PKlPNS_14AccumulateTypeIS6_Lb1EE4typeEl.uses_vcc, 1
	.set _ZN2at6native12_GLOBAL__N_124compute_grad_weight_bagsIdlEEvPKT0_PKT_S5_S5_lliS5_S8_lS5_PKlPNS_14AccumulateTypeIS6_Lb1EE4typeEl.uses_flat_scratch, 0
	.set _ZN2at6native12_GLOBAL__N_124compute_grad_weight_bagsIdlEEvPKT0_PKT_S5_S5_lliS5_S8_lS5_PKlPNS_14AccumulateTypeIS6_Lb1EE4typeEl.has_dyn_sized_stack, 0
	.set _ZN2at6native12_GLOBAL__N_124compute_grad_weight_bagsIdlEEvPKT0_PKT_S5_S5_lliS5_S8_lS5_PKlPNS_14AccumulateTypeIS6_Lb1EE4typeEl.has_recursion, 0
	.set _ZN2at6native12_GLOBAL__N_124compute_grad_weight_bagsIdlEEvPKT0_PKT_S5_S5_lliS5_S8_lS5_PKlPNS_14AccumulateTypeIS6_Lb1EE4typeEl.has_indirect_call, 0
	.section	.AMDGPU.csdata,"",@progbits
; Kernel info:
; codeLenInByte = 2212
; TotalNumSgprs: 30
; NumVgprs: 33
; ScratchSize: 0
; MemoryBound: 0
; FloatMode: 240
; IeeeMode: 1
; LDSByteSize: 0 bytes/workgroup (compile time only)
; SGPRBlocks: 0
; VGPRBlocks: 4
; NumSGPRsForWavesPerEU: 30
; NumVGPRsForWavesPerEU: 33
; Occupancy: 16
; WaveLimiterHint : 1
; COMPUTE_PGM_RSRC2:SCRATCH_EN: 0
; COMPUTE_PGM_RSRC2:USER_SGPR: 2
; COMPUTE_PGM_RSRC2:TRAP_HANDLER: 0
; COMPUTE_PGM_RSRC2:TGID_X_EN: 1
; COMPUTE_PGM_RSRC2:TGID_Y_EN: 0
; COMPUTE_PGM_RSRC2:TGID_Z_EN: 0
; COMPUTE_PGM_RSRC2:TIDIG_COMP_CNT: 0
	.section	.text._ZN2at6native12_GLOBAL__N_119compute_grad_weightIdlEEvPKT0_PKT_S5_llS5_PKlPNS_14AccumulateTypeIS6_Lb1EE4typeEl,"axG",@progbits,_ZN2at6native12_GLOBAL__N_119compute_grad_weightIdlEEvPKT0_PKT_S5_llS5_PKlPNS_14AccumulateTypeIS6_Lb1EE4typeEl,comdat
	.globl	_ZN2at6native12_GLOBAL__N_119compute_grad_weightIdlEEvPKT0_PKT_S5_llS5_PKlPNS_14AccumulateTypeIS6_Lb1EE4typeEl ; -- Begin function _ZN2at6native12_GLOBAL__N_119compute_grad_weightIdlEEvPKT0_PKT_S5_llS5_PKlPNS_14AccumulateTypeIS6_Lb1EE4typeEl
	.p2align	8
	.type	_ZN2at6native12_GLOBAL__N_119compute_grad_weightIdlEEvPKT0_PKT_S5_llS5_PKlPNS_14AccumulateTypeIS6_Lb1EE4typeEl,@function
_ZN2at6native12_GLOBAL__N_119compute_grad_weightIdlEEvPKT0_PKT_S5_llS5_PKlPNS_14AccumulateTypeIS6_Lb1EE4typeEl: ; @_ZN2at6native12_GLOBAL__N_119compute_grad_weightIdlEEvPKT0_PKT_S5_llS5_PKlPNS_14AccumulateTypeIS6_Lb1EE4typeEl
; %bb.0:
	s_clause 0x2
	s_load_b32 s20, s[0:1], 0x54
	s_load_b64 s[2:3], s[0:1], 0x40
	s_load_b512 s[4:19], s[0:1], 0x0
	v_mov_b32_e32 v1, 0
	s_delay_alu instid0(VALU_DEP_1) | instskip(SKIP_2) | instid1(SALU_CYCLE_1)
	v_mov_b32_e32 v4, v1
	s_wait_kmcnt 0x0
	s_and_b32 s0, s20, 0xffff
	v_mad_co_u64_u32 v[2:3], null, s0, ttmp9, v[0:1]
                                        ; implicit-def: $vgpr0_vgpr1
	s_mov_b32 s0, exec_lo
	v_or_b32_e32 v5, s3, v3
	s_delay_alu instid0(VALU_DEP_1)
	v_cmpx_ne_u64_e32 0, v[4:5]
	s_wait_alu 0xfffe
	s_xor_b32 s1, exec_lo, s0
	s_cbranch_execz .LBB102_2
; %bb.1:
	s_ashr_i32 s20, s3, 31
	s_mov_b32 s31, 0
	s_mov_b32 s21, s20
	v_ashrrev_i32_e32 v8, 31, v3
	s_add_nc_u64 s[22:23], s[2:3], s[20:21]
	s_delay_alu instid0(SALU_CYCLE_1) | instskip(NEXT) | instid1(VALU_DEP_1)
	s_xor_b64 s[22:23], s[22:23], s[20:21]
	v_add_co_u32 v0, vcc_lo, v2, v8
	s_cvt_f32_u32 s0, s22
	s_cvt_f32_u32 s21, s23
	s_sub_nc_u64 s[26:27], 0, s[22:23]
	v_add_co_ci_u32_e64 v1, null, v3, v8, vcc_lo
	s_wait_alu 0xfffe
	s_fmamk_f32 s0, s21, 0x4f800000, s0
	v_xor_b32_e32 v9, v0, v8
	s_delay_alu instid0(VALU_DEP_2) | instskip(SKIP_2) | instid1(TRANS32_DEP_1)
	v_xor_b32_e32 v10, v1, v8
	s_wait_alu 0xfffe
	v_s_rcp_f32 s0, s0
	s_mul_f32 s0, s0, 0x5f7ffffc
	s_wait_alu 0xfffe
	s_delay_alu instid0(SALU_CYCLE_2) | instskip(NEXT) | instid1(SALU_CYCLE_3)
	s_mul_f32 s21, s0, 0x2f800000
	s_trunc_f32 s21, s21
	s_delay_alu instid0(SALU_CYCLE_3) | instskip(SKIP_2) | instid1(SALU_CYCLE_1)
	s_fmamk_f32 s0, s21, 0xcf800000, s0
	s_cvt_u32_f32 s25, s21
	s_wait_alu 0xfffe
	s_cvt_u32_f32 s24, s0
	s_delay_alu instid0(SALU_CYCLE_3) | instskip(NEXT) | instid1(SALU_CYCLE_1)
	s_mul_u64 s[28:29], s[26:27], s[24:25]
	s_mul_hi_u32 s35, s24, s29
	s_mul_i32 s34, s24, s29
	s_mul_hi_u32 s30, s24, s28
	s_mul_i32 s21, s25, s28
	s_add_nc_u64 s[34:35], s[30:31], s[34:35]
	s_mul_hi_u32 s0, s25, s28
	s_mul_hi_u32 s33, s25, s29
	s_add_co_u32 s21, s34, s21
	s_wait_alu 0xfffe
	s_add_co_ci_u32 s30, s35, s0
	s_mul_i32 s28, s25, s29
	s_add_co_ci_u32 s29, s33, 0
	s_delay_alu instid0(SALU_CYCLE_1) | instskip(NEXT) | instid1(SALU_CYCLE_1)
	s_add_nc_u64 s[28:29], s[30:31], s[28:29]
	s_add_co_u32 s24, s24, s28
	s_cselect_b32 s0, -1, 0
	s_wait_alu 0xfffe
	s_cmp_lg_u32 s0, 0
	s_add_co_ci_u32 s25, s25, s29
	s_delay_alu instid0(SALU_CYCLE_1) | instskip(NEXT) | instid1(SALU_CYCLE_1)
	s_mul_u64 s[26:27], s[26:27], s[24:25]
	s_mul_hi_u32 s29, s24, s27
	s_mul_i32 s28, s24, s27
	s_mul_hi_u32 s30, s24, s26
	s_mul_i32 s21, s25, s26
	s_add_nc_u64 s[28:29], s[30:31], s[28:29]
	s_mul_hi_u32 s0, s25, s26
	s_mul_hi_u32 s33, s25, s27
	s_add_co_u32 s21, s28, s21
	s_wait_alu 0xfffe
	s_add_co_ci_u32 s30, s29, s0
	s_mul_i32 s26, s25, s27
	s_add_co_ci_u32 s27, s33, 0
	s_delay_alu instid0(SALU_CYCLE_1) | instskip(NEXT) | instid1(SALU_CYCLE_1)
	s_add_nc_u64 s[26:27], s[30:31], s[26:27]
	s_add_co_u32 s0, s24, s26
	s_cselect_b32 s21, -1, 0
	s_wait_alu 0xfffe
	v_mul_hi_u32 v11, v9, s0
	s_cmp_lg_u32 s21, 0
	v_mad_co_u64_u32 v[4:5], null, v10, s0, 0
	s_add_co_ci_u32 s21, s25, s27
	s_delay_alu instid0(SALU_CYCLE_1) | instskip(SKIP_1) | instid1(VALU_DEP_2)
	v_mad_co_u64_u32 v[0:1], null, v9, s21, 0
	v_mad_co_u64_u32 v[6:7], null, v10, s21, 0
	v_add_co_u32 v0, vcc_lo, v11, v0
	s_wait_alu 0xfffd
	s_delay_alu instid0(VALU_DEP_3) | instskip(NEXT) | instid1(VALU_DEP_2)
	v_add_co_ci_u32_e64 v1, null, 0, v1, vcc_lo
	v_add_co_u32 v0, vcc_lo, v0, v4
	s_wait_alu 0xfffd
	s_delay_alu instid0(VALU_DEP_2) | instskip(SKIP_2) | instid1(VALU_DEP_2)
	v_add_co_ci_u32_e32 v0, vcc_lo, v1, v5, vcc_lo
	s_wait_alu 0xfffd
	v_add_co_ci_u32_e32 v1, vcc_lo, 0, v7, vcc_lo
	v_add_co_u32 v4, vcc_lo, v0, v6
	s_wait_alu 0xfffd
	s_delay_alu instid0(VALU_DEP_2) | instskip(NEXT) | instid1(VALU_DEP_2)
	v_add_co_ci_u32_e64 v5, null, 0, v1, vcc_lo
	v_mul_lo_u32 v6, s23, v4
	v_mad_co_u64_u32 v[0:1], null, s22, v4, 0
	s_delay_alu instid0(VALU_DEP_3) | instskip(NEXT) | instid1(VALU_DEP_2)
	v_mul_lo_u32 v7, s22, v5
	v_sub_co_u32 v0, vcc_lo, v9, v0
	s_delay_alu instid0(VALU_DEP_2) | instskip(SKIP_3) | instid1(VALU_DEP_3)
	v_add3_u32 v1, v1, v7, v6
	v_add_co_u32 v7, s0, v4, 2
	s_wait_alu 0xf1ff
	v_add_co_ci_u32_e64 v9, null, 0, v5, s0
	v_sub_nc_u32_e32 v6, v10, v1
	v_sub_co_u32 v11, s0, v0, s22
	s_wait_alu 0xfffd
	v_sub_co_ci_u32_e64 v1, null, v10, v1, vcc_lo
	s_delay_alu instid0(VALU_DEP_3) | instskip(NEXT) | instid1(VALU_DEP_3)
	v_subrev_co_ci_u32_e64 v6, null, s23, v6, vcc_lo
	v_cmp_le_u32_e32 vcc_lo, s22, v11
	s_wait_alu 0xf1ff
	s_delay_alu instid0(VALU_DEP_2) | instskip(SKIP_2) | instid1(VALU_DEP_2)
	v_subrev_co_ci_u32_e64 v6, null, 0, v6, s0
	s_wait_alu 0xfffd
	v_cndmask_b32_e64 v10, 0, -1, vcc_lo
	v_cmp_le_u32_e32 vcc_lo, s23, v6
	s_wait_alu 0xfffd
	v_cndmask_b32_e64 v11, 0, -1, vcc_lo
	v_cmp_le_u32_e32 vcc_lo, s22, v0
	;; [unrolled: 3-line block ×3, first 2 shown]
	s_wait_alu 0xfffd
	v_cndmask_b32_e64 v12, 0, -1, vcc_lo
	v_cmp_eq_u32_e32 vcc_lo, s23, v6
	s_wait_alu 0xfffd
	v_cndmask_b32_e32 v6, v11, v10, vcc_lo
	v_add_co_u32 v10, vcc_lo, v4, 1
	s_wait_alu 0xfffd
	v_add_co_ci_u32_e64 v11, null, 0, v5, vcc_lo
	v_cmp_eq_u32_e32 vcc_lo, s23, v1
	s_wait_alu 0xfffd
	v_cndmask_b32_e32 v0, v12, v0, vcc_lo
	v_cmp_ne_u32_e32 vcc_lo, 0, v6
	v_xor_b32_e32 v6, s20, v8
	s_wait_alu 0xfffd
	v_cndmask_b32_e32 v1, v11, v9, vcc_lo
	v_cmp_ne_u32_e64 s0, 0, v0
	v_cndmask_b32_e32 v0, v10, v7, vcc_lo
	s_wait_alu 0xf1ff
	s_delay_alu instid0(VALU_DEP_2) | instskip(NEXT) | instid1(VALU_DEP_2)
	v_cndmask_b32_e64 v1, v5, v1, s0
	v_cndmask_b32_e64 v0, v4, v0, s0
	s_delay_alu instid0(VALU_DEP_2) | instskip(NEXT) | instid1(VALU_DEP_2)
	v_xor_b32_e32 v1, v1, v6
	v_xor_b32_e32 v0, v0, v6
	s_delay_alu instid0(VALU_DEP_1) | instskip(SKIP_1) | instid1(VALU_DEP_3)
	v_sub_co_u32 v0, vcc_lo, v0, v6
	s_wait_alu 0xfffd
	v_sub_co_ci_u32_e64 v1, null, v1, v6, vcc_lo
.LBB102_2:
	s_wait_alu 0xfffe
	s_or_saveexec_b32 s0, s1
	s_load_b64 s[16:17], s[16:17], 0x0
	s_xor_b32 exec_lo, exec_lo, s0
	s_cbranch_execz .LBB102_4
; %bb.3:
	v_cvt_f32_u32_e32 v0, s2
	s_sub_co_i32 s1, 0, s2
	s_delay_alu instid0(VALU_DEP_1) | instskip(NEXT) | instid1(TRANS32_DEP_1)
	v_rcp_iflag_f32_e32 v0, v0
	v_mul_f32_e32 v0, 0x4f7ffffe, v0
	s_delay_alu instid0(VALU_DEP_1) | instskip(SKIP_1) | instid1(VALU_DEP_1)
	v_cvt_u32_f32_e32 v0, v0
	s_wait_alu 0xfffe
	v_mul_lo_u32 v1, s1, v0
	s_delay_alu instid0(VALU_DEP_1) | instskip(NEXT) | instid1(VALU_DEP_1)
	v_mul_hi_u32 v1, v0, v1
	v_add_nc_u32_e32 v0, v0, v1
	s_delay_alu instid0(VALU_DEP_1) | instskip(NEXT) | instid1(VALU_DEP_1)
	v_mul_hi_u32 v0, v2, v0
	v_mul_lo_u32 v1, v0, s2
	v_add_nc_u32_e32 v4, 1, v0
	s_delay_alu instid0(VALU_DEP_2) | instskip(NEXT) | instid1(VALU_DEP_1)
	v_sub_nc_u32_e32 v1, v2, v1
	v_subrev_nc_u32_e32 v5, s2, v1
	v_cmp_le_u32_e32 vcc_lo, s2, v1
	s_wait_alu 0xfffd
	s_delay_alu instid0(VALU_DEP_2) | instskip(NEXT) | instid1(VALU_DEP_1)
	v_dual_cndmask_b32 v1, v1, v5 :: v_dual_cndmask_b32 v0, v0, v4
	v_cmp_le_u32_e32 vcc_lo, s2, v1
	s_delay_alu instid0(VALU_DEP_2) | instskip(SKIP_1) | instid1(VALU_DEP_1)
	v_dual_mov_b32 v1, 0 :: v_dual_add_nc_u32 v4, 1, v0
	s_wait_alu 0xfffd
	v_cndmask_b32_e32 v0, v0, v4, vcc_lo
.LBB102_4:
	s_or_b32 exec_lo, exec_lo, s0
	s_delay_alu instid0(VALU_DEP_2) | instskip(NEXT) | instid1(VALU_DEP_2)
	v_mul_lo_u32 v6, v1, s2
	v_mul_lo_u32 v7, v0, s3
	v_mad_co_u64_u32 v[4:5], null, v0, s2, 0
	s_wait_kmcnt 0x0
	v_cmp_gt_i64_e64 s0, s[16:17], v[0:1]
	s_delay_alu instid0(VALU_DEP_2) | instskip(NEXT) | instid1(VALU_DEP_3)
	v_add3_u32 v5, v5, v7, v6
	v_sub_co_u32 v4, vcc_lo, v2, v4
	s_wait_alu 0xfffd
	s_delay_alu instid0(VALU_DEP_2) | instskip(NEXT) | instid1(VALU_DEP_1)
	v_sub_co_ci_u32_e64 v5, null, v3, v5, vcc_lo
	v_cmp_gt_i64_e32 vcc_lo, s[12:13], v[4:5]
	s_and_b32 s0, vcc_lo, s0
	s_wait_alu 0xfffe
	s_and_saveexec_b32 s1, s0
	s_cbranch_execz .LBB102_15
; %bb.5:
	v_lshlrev_b64_e32 v[2:3], 3, v[0:1]
	s_add_nc_u64 s[0:1], s[16:17], -1
	v_dual_mov_b32 v6, s10 :: v_dual_mov_b32 v7, s11
	s_delay_alu instid0(VALU_DEP_2) | instskip(SKIP_1) | instid1(VALU_DEP_3)
	v_add_co_u32 v8, vcc_lo, s14, v2
	s_wait_alu 0xfffd
	v_add_co_ci_u32_e64 v9, null, s15, v3, vcc_lo
	s_wait_alu 0xfffe
	v_cmp_ne_u64_e32 vcc_lo, s[0:1], v[0:1]
	global_load_b64 v[2:3], v[8:9], off
	s_and_saveexec_b32 s0, vcc_lo
	s_cbranch_execz .LBB102_7
; %bb.6:
	global_load_b64 v[6:7], v[8:9], off offset:8
.LBB102_7:
	s_wait_alu 0xfffe
	s_or_b32 exec_lo, exec_lo, s0
	s_wait_loadcnt 0x0
	v_mov_b32_e32 v7, 0
	v_lshlrev_b64_e32 v[4:5], 3, v[4:5]
	v_mov_b32_e32 v8, 0
	s_mov_b32 s1, exec_lo
	v_cmpx_lt_i32_e64 v2, v6
	s_cbranch_execz .LBB102_14
; %bb.8:
	v_ashrrev_i32_e32 v3, 31, v2
	s_cmp_lg_u64 s[8:9], 0
	s_mov_b32 s3, 0
	s_cselect_b32 s2, -1, 0
	s_delay_alu instid0(VALU_DEP_1) | instskip(SKIP_3) | instid1(VALU_DEP_3)
	v_lshlrev_b64_e32 v[7:8], 3, v[2:3]
	v_add_co_u32 v3, vcc_lo, s6, v4
	s_wait_alu 0xfffd
	v_add_co_ci_u32_e64 v17, null, s7, v5, vcc_lo
	v_add_co_u32 v9, vcc_lo, s4, v7
	s_wait_alu 0xfffd
	v_add_co_ci_u32_e64 v10, null, s5, v8, vcc_lo
	;; [unrolled: 3-line block ×3, first 2 shown]
	v_mov_b32_e32 v7, 0
	v_mov_b32_e32 v8, 0
	s_branch .LBB102_11
.LBB102_9:                              ;   in Loop: Header=BB102_11 Depth=1
	global_load_b64 v[15:16], v[11:12], off
	s_wait_loadcnt 0x0
	v_cvt_f64_i32_e32 v[18:19], v16
	v_cvt_f64_u32_e32 v[15:16], v15
	s_delay_alu instid0(VALU_DEP_2) | instskip(NEXT) | instid1(VALU_DEP_1)
	v_ldexp_f64 v[18:19], v[18:19], 32
	v_add_f64_e32 v[15:16], v[18:19], v[15:16]
	s_delay_alu instid0(VALU_DEP_1) | instskip(NEXT) | instid1(VALU_DEP_1)
	v_div_scale_f64 v[18:19], null, v[15:16], v[15:16], 1.0
	v_rcp_f64_e32 v[20:21], v[18:19]
	s_delay_alu instid0(TRANS32_DEP_1) | instskip(NEXT) | instid1(VALU_DEP_1)
	v_fma_f64 v[22:23], -v[18:19], v[20:21], 1.0
	v_fma_f64 v[20:21], v[20:21], v[22:23], v[20:21]
	s_delay_alu instid0(VALU_DEP_1) | instskip(NEXT) | instid1(VALU_DEP_1)
	v_fma_f64 v[22:23], -v[18:19], v[20:21], 1.0
	v_fma_f64 v[20:21], v[20:21], v[22:23], v[20:21]
	v_div_scale_f64 v[22:23], vcc_lo, 1.0, v[15:16], 1.0
	s_delay_alu instid0(VALU_DEP_1) | instskip(NEXT) | instid1(VALU_DEP_1)
	v_mul_f64_e32 v[24:25], v[22:23], v[20:21]
	v_fma_f64 v[18:19], -v[18:19], v[24:25], v[22:23]
	s_wait_alu 0xfffd
	s_delay_alu instid0(VALU_DEP_1) | instskip(NEXT) | instid1(VALU_DEP_1)
	v_div_fmas_f64 v[18:19], v[18:19], v[20:21], v[24:25]
	v_div_fixup_f64 v[15:16], v[18:19], v[15:16], 1.0
.LBB102_10:                             ;   in Loop: Header=BB102_11 Depth=1
	s_wait_loadcnt 0x0
	v_mul_lo_u32 v18, v14, s12
	v_mul_lo_u32 v19, v13, s13
	v_mad_co_u64_u32 v[13:14], null, v13, s12, 0
	v_add_nc_u32_e32 v2, 1, v2
	v_add_co_u32 v11, s0, v11, 8
	s_wait_alu 0xf1ff
	v_add_co_ci_u32_e64 v12, null, 0, v12, s0
	s_delay_alu instid0(VALU_DEP_4) | instskip(NEXT) | instid1(VALU_DEP_1)
	v_add3_u32 v14, v14, v19, v18
	v_lshlrev_b64_e32 v[13:14], 3, v[13:14]
	s_delay_alu instid0(VALU_DEP_1) | instskip(SKIP_1) | instid1(VALU_DEP_2)
	v_add_co_u32 v13, vcc_lo, v3, v13
	s_wait_alu 0xfffd
	v_add_co_ci_u32_e64 v14, null, v17, v14, vcc_lo
	v_add_co_u32 v9, vcc_lo, v9, 8
	s_wait_alu 0xfffd
	v_add_co_ci_u32_e64 v10, null, 0, v10, vcc_lo
	global_load_b64 v[13:14], v[13:14], off
	v_cmp_ge_i32_e32 vcc_lo, v2, v6
	s_or_b32 s3, vcc_lo, s3
	s_wait_loadcnt 0x0
	v_fma_f64 v[7:8], v[15:16], v[13:14], v[7:8]
	s_wait_alu 0xfffe
	s_and_not1_b32 exec_lo, exec_lo, s3
	s_cbranch_execz .LBB102_13
.LBB102_11:                             ; =>This Inner Loop Header: Depth=1
	global_load_b64 v[13:14], v[9:10], off
	s_wait_alu 0xfffe
	s_and_not1_b32 vcc_lo, exec_lo, s2
	s_wait_alu 0xfffe
	s_cbranch_vccz .LBB102_9
; %bb.12:                               ;   in Loop: Header=BB102_11 Depth=1
	v_mov_b32_e32 v15, 0
	v_mov_b32_e32 v16, 0x3ff00000
	s_branch .LBB102_10
.LBB102_13:
	s_or_b32 exec_lo, exec_lo, s3
.LBB102_14:
	s_wait_alu 0xfffe
	s_or_b32 exec_lo, exec_lo, s1
	v_mul_lo_u32 v2, v1, s12
	v_mul_lo_u32 v3, v0, s13
	v_mad_co_u64_u32 v[0:1], null, v0, s12, 0
	s_delay_alu instid0(VALU_DEP_1) | instskip(NEXT) | instid1(VALU_DEP_1)
	v_add3_u32 v1, v1, v3, v2
	v_lshlrev_b64_e32 v[0:1], 3, v[0:1]
	s_delay_alu instid0(VALU_DEP_1) | instskip(SKIP_1) | instid1(VALU_DEP_2)
	v_add_co_u32 v0, vcc_lo, s18, v0
	s_wait_alu 0xfffd
	v_add_co_ci_u32_e64 v1, null, s19, v1, vcc_lo
	s_delay_alu instid0(VALU_DEP_2) | instskip(SKIP_1) | instid1(VALU_DEP_2)
	v_add_co_u32 v0, vcc_lo, v0, v4
	s_wait_alu 0xfffd
	v_add_co_ci_u32_e64 v1, null, v1, v5, vcc_lo
	global_store_b64 v[0:1], v[7:8], off
.LBB102_15:
	s_endpgm
	.section	.rodata,"a",@progbits
	.p2align	6, 0x0
	.amdhsa_kernel _ZN2at6native12_GLOBAL__N_119compute_grad_weightIdlEEvPKT0_PKT_S5_llS5_PKlPNS_14AccumulateTypeIS6_Lb1EE4typeEl
		.amdhsa_group_segment_fixed_size 0
		.amdhsa_private_segment_fixed_size 0
		.amdhsa_kernarg_size 328
		.amdhsa_user_sgpr_count 2
		.amdhsa_user_sgpr_dispatch_ptr 0
		.amdhsa_user_sgpr_queue_ptr 0
		.amdhsa_user_sgpr_kernarg_segment_ptr 1
		.amdhsa_user_sgpr_dispatch_id 0
		.amdhsa_user_sgpr_private_segment_size 0
		.amdhsa_wavefront_size32 1
		.amdhsa_uses_dynamic_stack 0
		.amdhsa_enable_private_segment 0
		.amdhsa_system_sgpr_workgroup_id_x 1
		.amdhsa_system_sgpr_workgroup_id_y 0
		.amdhsa_system_sgpr_workgroup_id_z 0
		.amdhsa_system_sgpr_workgroup_info 0
		.amdhsa_system_vgpr_workitem_id 0
		.amdhsa_next_free_vgpr 26
		.amdhsa_next_free_sgpr 36
		.amdhsa_reserve_vcc 1
		.amdhsa_float_round_mode_32 0
		.amdhsa_float_round_mode_16_64 0
		.amdhsa_float_denorm_mode_32 3
		.amdhsa_float_denorm_mode_16_64 3
		.amdhsa_fp16_overflow 0
		.amdhsa_workgroup_processor_mode 1
		.amdhsa_memory_ordered 1
		.amdhsa_forward_progress 1
		.amdhsa_inst_pref_size 14
		.amdhsa_round_robin_scheduling 0
		.amdhsa_exception_fp_ieee_invalid_op 0
		.amdhsa_exception_fp_denorm_src 0
		.amdhsa_exception_fp_ieee_div_zero 0
		.amdhsa_exception_fp_ieee_overflow 0
		.amdhsa_exception_fp_ieee_underflow 0
		.amdhsa_exception_fp_ieee_inexact 0
		.amdhsa_exception_int_div_zero 0
	.end_amdhsa_kernel
	.section	.text._ZN2at6native12_GLOBAL__N_119compute_grad_weightIdlEEvPKT0_PKT_S5_llS5_PKlPNS_14AccumulateTypeIS6_Lb1EE4typeEl,"axG",@progbits,_ZN2at6native12_GLOBAL__N_119compute_grad_weightIdlEEvPKT0_PKT_S5_llS5_PKlPNS_14AccumulateTypeIS6_Lb1EE4typeEl,comdat
.Lfunc_end102:
	.size	_ZN2at6native12_GLOBAL__N_119compute_grad_weightIdlEEvPKT0_PKT_S5_llS5_PKlPNS_14AccumulateTypeIS6_Lb1EE4typeEl, .Lfunc_end102-_ZN2at6native12_GLOBAL__N_119compute_grad_weightIdlEEvPKT0_PKT_S5_llS5_PKlPNS_14AccumulateTypeIS6_Lb1EE4typeEl
                                        ; -- End function
	.set _ZN2at6native12_GLOBAL__N_119compute_grad_weightIdlEEvPKT0_PKT_S5_llS5_PKlPNS_14AccumulateTypeIS6_Lb1EE4typeEl.num_vgpr, 26
	.set _ZN2at6native12_GLOBAL__N_119compute_grad_weightIdlEEvPKT0_PKT_S5_llS5_PKlPNS_14AccumulateTypeIS6_Lb1EE4typeEl.num_agpr, 0
	.set _ZN2at6native12_GLOBAL__N_119compute_grad_weightIdlEEvPKT0_PKT_S5_llS5_PKlPNS_14AccumulateTypeIS6_Lb1EE4typeEl.numbered_sgpr, 36
	.set _ZN2at6native12_GLOBAL__N_119compute_grad_weightIdlEEvPKT0_PKT_S5_llS5_PKlPNS_14AccumulateTypeIS6_Lb1EE4typeEl.num_named_barrier, 0
	.set _ZN2at6native12_GLOBAL__N_119compute_grad_weightIdlEEvPKT0_PKT_S5_llS5_PKlPNS_14AccumulateTypeIS6_Lb1EE4typeEl.private_seg_size, 0
	.set _ZN2at6native12_GLOBAL__N_119compute_grad_weightIdlEEvPKT0_PKT_S5_llS5_PKlPNS_14AccumulateTypeIS6_Lb1EE4typeEl.uses_vcc, 1
	.set _ZN2at6native12_GLOBAL__N_119compute_grad_weightIdlEEvPKT0_PKT_S5_llS5_PKlPNS_14AccumulateTypeIS6_Lb1EE4typeEl.uses_flat_scratch, 0
	.set _ZN2at6native12_GLOBAL__N_119compute_grad_weightIdlEEvPKT0_PKT_S5_llS5_PKlPNS_14AccumulateTypeIS6_Lb1EE4typeEl.has_dyn_sized_stack, 0
	.set _ZN2at6native12_GLOBAL__N_119compute_grad_weightIdlEEvPKT0_PKT_S5_llS5_PKlPNS_14AccumulateTypeIS6_Lb1EE4typeEl.has_recursion, 0
	.set _ZN2at6native12_GLOBAL__N_119compute_grad_weightIdlEEvPKT0_PKT_S5_llS5_PKlPNS_14AccumulateTypeIS6_Lb1EE4typeEl.has_indirect_call, 0
	.section	.AMDGPU.csdata,"",@progbits
; Kernel info:
; codeLenInByte = 1768
; TotalNumSgprs: 38
; NumVgprs: 26
; ScratchSize: 0
; MemoryBound: 0
; FloatMode: 240
; IeeeMode: 1
; LDSByteSize: 0 bytes/workgroup (compile time only)
; SGPRBlocks: 0
; VGPRBlocks: 3
; NumSGPRsForWavesPerEU: 38
; NumVGPRsForWavesPerEU: 26
; Occupancy: 16
; WaveLimiterHint : 1
; COMPUTE_PGM_RSRC2:SCRATCH_EN: 0
; COMPUTE_PGM_RSRC2:USER_SGPR: 2
; COMPUTE_PGM_RSRC2:TRAP_HANDLER: 0
; COMPUTE_PGM_RSRC2:TGID_X_EN: 1
; COMPUTE_PGM_RSRC2:TGID_Y_EN: 0
; COMPUTE_PGM_RSRC2:TGID_Z_EN: 0
; COMPUTE_PGM_RSRC2:TIDIG_COMP_CNT: 0
	.section	.text._ZN2at6native12_GLOBAL__N_115sum_and_scatterIdlEEvPKT0_PT_lS5_PKlPKNS_14AccumulateTypeIS6_Lb1EE4typeES5_S9_ll,"axG",@progbits,_ZN2at6native12_GLOBAL__N_115sum_and_scatterIdlEEvPKT0_PT_lS5_PKlPKNS_14AccumulateTypeIS6_Lb1EE4typeES5_S9_ll,comdat
	.globl	_ZN2at6native12_GLOBAL__N_115sum_and_scatterIdlEEvPKT0_PT_lS5_PKlPKNS_14AccumulateTypeIS6_Lb1EE4typeES5_S9_ll ; -- Begin function _ZN2at6native12_GLOBAL__N_115sum_and_scatterIdlEEvPKT0_PT_lS5_PKlPKNS_14AccumulateTypeIS6_Lb1EE4typeES5_S9_ll
	.p2align	8
	.type	_ZN2at6native12_GLOBAL__N_115sum_and_scatterIdlEEvPKT0_PT_lS5_PKlPKNS_14AccumulateTypeIS6_Lb1EE4typeES5_S9_ll,@function
_ZN2at6native12_GLOBAL__N_115sum_and_scatterIdlEEvPKT0_PT_lS5_PKlPKNS_14AccumulateTypeIS6_Lb1EE4typeES5_S9_ll: ; @_ZN2at6native12_GLOBAL__N_115sum_and_scatterIdlEEvPKT0_PT_lS5_PKlPKNS_14AccumulateTypeIS6_Lb1EE4typeES5_S9_ll
; %bb.0:
	s_clause 0x2
	s_load_b32 s2, s[0:1], 0x5c
	s_load_b128 s[20:23], s[0:1], 0x40
	s_load_b512 s[4:19], s[0:1], 0x0
	v_mov_b32_e32 v1, 0
                                        ; implicit-def: $vgpr6_vgpr7
	s_delay_alu instid0(VALU_DEP_1) | instskip(SKIP_2) | instid1(SALU_CYCLE_1)
	v_mov_b32_e32 v4, v1
	s_wait_kmcnt 0x0
	s_and_b32 s0, s2, 0xffff
	v_mad_co_u64_u32 v[2:3], null, s0, ttmp9, v[0:1]
	s_mov_b32 s0, exec_lo
	v_or_b32_e32 v5, s23, v3
	s_delay_alu instid0(VALU_DEP_1)
	v_cmpx_ne_u64_e32 0, v[4:5]
	s_wait_alu 0xfffe
	s_xor_b32 s1, exec_lo, s0
	s_cbranch_execz .LBB103_2
; %bb.1:
	s_ashr_i32 s2, s23, 31
	s_mov_b32 s35, 0
	s_mov_b32 s3, s2
	v_ashrrev_i32_e32 v8, 31, v3
	s_add_nc_u64 s[24:25], s[22:23], s[2:3]
	s_delay_alu instid0(SALU_CYCLE_1) | instskip(NEXT) | instid1(VALU_DEP_1)
	s_xor_b64 s[24:25], s[24:25], s[2:3]
	v_add_co_u32 v0, vcc_lo, v2, v8
	s_cvt_f32_u32 s0, s24
	s_cvt_f32_u32 s3, s25
	s_sub_nc_u64 s[28:29], 0, s[24:25]
	v_add_co_ci_u32_e64 v1, null, v3, v8, vcc_lo
	s_wait_alu 0xfffe
	s_fmamk_f32 s0, s3, 0x4f800000, s0
	v_xor_b32_e32 v9, v0, v8
	s_delay_alu instid0(VALU_DEP_2) | instskip(SKIP_2) | instid1(TRANS32_DEP_1)
	v_xor_b32_e32 v10, v1, v8
	s_wait_alu 0xfffe
	v_s_rcp_f32 s0, s0
	s_mul_f32 s0, s0, 0x5f7ffffc
	s_wait_alu 0xfffe
	s_delay_alu instid0(SALU_CYCLE_2) | instskip(NEXT) | instid1(SALU_CYCLE_3)
	s_mul_f32 s3, s0, 0x2f800000
	s_trunc_f32 s3, s3
	s_delay_alu instid0(SALU_CYCLE_3) | instskip(SKIP_2) | instid1(SALU_CYCLE_1)
	s_fmamk_f32 s0, s3, 0xcf800000, s0
	s_cvt_u32_f32 s27, s3
	s_wait_alu 0xfffe
	s_cvt_u32_f32 s26, s0
	s_delay_alu instid0(SALU_CYCLE_3) | instskip(NEXT) | instid1(SALU_CYCLE_1)
	s_mul_u64 s[30:31], s[28:29], s[26:27]
	s_mul_hi_u32 s37, s26, s31
	s_mul_i32 s36, s26, s31
	s_mul_hi_u32 s34, s26, s30
	s_mul_i32 s3, s27, s30
	s_add_nc_u64 s[36:37], s[34:35], s[36:37]
	s_mul_hi_u32 s0, s27, s30
	s_mul_hi_u32 s33, s27, s31
	s_add_co_u32 s3, s36, s3
	s_wait_alu 0xfffe
	s_add_co_ci_u32 s34, s37, s0
	s_mul_i32 s30, s27, s31
	s_add_co_ci_u32 s31, s33, 0
	s_delay_alu instid0(SALU_CYCLE_1) | instskip(NEXT) | instid1(SALU_CYCLE_1)
	s_add_nc_u64 s[30:31], s[34:35], s[30:31]
	s_add_co_u32 s26, s26, s30
	s_cselect_b32 s0, -1, 0
	s_wait_alu 0xfffe
	s_cmp_lg_u32 s0, 0
	s_add_co_ci_u32 s27, s27, s31
	s_delay_alu instid0(SALU_CYCLE_1) | instskip(NEXT) | instid1(SALU_CYCLE_1)
	s_mul_u64 s[28:29], s[28:29], s[26:27]
	s_mul_hi_u32 s31, s26, s29
	s_mul_i32 s30, s26, s29
	s_mul_hi_u32 s34, s26, s28
	s_mul_i32 s3, s27, s28
	s_add_nc_u64 s[30:31], s[34:35], s[30:31]
	s_mul_hi_u32 s0, s27, s28
	s_mul_hi_u32 s33, s27, s29
	s_add_co_u32 s3, s30, s3
	s_wait_alu 0xfffe
	s_add_co_ci_u32 s34, s31, s0
	s_mul_i32 s28, s27, s29
	s_add_co_ci_u32 s29, s33, 0
	s_delay_alu instid0(SALU_CYCLE_1) | instskip(NEXT) | instid1(SALU_CYCLE_1)
	s_add_nc_u64 s[28:29], s[34:35], s[28:29]
	s_add_co_u32 s0, s26, s28
	s_cselect_b32 s3, -1, 0
	s_wait_alu 0xfffe
	v_mul_hi_u32 v11, v9, s0
	s_cmp_lg_u32 s3, 0
	v_mad_co_u64_u32 v[4:5], null, v10, s0, 0
	s_add_co_ci_u32 s3, s27, s29
	s_delay_alu instid0(SALU_CYCLE_1) | instskip(SKIP_1) | instid1(VALU_DEP_2)
	v_mad_co_u64_u32 v[0:1], null, v9, s3, 0
	v_mad_co_u64_u32 v[6:7], null, v10, s3, 0
	v_add_co_u32 v0, vcc_lo, v11, v0
	s_wait_alu 0xfffd
	s_delay_alu instid0(VALU_DEP_3) | instskip(NEXT) | instid1(VALU_DEP_2)
	v_add_co_ci_u32_e64 v1, null, 0, v1, vcc_lo
	v_add_co_u32 v0, vcc_lo, v0, v4
	s_wait_alu 0xfffd
	s_delay_alu instid0(VALU_DEP_2) | instskip(SKIP_2) | instid1(VALU_DEP_2)
	v_add_co_ci_u32_e32 v0, vcc_lo, v1, v5, vcc_lo
	s_wait_alu 0xfffd
	v_add_co_ci_u32_e32 v1, vcc_lo, 0, v7, vcc_lo
	v_add_co_u32 v4, vcc_lo, v0, v6
	s_wait_alu 0xfffd
	s_delay_alu instid0(VALU_DEP_2) | instskip(NEXT) | instid1(VALU_DEP_2)
	v_add_co_ci_u32_e64 v5, null, 0, v1, vcc_lo
	v_mul_lo_u32 v6, s25, v4
	v_mad_co_u64_u32 v[0:1], null, s24, v4, 0
	s_delay_alu instid0(VALU_DEP_3) | instskip(NEXT) | instid1(VALU_DEP_2)
	v_mul_lo_u32 v7, s24, v5
	v_sub_co_u32 v0, vcc_lo, v9, v0
	s_delay_alu instid0(VALU_DEP_2) | instskip(SKIP_3) | instid1(VALU_DEP_3)
	v_add3_u32 v1, v1, v7, v6
	v_add_co_u32 v7, s0, v4, 2
	s_wait_alu 0xf1ff
	v_add_co_ci_u32_e64 v9, null, 0, v5, s0
	v_sub_nc_u32_e32 v6, v10, v1
	v_sub_co_u32 v11, s0, v0, s24
	s_wait_alu 0xfffd
	v_sub_co_ci_u32_e64 v1, null, v10, v1, vcc_lo
	s_delay_alu instid0(VALU_DEP_3) | instskip(NEXT) | instid1(VALU_DEP_3)
	v_subrev_co_ci_u32_e64 v6, null, s25, v6, vcc_lo
	v_cmp_le_u32_e32 vcc_lo, s24, v11
	s_wait_alu 0xf1ff
	s_delay_alu instid0(VALU_DEP_2) | instskip(SKIP_2) | instid1(VALU_DEP_2)
	v_subrev_co_ci_u32_e64 v6, null, 0, v6, s0
	s_wait_alu 0xfffd
	v_cndmask_b32_e64 v10, 0, -1, vcc_lo
	v_cmp_le_u32_e32 vcc_lo, s25, v6
	s_wait_alu 0xfffd
	v_cndmask_b32_e64 v11, 0, -1, vcc_lo
	v_cmp_le_u32_e32 vcc_lo, s24, v0
	s_wait_alu 0xfffd
	v_cndmask_b32_e64 v0, 0, -1, vcc_lo
	v_cmp_le_u32_e32 vcc_lo, s25, v1
	s_wait_alu 0xfffd
	v_cndmask_b32_e64 v12, 0, -1, vcc_lo
	v_cmp_eq_u32_e32 vcc_lo, s25, v6
	s_wait_alu 0xfffd
	v_cndmask_b32_e32 v6, v11, v10, vcc_lo
	v_add_co_u32 v10, vcc_lo, v4, 1
	s_wait_alu 0xfffd
	v_add_co_ci_u32_e64 v11, null, 0, v5, vcc_lo
	v_cmp_eq_u32_e32 vcc_lo, s25, v1
	s_wait_alu 0xfffd
	v_cndmask_b32_e32 v0, v12, v0, vcc_lo
	v_cmp_ne_u32_e32 vcc_lo, 0, v6
	s_wait_alu 0xfffd
	v_cndmask_b32_e32 v1, v11, v9, vcc_lo
	s_delay_alu instid0(VALU_DEP_3) | instskip(SKIP_3) | instid1(VALU_DEP_3)
	v_cmp_ne_u32_e64 s0, 0, v0
	v_cndmask_b32_e32 v0, v10, v7, vcc_lo
	v_xor_b32_e32 v7, s2, v8
	s_wait_alu 0xf1ff
	v_cndmask_b32_e64 v1, v5, v1, s0
	s_delay_alu instid0(VALU_DEP_3) | instskip(NEXT) | instid1(VALU_DEP_2)
	v_cndmask_b32_e64 v0, v4, v0, s0
	v_xor_b32_e32 v1, v1, v7
	s_delay_alu instid0(VALU_DEP_2) | instskip(NEXT) | instid1(VALU_DEP_1)
	v_xor_b32_e32 v0, v0, v7
	v_sub_co_u32 v6, vcc_lo, v0, v7
	s_wait_alu 0xfffd
	s_delay_alu instid0(VALU_DEP_3)
	v_sub_co_ci_u32_e64 v7, null, v1, v7, vcc_lo
.LBB103_2:
	s_wait_alu 0xfffe
	s_or_saveexec_b32 s0, s1
	s_load_b64 s[2:3], s[12:13], 0x0
	s_xor_b32 exec_lo, exec_lo, s0
	s_cbranch_execz .LBB103_4
; %bb.3:
	v_cvt_f32_u32_e32 v0, s22
	s_sub_co_i32 s1, 0, s22
	v_mov_b32_e32 v7, 0
	s_delay_alu instid0(VALU_DEP_2) | instskip(NEXT) | instid1(TRANS32_DEP_1)
	v_rcp_iflag_f32_e32 v0, v0
	v_mul_f32_e32 v0, 0x4f7ffffe, v0
	s_delay_alu instid0(VALU_DEP_1) | instskip(SKIP_1) | instid1(VALU_DEP_1)
	v_cvt_u32_f32_e32 v0, v0
	s_wait_alu 0xfffe
	v_mul_lo_u32 v1, s1, v0
	s_delay_alu instid0(VALU_DEP_1) | instskip(NEXT) | instid1(VALU_DEP_1)
	v_mul_hi_u32 v1, v0, v1
	v_add_nc_u32_e32 v0, v0, v1
	s_delay_alu instid0(VALU_DEP_1) | instskip(NEXT) | instid1(VALU_DEP_1)
	v_mul_hi_u32 v0, v2, v0
	v_mul_lo_u32 v1, v0, s22
	v_add_nc_u32_e32 v4, 1, v0
	s_delay_alu instid0(VALU_DEP_2) | instskip(NEXT) | instid1(VALU_DEP_1)
	v_sub_nc_u32_e32 v1, v2, v1
	v_subrev_nc_u32_e32 v5, s22, v1
	v_cmp_le_u32_e32 vcc_lo, s22, v1
	s_wait_alu 0xfffd
	s_delay_alu instid0(VALU_DEP_2) | instskip(NEXT) | instid1(VALU_DEP_1)
	v_dual_cndmask_b32 v1, v1, v5 :: v_dual_cndmask_b32 v0, v0, v4
	v_cmp_le_u32_e32 vcc_lo, s22, v1
	s_delay_alu instid0(VALU_DEP_2) | instskip(SKIP_1) | instid1(VALU_DEP_1)
	v_add_nc_u32_e32 v4, 1, v0
	s_wait_alu 0xfffd
	v_cndmask_b32_e32 v6, v0, v4, vcc_lo
.LBB103_4:
	s_or_b32 exec_lo, exec_lo, s0
	v_mul_lo_u32 v0, v7, s22
	s_delay_alu instid0(VALU_DEP_2) | instskip(SKIP_3) | instid1(VALU_DEP_2)
	v_mul_lo_u32 v1, v6, s23
	v_mad_co_u64_u32 v[8:9], null, v6, s22, 0
	s_wait_kmcnt 0x0
	v_cmp_gt_i64_e64 s0, s[2:3], v[6:7]
	v_add3_u32 v9, v9, v1, v0
	s_delay_alu instid0(VALU_DEP_3) | instskip(SKIP_1) | instid1(VALU_DEP_2)
	v_sub_co_u32 v0, vcc_lo, v2, v8
	s_wait_alu 0xfffd
	v_sub_co_ci_u32_e64 v1, null, v3, v9, vcc_lo
	s_delay_alu instid0(VALU_DEP_1)
	v_cmp_gt_i64_e32 vcc_lo, s[8:9], v[0:1]
	s_and_b32 s0, vcc_lo, s0
	s_wait_alu 0xfffe
	s_and_saveexec_b32 s1, s0
	s_cbranch_execz .LBB103_11
; %bb.5:
	v_lshlrev_b64_e32 v[4:5], 3, v[6:7]
	s_add_nc_u64 s[0:1], s[2:3], -1
	s_delay_alu instid0(VALU_DEP_1) | instskip(SKIP_1) | instid1(VALU_DEP_2)
	v_add_co_u32 v10, vcc_lo, s16, v4
	s_wait_alu 0xfffd
	v_add_co_ci_u32_e64 v11, null, s17, v5, vcc_lo
	s_delay_alu instid0(VALU_DEP_2) | instskip(SKIP_1) | instid1(VALU_DEP_2)
	v_add_co_u32 v12, vcc_lo, v10, 8
	s_wait_alu 0xfffd
	v_add_co_ci_u32_e64 v13, null, 0, v11, vcc_lo
	s_wait_alu 0xfffe
	v_cmp_eq_u64_e32 vcc_lo, s[0:1], v[6:7]
	s_mov_b32 s1, exec_lo
	s_wait_alu 0xfffd
	v_cndmask_b32_e64 v7, v13, s19, vcc_lo
	v_cndmask_b32_e64 v6, v12, s18, vcc_lo
	global_load_b32 v10, v[10:11], off
	global_load_b32 v11, v[6:7], off
	v_mov_b32_e32 v6, 0
	v_mov_b32_e32 v7, 0
	s_wait_loadcnt 0x0
	v_cmpx_lt_i32_e64 v10, v11
	s_cbranch_execz .LBB103_9
; %bb.6:
	v_ashrrev_i32_e32 v12, 31, v10
	v_mul_lo_u32 v13, s9, v10
	v_mad_co_u64_u32 v[6:7], null, s8, v10, 0
	v_lshlrev_b64_e32 v[2:3], 3, v[2:3]
	s_delay_alu instid0(VALU_DEP_4) | instskip(SKIP_3) | instid1(VALU_DEP_2)
	v_mul_lo_u32 v12, s8, v12
	v_lshlrev_b64_e32 v[8:9], 3, v[8:9]
	s_lshl_b64 s[2:3], s[8:9], 3
	s_mov_b32 s12, 0
	v_add3_u32 v7, v7, v12, v13
	s_delay_alu instid0(VALU_DEP_1) | instskip(NEXT) | instid1(VALU_DEP_1)
	v_lshlrev_b64_e32 v[6:7], 3, v[6:7]
	v_add_co_u32 v2, vcc_lo, v6, v2
	s_wait_alu 0xfffd
	s_delay_alu instid0(VALU_DEP_2) | instskip(SKIP_1) | instid1(VALU_DEP_3)
	v_add_co_ci_u32_e64 v3, null, v7, v3, vcc_lo
	v_mov_b32_e32 v6, 0
	v_sub_co_u32 v2, vcc_lo, v2, v8
	s_wait_alu 0xfffd
	s_delay_alu instid0(VALU_DEP_3) | instskip(SKIP_1) | instid1(VALU_DEP_3)
	v_sub_co_ci_u32_e64 v3, null, v3, v9, vcc_lo
	v_mov_b32_e32 v7, 0
	v_add_co_u32 v2, vcc_lo, s14, v2
	s_wait_alu 0xfffd
	s_delay_alu instid0(VALU_DEP_3)
	v_add_co_ci_u32_e64 v3, null, s15, v3, vcc_lo
.LBB103_7:                              ; =>This Inner Loop Header: Depth=1
	global_load_b64 v[8:9], v[2:3], off
	v_add_nc_u32_e32 v10, 1, v10
	s_wait_alu 0xfffe
	v_add_co_u32 v2, s0, v2, s2
	s_wait_alu 0xf1ff
	v_add_co_ci_u32_e64 v3, null, s3, v3, s0
	v_cmp_ge_i32_e32 vcc_lo, v10, v11
	s_or_b32 s12, vcc_lo, s12
	s_wait_loadcnt 0x0
	v_add_f64_e32 v[6:7], v[6:7], v[8:9]
	s_and_not1_b32 exec_lo, exec_lo, s12
	s_cbranch_execnz .LBB103_7
; %bb.8:
	s_or_b32 exec_lo, exec_lo, s12
.LBB103_9:
	s_wait_alu 0xfffe
	s_or_b32 exec_lo, exec_lo, s1
	v_add_co_u32 v2, vcc_lo, s10, v4
	s_wait_alu 0xfffd
	v_add_co_ci_u32_e64 v3, null, s11, v5, vcc_lo
	global_load_b64 v[2:3], v[2:3], off
	s_wait_loadcnt 0x0
	v_lshlrev_b64_e32 v[2:3], 3, v[2:3]
	s_delay_alu instid0(VALU_DEP_1) | instskip(SKIP_1) | instid1(VALU_DEP_2)
	v_add_co_u32 v2, vcc_lo, s4, v2
	s_wait_alu 0xfffd
	v_add_co_ci_u32_e64 v3, null, s5, v3, vcc_lo
	global_load_b64 v[2:3], v[2:3], off
	s_wait_loadcnt 0x0
	v_cmp_ne_u64_e32 vcc_lo, s[20:21], v[2:3]
	s_and_b32 exec_lo, exec_lo, vcc_lo
	s_cbranch_execz .LBB103_11
; %bb.10:
	v_mul_lo_u32 v4, v3, s8
	v_mul_lo_u32 v5, v2, s9
	v_mad_co_u64_u32 v[2:3], null, v2, s8, 0
	v_lshlrev_b64_e32 v[0:1], 3, v[0:1]
	s_delay_alu instid0(VALU_DEP_2) | instskip(NEXT) | instid1(VALU_DEP_1)
	v_add3_u32 v3, v3, v5, v4
	v_lshlrev_b64_e32 v[2:3], 3, v[2:3]
	s_delay_alu instid0(VALU_DEP_1) | instskip(SKIP_1) | instid1(VALU_DEP_2)
	v_add_co_u32 v2, vcc_lo, s6, v2
	s_wait_alu 0xfffd
	v_add_co_ci_u32_e64 v3, null, s7, v3, vcc_lo
	s_delay_alu instid0(VALU_DEP_2) | instskip(SKIP_1) | instid1(VALU_DEP_2)
	v_add_co_u32 v0, vcc_lo, v2, v0
	s_wait_alu 0xfffd
	v_add_co_ci_u32_e64 v1, null, v3, v1, vcc_lo
	global_store_b64 v[0:1], v[6:7], off
.LBB103_11:
	s_endpgm
	.section	.rodata,"a",@progbits
	.p2align	6, 0x0
	.amdhsa_kernel _ZN2at6native12_GLOBAL__N_115sum_and_scatterIdlEEvPKT0_PT_lS5_PKlPKNS_14AccumulateTypeIS6_Lb1EE4typeES5_S9_ll
		.amdhsa_group_segment_fixed_size 0
		.amdhsa_private_segment_fixed_size 0
		.amdhsa_kernarg_size 336
		.amdhsa_user_sgpr_count 2
		.amdhsa_user_sgpr_dispatch_ptr 0
		.amdhsa_user_sgpr_queue_ptr 0
		.amdhsa_user_sgpr_kernarg_segment_ptr 1
		.amdhsa_user_sgpr_dispatch_id 0
		.amdhsa_user_sgpr_private_segment_size 0
		.amdhsa_wavefront_size32 1
		.amdhsa_uses_dynamic_stack 0
		.amdhsa_enable_private_segment 0
		.amdhsa_system_sgpr_workgroup_id_x 1
		.amdhsa_system_sgpr_workgroup_id_y 0
		.amdhsa_system_sgpr_workgroup_id_z 0
		.amdhsa_system_sgpr_workgroup_info 0
		.amdhsa_system_vgpr_workitem_id 0
		.amdhsa_next_free_vgpr 14
		.amdhsa_next_free_sgpr 38
		.amdhsa_reserve_vcc 1
		.amdhsa_float_round_mode_32 0
		.amdhsa_float_round_mode_16_64 0
		.amdhsa_float_denorm_mode_32 3
		.amdhsa_float_denorm_mode_16_64 3
		.amdhsa_fp16_overflow 0
		.amdhsa_workgroup_processor_mode 1
		.amdhsa_memory_ordered 1
		.amdhsa_forward_progress 1
		.amdhsa_inst_pref_size 13
		.amdhsa_round_robin_scheduling 0
		.amdhsa_exception_fp_ieee_invalid_op 0
		.amdhsa_exception_fp_denorm_src 0
		.amdhsa_exception_fp_ieee_div_zero 0
		.amdhsa_exception_fp_ieee_overflow 0
		.amdhsa_exception_fp_ieee_underflow 0
		.amdhsa_exception_fp_ieee_inexact 0
		.amdhsa_exception_int_div_zero 0
	.end_amdhsa_kernel
	.section	.text._ZN2at6native12_GLOBAL__N_115sum_and_scatterIdlEEvPKT0_PT_lS5_PKlPKNS_14AccumulateTypeIS6_Lb1EE4typeES5_S9_ll,"axG",@progbits,_ZN2at6native12_GLOBAL__N_115sum_and_scatterIdlEEvPKT0_PT_lS5_PKlPKNS_14AccumulateTypeIS6_Lb1EE4typeES5_S9_ll,comdat
.Lfunc_end103:
	.size	_ZN2at6native12_GLOBAL__N_115sum_and_scatterIdlEEvPKT0_PT_lS5_PKlPKNS_14AccumulateTypeIS6_Lb1EE4typeES5_S9_ll, .Lfunc_end103-_ZN2at6native12_GLOBAL__N_115sum_and_scatterIdlEEvPKT0_PT_lS5_PKlPKNS_14AccumulateTypeIS6_Lb1EE4typeES5_S9_ll
                                        ; -- End function
	.set _ZN2at6native12_GLOBAL__N_115sum_and_scatterIdlEEvPKT0_PT_lS5_PKlPKNS_14AccumulateTypeIS6_Lb1EE4typeES5_S9_ll.num_vgpr, 14
	.set _ZN2at6native12_GLOBAL__N_115sum_and_scatterIdlEEvPKT0_PT_lS5_PKlPKNS_14AccumulateTypeIS6_Lb1EE4typeES5_S9_ll.num_agpr, 0
	.set _ZN2at6native12_GLOBAL__N_115sum_and_scatterIdlEEvPKT0_PT_lS5_PKlPKNS_14AccumulateTypeIS6_Lb1EE4typeES5_S9_ll.numbered_sgpr, 38
	.set _ZN2at6native12_GLOBAL__N_115sum_and_scatterIdlEEvPKT0_PT_lS5_PKlPKNS_14AccumulateTypeIS6_Lb1EE4typeES5_S9_ll.num_named_barrier, 0
	.set _ZN2at6native12_GLOBAL__N_115sum_and_scatterIdlEEvPKT0_PT_lS5_PKlPKNS_14AccumulateTypeIS6_Lb1EE4typeES5_S9_ll.private_seg_size, 0
	.set _ZN2at6native12_GLOBAL__N_115sum_and_scatterIdlEEvPKT0_PT_lS5_PKlPKNS_14AccumulateTypeIS6_Lb1EE4typeES5_S9_ll.uses_vcc, 1
	.set _ZN2at6native12_GLOBAL__N_115sum_and_scatterIdlEEvPKT0_PT_lS5_PKlPKNS_14AccumulateTypeIS6_Lb1EE4typeES5_S9_ll.uses_flat_scratch, 0
	.set _ZN2at6native12_GLOBAL__N_115sum_and_scatterIdlEEvPKT0_PT_lS5_PKlPKNS_14AccumulateTypeIS6_Lb1EE4typeES5_S9_ll.has_dyn_sized_stack, 0
	.set _ZN2at6native12_GLOBAL__N_115sum_and_scatterIdlEEvPKT0_PT_lS5_PKlPKNS_14AccumulateTypeIS6_Lb1EE4typeES5_S9_ll.has_recursion, 0
	.set _ZN2at6native12_GLOBAL__N_115sum_and_scatterIdlEEvPKT0_PT_lS5_PKlPKNS_14AccumulateTypeIS6_Lb1EE4typeES5_S9_ll.has_indirect_call, 0
	.section	.AMDGPU.csdata,"",@progbits
; Kernel info:
; codeLenInByte = 1652
; TotalNumSgprs: 40
; NumVgprs: 14
; ScratchSize: 0
; MemoryBound: 0
; FloatMode: 240
; IeeeMode: 1
; LDSByteSize: 0 bytes/workgroup (compile time only)
; SGPRBlocks: 0
; VGPRBlocks: 1
; NumSGPRsForWavesPerEU: 40
; NumVGPRsForWavesPerEU: 14
; Occupancy: 16
; WaveLimiterHint : 1
; COMPUTE_PGM_RSRC2:SCRATCH_EN: 0
; COMPUTE_PGM_RSRC2:USER_SGPR: 2
; COMPUTE_PGM_RSRC2:TRAP_HANDLER: 0
; COMPUTE_PGM_RSRC2:TGID_X_EN: 1
; COMPUTE_PGM_RSRC2:TGID_Y_EN: 0
; COMPUTE_PGM_RSRC2:TGID_Z_EN: 0
; COMPUTE_PGM_RSRC2:TIDIG_COMP_CNT: 0
	.section	.text._ZN2at6native12_GLOBAL__N_137compute_grad_weight_atomic_accumulateIfflEEvPKT1_PKT_S5_llS5_PKlS5_S5_S5_PT0_ll,"axG",@progbits,_ZN2at6native12_GLOBAL__N_137compute_grad_weight_atomic_accumulateIfflEEvPKT1_PKT_S5_llS5_PKlS5_S5_S5_PT0_ll,comdat
	.globl	_ZN2at6native12_GLOBAL__N_137compute_grad_weight_atomic_accumulateIfflEEvPKT1_PKT_S5_llS5_PKlS5_S5_S5_PT0_ll ; -- Begin function _ZN2at6native12_GLOBAL__N_137compute_grad_weight_atomic_accumulateIfflEEvPKT1_PKT_S5_llS5_PKlS5_S5_S5_PT0_ll
	.p2align	8
	.type	_ZN2at6native12_GLOBAL__N_137compute_grad_weight_atomic_accumulateIfflEEvPKT1_PKT_S5_llS5_PKlS5_S5_S5_PT0_ll,@function
_ZN2at6native12_GLOBAL__N_137compute_grad_weight_atomic_accumulateIfflEEvPKT1_PKT_S5_llS5_PKlS5_S5_S5_PT0_ll: ; @_ZN2at6native12_GLOBAL__N_137compute_grad_weight_atomic_accumulateIfflEEvPKT1_PKT_S5_llS5_PKlS5_S5_S5_PT0_ll
; %bb.0:
	s_clause 0x1
	s_load_b32 s2, s[0:1], 0x74
	s_load_b64 s[20:21], s[0:1], 0x60
	v_mov_b32_e32 v2, 0
	s_wait_kmcnt 0x0
	s_and_b32 s2, s2, 0xffff
	s_delay_alu instid0(SALU_CYCLE_1) | instskip(NEXT) | instid1(VALU_DEP_1)
	v_mad_co_u64_u32 v[0:1], null, ttmp9, s2, v[0:1]
	v_ashrrev_i32_e32 v1, 31, v0
	s_delay_alu instid0(VALU_DEP_1) | instskip(NEXT) | instid1(VALU_DEP_1)
	v_or_b32_e32 v3, s21, v1
	v_cmp_ne_u64_e32 vcc_lo, 0, v[2:3]
                                        ; implicit-def: $vgpr2_vgpr3
	s_and_saveexec_b32 s2, vcc_lo
	s_wait_alu 0xfffe
	s_xor_b32 s3, exec_lo, s2
	s_cbranch_execz .LBB104_2
; %bb.1:
	s_ashr_i32 s4, s21, 31
	s_mov_b32 s15, 0
	s_mov_b32 s5, s4
	v_ashrrev_i32_e32 v8, 31, v1
	s_add_nc_u64 s[6:7], s[20:21], s[4:5]
	s_delay_alu instid0(SALU_CYCLE_1) | instskip(NEXT) | instid1(VALU_DEP_1)
	s_xor_b64 s[6:7], s[6:7], s[4:5]
	v_add_co_u32 v2, vcc_lo, v0, v8
	s_cvt_f32_u32 s2, s6
	s_cvt_f32_u32 s5, s7
	s_sub_nc_u64 s[10:11], 0, s[6:7]
	v_add_co_ci_u32_e64 v3, null, v1, v8, vcc_lo
	s_wait_alu 0xfffe
	s_fmamk_f32 s2, s5, 0x4f800000, s2
	v_xor_b32_e32 v9, v2, v8
	s_delay_alu instid0(VALU_DEP_2) | instskip(SKIP_2) | instid1(TRANS32_DEP_1)
	v_xor_b32_e32 v10, v3, v8
	s_wait_alu 0xfffe
	v_s_rcp_f32 s2, s2
	s_mul_f32 s2, s2, 0x5f7ffffc
	s_wait_alu 0xfffe
	s_delay_alu instid0(SALU_CYCLE_2) | instskip(NEXT) | instid1(SALU_CYCLE_3)
	s_mul_f32 s5, s2, 0x2f800000
	s_trunc_f32 s5, s5
	s_delay_alu instid0(SALU_CYCLE_3) | instskip(SKIP_2) | instid1(SALU_CYCLE_1)
	s_fmamk_f32 s2, s5, 0xcf800000, s2
	s_cvt_u32_f32 s9, s5
	s_wait_alu 0xfffe
	s_cvt_u32_f32 s8, s2
	s_delay_alu instid0(SALU_CYCLE_3) | instskip(NEXT) | instid1(SALU_CYCLE_1)
	s_mul_u64 s[12:13], s[10:11], s[8:9]
	s_mul_hi_u32 s17, s8, s13
	s_mul_i32 s16, s8, s13
	s_mul_hi_u32 s14, s8, s12
	s_mul_i32 s5, s9, s12
	s_add_nc_u64 s[16:17], s[14:15], s[16:17]
	s_mul_hi_u32 s2, s9, s12
	s_mul_hi_u32 s18, s9, s13
	s_add_co_u32 s5, s16, s5
	s_wait_alu 0xfffe
	s_add_co_ci_u32 s14, s17, s2
	s_mul_i32 s12, s9, s13
	s_add_co_ci_u32 s13, s18, 0
	s_delay_alu instid0(SALU_CYCLE_1) | instskip(NEXT) | instid1(SALU_CYCLE_1)
	s_add_nc_u64 s[12:13], s[14:15], s[12:13]
	s_add_co_u32 s8, s8, s12
	s_cselect_b32 s2, -1, 0
	s_wait_alu 0xfffe
	s_cmp_lg_u32 s2, 0
	s_add_co_ci_u32 s9, s9, s13
	s_delay_alu instid0(SALU_CYCLE_1) | instskip(NEXT) | instid1(SALU_CYCLE_1)
	s_mul_u64 s[10:11], s[10:11], s[8:9]
	s_mul_hi_u32 s13, s8, s11
	s_mul_i32 s12, s8, s11
	s_mul_hi_u32 s14, s8, s10
	s_mul_i32 s5, s9, s10
	s_add_nc_u64 s[12:13], s[14:15], s[12:13]
	s_mul_hi_u32 s2, s9, s10
	s_mul_hi_u32 s16, s9, s11
	s_add_co_u32 s5, s12, s5
	s_wait_alu 0xfffe
	s_add_co_ci_u32 s14, s13, s2
	s_mul_i32 s10, s9, s11
	s_add_co_ci_u32 s11, s16, 0
	s_delay_alu instid0(SALU_CYCLE_1) | instskip(NEXT) | instid1(SALU_CYCLE_1)
	s_add_nc_u64 s[10:11], s[14:15], s[10:11]
	s_add_co_u32 s2, s8, s10
	s_cselect_b32 s5, -1, 0
	s_wait_alu 0xfffe
	v_mul_hi_u32 v11, v9, s2
	s_cmp_lg_u32 s5, 0
	v_mad_co_u64_u32 v[4:5], null, v10, s2, 0
	s_add_co_ci_u32 s5, s9, s11
	s_delay_alu instid0(SALU_CYCLE_1) | instskip(SKIP_1) | instid1(VALU_DEP_2)
	v_mad_co_u64_u32 v[2:3], null, v9, s5, 0
	v_mad_co_u64_u32 v[6:7], null, v10, s5, 0
	v_add_co_u32 v2, vcc_lo, v11, v2
	s_wait_alu 0xfffd
	s_delay_alu instid0(VALU_DEP_3) | instskip(NEXT) | instid1(VALU_DEP_2)
	v_add_co_ci_u32_e64 v3, null, 0, v3, vcc_lo
	v_add_co_u32 v2, vcc_lo, v2, v4
	s_wait_alu 0xfffd
	s_delay_alu instid0(VALU_DEP_2) | instskip(SKIP_2) | instid1(VALU_DEP_2)
	v_add_co_ci_u32_e32 v2, vcc_lo, v3, v5, vcc_lo
	s_wait_alu 0xfffd
	v_add_co_ci_u32_e32 v3, vcc_lo, 0, v7, vcc_lo
	v_add_co_u32 v4, vcc_lo, v2, v6
	s_wait_alu 0xfffd
	s_delay_alu instid0(VALU_DEP_2) | instskip(NEXT) | instid1(VALU_DEP_2)
	v_add_co_ci_u32_e64 v5, null, 0, v3, vcc_lo
	v_mul_lo_u32 v6, s7, v4
	v_mad_co_u64_u32 v[2:3], null, s6, v4, 0
	s_delay_alu instid0(VALU_DEP_3) | instskip(NEXT) | instid1(VALU_DEP_2)
	v_mul_lo_u32 v7, s6, v5
	v_sub_co_u32 v2, vcc_lo, v9, v2
	s_delay_alu instid0(VALU_DEP_2) | instskip(SKIP_3) | instid1(VALU_DEP_3)
	v_add3_u32 v3, v3, v7, v6
	v_add_co_u32 v7, s2, v4, 2
	s_wait_alu 0xf1ff
	v_add_co_ci_u32_e64 v9, null, 0, v5, s2
	v_sub_nc_u32_e32 v6, v10, v3
	v_sub_co_u32 v11, s2, v2, s6
	s_wait_alu 0xfffd
	v_sub_co_ci_u32_e64 v3, null, v10, v3, vcc_lo
	s_delay_alu instid0(VALU_DEP_3) | instskip(NEXT) | instid1(VALU_DEP_3)
	v_subrev_co_ci_u32_e64 v6, null, s7, v6, vcc_lo
	v_cmp_le_u32_e32 vcc_lo, s6, v11
	s_wait_alu 0xf1ff
	s_delay_alu instid0(VALU_DEP_2) | instskip(SKIP_2) | instid1(VALU_DEP_2)
	v_subrev_co_ci_u32_e64 v6, null, 0, v6, s2
	s_wait_alu 0xfffd
	v_cndmask_b32_e64 v10, 0, -1, vcc_lo
	v_cmp_le_u32_e32 vcc_lo, s7, v6
	s_wait_alu 0xfffd
	v_cndmask_b32_e64 v11, 0, -1, vcc_lo
	v_cmp_le_u32_e32 vcc_lo, s6, v2
	s_wait_alu 0xfffd
	v_cndmask_b32_e64 v2, 0, -1, vcc_lo
	v_cmp_le_u32_e32 vcc_lo, s7, v3
	s_wait_alu 0xfffd
	v_cndmask_b32_e64 v12, 0, -1, vcc_lo
	v_cmp_eq_u32_e32 vcc_lo, s7, v6
	s_wait_alu 0xfffd
	v_cndmask_b32_e32 v6, v11, v10, vcc_lo
	v_add_co_u32 v10, vcc_lo, v4, 1
	s_wait_alu 0xfffd
	v_add_co_ci_u32_e64 v11, null, 0, v5, vcc_lo
	v_cmp_eq_u32_e32 vcc_lo, s7, v3
	s_wait_alu 0xfffd
	v_cndmask_b32_e32 v2, v12, v2, vcc_lo
	v_cmp_ne_u32_e32 vcc_lo, 0, v6
	v_xor_b32_e32 v6, s4, v8
	s_wait_alu 0xfffd
	v_cndmask_b32_e32 v3, v11, v9, vcc_lo
	v_cmp_ne_u32_e64 s2, 0, v2
	v_cndmask_b32_e32 v2, v10, v7, vcc_lo
	s_wait_alu 0xf1ff
	s_delay_alu instid0(VALU_DEP_2) | instskip(NEXT) | instid1(VALU_DEP_2)
	v_cndmask_b32_e64 v3, v5, v3, s2
	v_cndmask_b32_e64 v2, v4, v2, s2
	s_delay_alu instid0(VALU_DEP_2) | instskip(NEXT) | instid1(VALU_DEP_2)
	v_xor_b32_e32 v3, v3, v6
	v_xor_b32_e32 v2, v2, v6
	s_delay_alu instid0(VALU_DEP_1) | instskip(SKIP_1) | instid1(VALU_DEP_3)
	v_sub_co_u32 v2, vcc_lo, v2, v6
	s_wait_alu 0xfffd
	v_sub_co_ci_u32_e64 v3, null, v3, v6, vcc_lo
.LBB104_2:
	s_wait_alu 0xfffe
	s_or_saveexec_b32 s2, s3
	s_load_b512 s[4:19], s[0:1], 0x0
	s_xor_b32 exec_lo, exec_lo, s2
	s_cbranch_execz .LBB104_4
; %bb.3:
	v_cvt_f32_u32_e32 v2, s20
	s_sub_co_i32 s3, 0, s20
	s_delay_alu instid0(VALU_DEP_1) | instskip(NEXT) | instid1(TRANS32_DEP_1)
	v_rcp_iflag_f32_e32 v2, v2
	v_mul_f32_e32 v2, 0x4f7ffffe, v2
	s_delay_alu instid0(VALU_DEP_1) | instskip(SKIP_1) | instid1(VALU_DEP_1)
	v_cvt_u32_f32_e32 v2, v2
	s_wait_alu 0xfffe
	v_mul_lo_u32 v3, s3, v2
	s_delay_alu instid0(VALU_DEP_1) | instskip(NEXT) | instid1(VALU_DEP_1)
	v_mul_hi_u32 v3, v2, v3
	v_add_nc_u32_e32 v2, v2, v3
	s_delay_alu instid0(VALU_DEP_1) | instskip(NEXT) | instid1(VALU_DEP_1)
	v_mul_hi_u32 v2, v0, v2
	v_mul_lo_u32 v3, v2, s20
	v_add_nc_u32_e32 v4, 1, v2
	s_delay_alu instid0(VALU_DEP_2) | instskip(NEXT) | instid1(VALU_DEP_1)
	v_sub_nc_u32_e32 v3, v0, v3
	v_subrev_nc_u32_e32 v5, s20, v3
	v_cmp_le_u32_e32 vcc_lo, s20, v3
	s_wait_alu 0xfffd
	s_delay_alu instid0(VALU_DEP_2) | instskip(NEXT) | instid1(VALU_DEP_1)
	v_dual_cndmask_b32 v3, v3, v5 :: v_dual_cndmask_b32 v2, v2, v4
	v_cmp_le_u32_e32 vcc_lo, s20, v3
	s_delay_alu instid0(VALU_DEP_2) | instskip(SKIP_1) | instid1(VALU_DEP_1)
	v_dual_mov_b32 v3, 0 :: v_dual_add_nc_u32 v4, 1, v2
	s_wait_alu 0xfffd
	v_cndmask_b32_e32 v2, v2, v4, vcc_lo
.LBB104_4:
	s_or_b32 exec_lo, exec_lo, s2
	s_delay_alu instid0(VALU_DEP_2) | instskip(NEXT) | instid1(VALU_DEP_2)
	v_mul_lo_u32 v5, v3, s20
	v_mul_lo_u32 v6, v2, s21
	v_mad_co_u64_u32 v[3:4], null, v2, s20, 0
	s_mov_b32 s2, exec_lo
	v_add3_u32 v4, v4, v6, v5
	v_sub_co_u32 v8, vcc_lo, v0, v3
	s_wait_alu 0xfffd
	s_delay_alu instid0(VALU_DEP_2) | instskip(SKIP_1) | instid1(VALU_DEP_1)
	v_sub_co_ci_u32_e64 v9, null, v1, v4, vcc_lo
	s_wait_kmcnt 0x0
	v_cmpx_gt_i64_e64 s[12:13], v[8:9]
	s_cbranch_execz .LBB104_17
; %bb.5:
	s_load_b64 s[2:3], s[16:17], 0x0
	v_ashrrev_i32_e32 v3, 31, v2
	s_wait_kmcnt 0x0
	s_delay_alu instid0(VALU_DEP_1)
	v_cmp_gt_i64_e32 vcc_lo, s[2:3], v[2:3]
	s_and_b32 exec_lo, exec_lo, vcc_lo
	s_cbranch_execz .LBB104_17
; %bb.6:
	v_lshlrev_b64_e32 v[0:1], 3, v[2:3]
	s_load_b256 s[20:27], s[0:1], 0x40
	s_add_nc_u64 s[0:1], s[2:3], -1
	v_dual_mov_b32 v6, s10 :: v_dual_mov_b32 v7, s11
	s_delay_alu instid0(VALU_DEP_2)
	v_add_co_u32 v4, vcc_lo, s14, v0
	s_wait_alu 0xfffd
	v_add_co_ci_u32_e64 v5, null, s15, v1, vcc_lo
	s_wait_alu 0xfffe
	v_cmp_ne_u64_e32 vcc_lo, s[0:1], v[2:3]
	global_load_b64 v[4:5], v[4:5], off
	s_and_saveexec_b32 s0, vcc_lo
	s_cbranch_execz .LBB104_8
; %bb.7:
	v_dual_mov_b32 v6, 0 :: v_dual_add_nc_u32 v7, 1, v2
	s_delay_alu instid0(VALU_DEP_1) | instskip(NEXT) | instid1(VALU_DEP_1)
	v_ashrrev_i64 v[2:3], 29, v[6:7]
	v_add_co_u32 v2, vcc_lo, s14, v2
	s_wait_alu 0xfffd
	s_delay_alu instid0(VALU_DEP_2)
	v_add_co_ci_u32_e64 v3, null, s15, v3, vcc_lo
	global_load_b64 v[6:7], v[2:3], off
.LBB104_8:
	s_wait_alu 0xfffe
	s_or_b32 exec_lo, exec_lo, s0
	v_lshlrev_b64_e32 v[2:3], 2, v[8:9]
	v_mov_b32_e32 v14, 0
	s_mov_b32 s1, exec_lo
	s_wait_loadcnt 0x0
	v_cmpx_lt_i64_e64 v[4:5], v[6:7]
	s_cbranch_execz .LBB104_15
; %bb.9:
	v_lshlrev_b64_e32 v[10:11], 3, v[4:5]
	v_add_co_u32 v15, vcc_lo, s6, v2
	s_wait_alu 0xfffd
	v_add_co_ci_u32_e64 v16, null, s7, v3, vcc_lo
	v_mov_b32_e32 v14, 0
	s_delay_alu instid0(VALU_DEP_4)
	v_add_co_u32 v8, vcc_lo, s8, v10
	s_wait_alu 0xfffd
	v_add_co_ci_u32_e64 v9, null, s9, v11, vcc_lo
	v_add_co_u32 v10, vcc_lo, s4, v10
	s_wait_alu 0xfffd
	v_add_co_ci_u32_e64 v11, null, s5, v11, vcc_lo
	s_cmp_lg_u64 s[8:9], 0
	s_mov_b32 s3, 0
	s_cselect_b32 s2, -1, 0
	s_branch .LBB104_12
.LBB104_10:                             ;   in Loop: Header=BB104_12 Depth=1
	global_load_b64 v[17:18], v[8:9], off
	s_wait_loadcnt 0x0
	v_xor_b32_e32 v19, v17, v18
	v_cls_i32_e32 v20, v18
	s_delay_alu instid0(VALU_DEP_2) | instskip(NEXT) | instid1(VALU_DEP_2)
	v_ashrrev_i32_e32 v19, 31, v19
	v_add_nc_u32_e32 v20, -1, v20
	s_delay_alu instid0(VALU_DEP_2) | instskip(NEXT) | instid1(VALU_DEP_1)
	v_add_nc_u32_e32 v19, 32, v19
	v_min_u32_e32 v19, v20, v19
	s_delay_alu instid0(VALU_DEP_1) | instskip(NEXT) | instid1(VALU_DEP_1)
	v_lshlrev_b64_e32 v[17:18], v19, v[17:18]
	v_min_u32_e32 v17, 1, v17
	s_delay_alu instid0(VALU_DEP_1) | instskip(SKIP_1) | instid1(VALU_DEP_2)
	v_or_b32_e32 v17, v18, v17
	v_sub_nc_u32_e32 v18, 32, v19
	v_cvt_f32_i32_e32 v17, v17
	s_delay_alu instid0(VALU_DEP_1) | instskip(NEXT) | instid1(VALU_DEP_1)
	v_ldexp_f32 v17, v17, v18
	v_div_scale_f32 v18, null, v17, v17, 1.0
	s_delay_alu instid0(VALU_DEP_1) | instskip(NEXT) | instid1(TRANS32_DEP_1)
	v_rcp_f32_e32 v19, v18
	v_fma_f32 v20, -v18, v19, 1.0
	s_delay_alu instid0(VALU_DEP_1) | instskip(SKIP_1) | instid1(VALU_DEP_1)
	v_fmac_f32_e32 v19, v20, v19
	v_div_scale_f32 v20, vcc_lo, 1.0, v17, 1.0
	v_mul_f32_e32 v21, v20, v19
	s_delay_alu instid0(VALU_DEP_1) | instskip(NEXT) | instid1(VALU_DEP_1)
	v_fma_f32 v22, -v18, v21, v20
	v_fmac_f32_e32 v21, v22, v19
	s_delay_alu instid0(VALU_DEP_1) | instskip(SKIP_1) | instid1(VALU_DEP_1)
	v_fma_f32 v18, -v18, v21, v20
	s_wait_alu 0xfffd
	v_div_fmas_f32 v18, v18, v19, v21
	s_delay_alu instid0(VALU_DEP_1)
	v_div_fixup_f32 v17, v18, v17, 1.0
.LBB104_11:                             ;   in Loop: Header=BB104_12 Depth=1
	s_wait_loadcnt 0x0
	v_mul_lo_u32 v18, v13, s12
	v_mul_lo_u32 v19, v12, s13
	v_mad_co_u64_u32 v[12:13], null, v12, s12, 0
	v_add_co_u32 v10, s0, v10, 8
	s_wait_alu 0xf1ff
	v_add_co_ci_u32_e64 v11, null, 0, v11, s0
	s_delay_alu instid0(VALU_DEP_3) | instskip(NEXT) | instid1(VALU_DEP_1)
	v_add3_u32 v13, v13, v19, v18
	v_lshlrev_b64_e32 v[12:13], 2, v[12:13]
	s_delay_alu instid0(VALU_DEP_1) | instskip(SKIP_1) | instid1(VALU_DEP_2)
	v_add_co_u32 v12, vcc_lo, v15, v12
	s_wait_alu 0xfffd
	v_add_co_ci_u32_e64 v13, null, v16, v13, vcc_lo
	v_add_co_u32 v4, vcc_lo, v4, 1
	s_wait_alu 0xfffd
	v_add_co_ci_u32_e64 v5, null, 0, v5, vcc_lo
	global_load_b32 v12, v[12:13], off
	v_add_co_u32 v8, vcc_lo, v8, 8
	s_wait_alu 0xfffd
	v_add_co_ci_u32_e64 v9, null, 0, v9, vcc_lo
	v_cmp_ge_i64_e32 vcc_lo, v[4:5], v[6:7]
	s_or_b32 s3, vcc_lo, s3
	s_wait_loadcnt 0x0
	v_fmac_f32_e32 v14, v17, v12
	s_wait_alu 0xfffe
	s_and_not1_b32 exec_lo, exec_lo, s3
	s_cbranch_execz .LBB104_14
.LBB104_12:                             ; =>This Inner Loop Header: Depth=1
	global_load_b64 v[12:13], v[10:11], off
	s_wait_alu 0xfffe
	s_and_not1_b32 vcc_lo, exec_lo, s2
	s_wait_alu 0xfffe
	s_cbranch_vccz .LBB104_10
; %bb.13:                               ;   in Loop: Header=BB104_12 Depth=1
	v_mov_b32_e32 v17, 1.0
	s_branch .LBB104_11
.LBB104_14:
	s_or_b32 exec_lo, exec_lo, s3
.LBB104_15:
	s_wait_alu 0xfffe
	s_or_b32 exec_lo, exec_lo, s1
	s_wait_kmcnt 0x0
	v_add_co_u32 v0, vcc_lo, s20, v0
	s_wait_alu 0xfffd
	v_add_co_ci_u32_e64 v1, null, s21, v1, vcc_lo
	global_load_b64 v[0:1], v[0:1], off
	s_wait_loadcnt 0x0
	v_lshlrev_b64_e32 v[0:1], 3, v[0:1]
	s_delay_alu instid0(VALU_DEP_1) | instskip(SKIP_1) | instid1(VALU_DEP_2)
	v_add_co_u32 v0, vcc_lo, s22, v0
	s_wait_alu 0xfffd
	v_add_co_ci_u32_e64 v1, null, s23, v1, vcc_lo
	global_load_b64 v[0:1], v[0:1], off
	s_wait_loadcnt 0x0
	v_lshlrev_b64_e32 v[0:1], 3, v[0:1]
	s_delay_alu instid0(VALU_DEP_1) | instskip(SKIP_1) | instid1(VALU_DEP_2)
	v_add_co_u32 v0, vcc_lo, s18, v0
	s_wait_alu 0xfffd
	v_add_co_ci_u32_e64 v1, null, s19, v1, vcc_lo
	global_load_b64 v[0:1], v[0:1], off
	s_wait_loadcnt 0x0
	v_cmp_ne_u64_e32 vcc_lo, s[26:27], v[0:1]
	s_and_b32 exec_lo, exec_lo, vcc_lo
	s_cbranch_execz .LBB104_17
; %bb.16:
	v_mul_lo_u32 v4, v1, s12
	v_mul_lo_u32 v5, v0, s13
	v_mad_co_u64_u32 v[0:1], null, v0, s12, 0
	s_delay_alu instid0(VALU_DEP_1) | instskip(NEXT) | instid1(VALU_DEP_1)
	v_add3_u32 v1, v1, v5, v4
	v_lshlrev_b64_e32 v[0:1], 2, v[0:1]
	s_delay_alu instid0(VALU_DEP_1) | instskip(SKIP_1) | instid1(VALU_DEP_2)
	v_add_co_u32 v0, vcc_lo, s24, v0
	s_wait_alu 0xfffd
	v_add_co_ci_u32_e64 v1, null, s25, v1, vcc_lo
	s_delay_alu instid0(VALU_DEP_2) | instskip(SKIP_1) | instid1(VALU_DEP_2)
	v_add_co_u32 v0, vcc_lo, v0, v2
	s_wait_alu 0xfffd
	v_add_co_ci_u32_e64 v1, null, v1, v3, vcc_lo
	global_atomic_add_f32 v[0:1], v14, off scope:SCOPE_DEV
.LBB104_17:
	s_endpgm
	.section	.rodata,"a",@progbits
	.p2align	6, 0x0
	.amdhsa_kernel _ZN2at6native12_GLOBAL__N_137compute_grad_weight_atomic_accumulateIfflEEvPKT1_PKT_S5_llS5_PKlS5_S5_S5_PT0_ll
		.amdhsa_group_segment_fixed_size 0
		.amdhsa_private_segment_fixed_size 0
		.amdhsa_kernarg_size 360
		.amdhsa_user_sgpr_count 2
		.amdhsa_user_sgpr_dispatch_ptr 0
		.amdhsa_user_sgpr_queue_ptr 0
		.amdhsa_user_sgpr_kernarg_segment_ptr 1
		.amdhsa_user_sgpr_dispatch_id 0
		.amdhsa_user_sgpr_private_segment_size 0
		.amdhsa_wavefront_size32 1
		.amdhsa_uses_dynamic_stack 0
		.amdhsa_enable_private_segment 0
		.amdhsa_system_sgpr_workgroup_id_x 1
		.amdhsa_system_sgpr_workgroup_id_y 0
		.amdhsa_system_sgpr_workgroup_id_z 0
		.amdhsa_system_sgpr_workgroup_info 0
		.amdhsa_system_vgpr_workitem_id 0
		.amdhsa_next_free_vgpr 23
		.amdhsa_next_free_sgpr 28
		.amdhsa_reserve_vcc 1
		.amdhsa_float_round_mode_32 0
		.amdhsa_float_round_mode_16_64 0
		.amdhsa_float_denorm_mode_32 3
		.amdhsa_float_denorm_mode_16_64 3
		.amdhsa_fp16_overflow 0
		.amdhsa_workgroup_processor_mode 1
		.amdhsa_memory_ordered 1
		.amdhsa_forward_progress 1
		.amdhsa_inst_pref_size 16
		.amdhsa_round_robin_scheduling 0
		.amdhsa_exception_fp_ieee_invalid_op 0
		.amdhsa_exception_fp_denorm_src 0
		.amdhsa_exception_fp_ieee_div_zero 0
		.amdhsa_exception_fp_ieee_overflow 0
		.amdhsa_exception_fp_ieee_underflow 0
		.amdhsa_exception_fp_ieee_inexact 0
		.amdhsa_exception_int_div_zero 0
	.end_amdhsa_kernel
	.section	.text._ZN2at6native12_GLOBAL__N_137compute_grad_weight_atomic_accumulateIfflEEvPKT1_PKT_S5_llS5_PKlS5_S5_S5_PT0_ll,"axG",@progbits,_ZN2at6native12_GLOBAL__N_137compute_grad_weight_atomic_accumulateIfflEEvPKT1_PKT_S5_llS5_PKlS5_S5_S5_PT0_ll,comdat
.Lfunc_end104:
	.size	_ZN2at6native12_GLOBAL__N_137compute_grad_weight_atomic_accumulateIfflEEvPKT1_PKT_S5_llS5_PKlS5_S5_S5_PT0_ll, .Lfunc_end104-_ZN2at6native12_GLOBAL__N_137compute_grad_weight_atomic_accumulateIfflEEvPKT1_PKT_S5_llS5_PKlS5_S5_S5_PT0_ll
                                        ; -- End function
	.set _ZN2at6native12_GLOBAL__N_137compute_grad_weight_atomic_accumulateIfflEEvPKT1_PKT_S5_llS5_PKlS5_S5_S5_PT0_ll.num_vgpr, 23
	.set _ZN2at6native12_GLOBAL__N_137compute_grad_weight_atomic_accumulateIfflEEvPKT1_PKT_S5_llS5_PKlS5_S5_S5_PT0_ll.num_agpr, 0
	.set _ZN2at6native12_GLOBAL__N_137compute_grad_weight_atomic_accumulateIfflEEvPKT1_PKT_S5_llS5_PKlS5_S5_S5_PT0_ll.numbered_sgpr, 28
	.set _ZN2at6native12_GLOBAL__N_137compute_grad_weight_atomic_accumulateIfflEEvPKT1_PKT_S5_llS5_PKlS5_S5_S5_PT0_ll.num_named_barrier, 0
	.set _ZN2at6native12_GLOBAL__N_137compute_grad_weight_atomic_accumulateIfflEEvPKT1_PKT_S5_llS5_PKlS5_S5_S5_PT0_ll.private_seg_size, 0
	.set _ZN2at6native12_GLOBAL__N_137compute_grad_weight_atomic_accumulateIfflEEvPKT1_PKT_S5_llS5_PKlS5_S5_S5_PT0_ll.uses_vcc, 1
	.set _ZN2at6native12_GLOBAL__N_137compute_grad_weight_atomic_accumulateIfflEEvPKT1_PKT_S5_llS5_PKlS5_S5_S5_PT0_ll.uses_flat_scratch, 0
	.set _ZN2at6native12_GLOBAL__N_137compute_grad_weight_atomic_accumulateIfflEEvPKT1_PKT_S5_llS5_PKlS5_S5_S5_PT0_ll.has_dyn_sized_stack, 0
	.set _ZN2at6native12_GLOBAL__N_137compute_grad_weight_atomic_accumulateIfflEEvPKT1_PKT_S5_llS5_PKlS5_S5_S5_PT0_ll.has_recursion, 0
	.set _ZN2at6native12_GLOBAL__N_137compute_grad_weight_atomic_accumulateIfflEEvPKT1_PKT_S5_llS5_PKlS5_S5_S5_PT0_ll.has_indirect_call, 0
	.section	.AMDGPU.csdata,"",@progbits
; Kernel info:
; codeLenInByte = 2000
; TotalNumSgprs: 30
; NumVgprs: 23
; ScratchSize: 0
; MemoryBound: 0
; FloatMode: 240
; IeeeMode: 1
; LDSByteSize: 0 bytes/workgroup (compile time only)
; SGPRBlocks: 0
; VGPRBlocks: 2
; NumSGPRsForWavesPerEU: 30
; NumVGPRsForWavesPerEU: 23
; Occupancy: 16
; WaveLimiterHint : 1
; COMPUTE_PGM_RSRC2:SCRATCH_EN: 0
; COMPUTE_PGM_RSRC2:USER_SGPR: 2
; COMPUTE_PGM_RSRC2:TRAP_HANDLER: 0
; COMPUTE_PGM_RSRC2:TGID_X_EN: 1
; COMPUTE_PGM_RSRC2:TGID_Y_EN: 0
; COMPUTE_PGM_RSRC2:TGID_Z_EN: 0
; COMPUTE_PGM_RSRC2:TIDIG_COMP_CNT: 0
	.section	.text._ZN2at6native12_GLOBAL__N_124compute_grad_weight_bagsIflEEvPKT0_PKT_S5_S5_lliS5_S8_lS5_PKlPNS_14AccumulateTypeIS6_Lb1EE4typeEl,"axG",@progbits,_ZN2at6native12_GLOBAL__N_124compute_grad_weight_bagsIflEEvPKT0_PKT_S5_S5_lliS5_S8_lS5_PKlPNS_14AccumulateTypeIS6_Lb1EE4typeEl,comdat
	.globl	_ZN2at6native12_GLOBAL__N_124compute_grad_weight_bagsIflEEvPKT0_PKT_S5_S5_lliS5_S8_lS5_PKlPNS_14AccumulateTypeIS6_Lb1EE4typeEl ; -- Begin function _ZN2at6native12_GLOBAL__N_124compute_grad_weight_bagsIflEEvPKT0_PKT_S5_S5_lliS5_S8_lS5_PKlPNS_14AccumulateTypeIS6_Lb1EE4typeEl
	.p2align	8
	.type	_ZN2at6native12_GLOBAL__N_124compute_grad_weight_bagsIflEEvPKT0_PKT_S5_S5_lliS5_S8_lS5_PKlPNS_14AccumulateTypeIS6_Lb1EE4typeEl,@function
_ZN2at6native12_GLOBAL__N_124compute_grad_weight_bagsIflEEvPKT0_PKT_S5_S5_lliS5_S8_lS5_PKlPNS_14AccumulateTypeIS6_Lb1EE4typeEl: ; @_ZN2at6native12_GLOBAL__N_124compute_grad_weight_bagsIflEEvPKT0_PKT_S5_S5_lliS5_S8_lS5_PKlPNS_14AccumulateTypeIS6_Lb1EE4typeEl
; %bb.0:
	s_clause 0x2
	s_load_b32 s2, s[0:1], 0x7c
	s_load_b64 s[4:5], s[0:1], 0x68
	s_load_b128 s[20:23], s[0:1], 0x58
	v_mov_b32_e32 v1, 0
	s_delay_alu instid0(VALU_DEP_1) | instskip(SKIP_2) | instid1(SALU_CYCLE_1)
	v_mov_b32_e32 v4, v1
	s_wait_kmcnt 0x0
	s_and_b32 s2, s2, 0xffff
	v_mad_co_u64_u32 v[2:3], null, s2, ttmp9, v[0:1]
                                        ; implicit-def: $vgpr0_vgpr1
	s_mov_b32 s2, exec_lo
	v_or_b32_e32 v5, s5, v3
	s_delay_alu instid0(VALU_DEP_1)
	v_cmpx_ne_u64_e32 0, v[4:5]
	s_wait_alu 0xfffe
	s_xor_b32 s3, exec_lo, s2
	s_cbranch_execz .LBB105_2
; %bb.1:
	s_ashr_i32 s6, s5, 31
	s_mov_b32 s17, 0
	s_mov_b32 s7, s6
	v_ashrrev_i32_e32 v8, 31, v3
	s_add_nc_u64 s[8:9], s[4:5], s[6:7]
	s_delay_alu instid0(SALU_CYCLE_1) | instskip(NEXT) | instid1(VALU_DEP_1)
	s_xor_b64 s[8:9], s[8:9], s[6:7]
	v_add_co_u32 v0, vcc_lo, v2, v8
	s_cvt_f32_u32 s2, s8
	s_cvt_f32_u32 s7, s9
	s_sub_nc_u64 s[12:13], 0, s[8:9]
	v_add_co_ci_u32_e64 v1, null, v3, v8, vcc_lo
	s_wait_alu 0xfffe
	s_fmamk_f32 s2, s7, 0x4f800000, s2
	v_xor_b32_e32 v9, v0, v8
	s_delay_alu instid0(VALU_DEP_2) | instskip(SKIP_2) | instid1(TRANS32_DEP_1)
	v_xor_b32_e32 v10, v1, v8
	s_wait_alu 0xfffe
	v_s_rcp_f32 s2, s2
	s_mul_f32 s2, s2, 0x5f7ffffc
	s_wait_alu 0xfffe
	s_delay_alu instid0(SALU_CYCLE_2) | instskip(NEXT) | instid1(SALU_CYCLE_3)
	s_mul_f32 s7, s2, 0x2f800000
	s_trunc_f32 s7, s7
	s_delay_alu instid0(SALU_CYCLE_3) | instskip(SKIP_2) | instid1(SALU_CYCLE_1)
	s_fmamk_f32 s2, s7, 0xcf800000, s2
	s_cvt_u32_f32 s11, s7
	s_wait_alu 0xfffe
	s_cvt_u32_f32 s10, s2
	s_delay_alu instid0(SALU_CYCLE_3) | instskip(NEXT) | instid1(SALU_CYCLE_1)
	s_mul_u64 s[14:15], s[12:13], s[10:11]
	s_mul_hi_u32 s19, s10, s15
	s_mul_i32 s18, s10, s15
	s_mul_hi_u32 s16, s10, s14
	s_mul_i32 s7, s11, s14
	s_add_nc_u64 s[18:19], s[16:17], s[18:19]
	s_mul_hi_u32 s2, s11, s14
	s_mul_hi_u32 s24, s11, s15
	s_add_co_u32 s7, s18, s7
	s_wait_alu 0xfffe
	s_add_co_ci_u32 s16, s19, s2
	s_mul_i32 s14, s11, s15
	s_add_co_ci_u32 s15, s24, 0
	s_delay_alu instid0(SALU_CYCLE_1) | instskip(NEXT) | instid1(SALU_CYCLE_1)
	s_add_nc_u64 s[14:15], s[16:17], s[14:15]
	s_add_co_u32 s10, s10, s14
	s_cselect_b32 s2, -1, 0
	s_wait_alu 0xfffe
	s_cmp_lg_u32 s2, 0
	s_add_co_ci_u32 s11, s11, s15
	s_delay_alu instid0(SALU_CYCLE_1) | instskip(NEXT) | instid1(SALU_CYCLE_1)
	s_mul_u64 s[12:13], s[12:13], s[10:11]
	s_mul_hi_u32 s15, s10, s13
	s_mul_i32 s14, s10, s13
	s_mul_hi_u32 s16, s10, s12
	s_mul_i32 s7, s11, s12
	s_add_nc_u64 s[14:15], s[16:17], s[14:15]
	s_mul_hi_u32 s2, s11, s12
	s_mul_hi_u32 s18, s11, s13
	s_add_co_u32 s7, s14, s7
	s_wait_alu 0xfffe
	s_add_co_ci_u32 s16, s15, s2
	s_mul_i32 s12, s11, s13
	s_add_co_ci_u32 s13, s18, 0
	s_delay_alu instid0(SALU_CYCLE_1) | instskip(NEXT) | instid1(SALU_CYCLE_1)
	s_add_nc_u64 s[12:13], s[16:17], s[12:13]
	s_add_co_u32 s2, s10, s12
	s_cselect_b32 s7, -1, 0
	s_wait_alu 0xfffe
	v_mul_hi_u32 v11, v9, s2
	s_cmp_lg_u32 s7, 0
	v_mad_co_u64_u32 v[4:5], null, v10, s2, 0
	s_add_co_ci_u32 s7, s11, s13
	s_delay_alu instid0(SALU_CYCLE_1) | instskip(SKIP_1) | instid1(VALU_DEP_2)
	v_mad_co_u64_u32 v[0:1], null, v9, s7, 0
	v_mad_co_u64_u32 v[6:7], null, v10, s7, 0
	v_add_co_u32 v0, vcc_lo, v11, v0
	s_wait_alu 0xfffd
	s_delay_alu instid0(VALU_DEP_3) | instskip(NEXT) | instid1(VALU_DEP_2)
	v_add_co_ci_u32_e64 v1, null, 0, v1, vcc_lo
	v_add_co_u32 v0, vcc_lo, v0, v4
	s_wait_alu 0xfffd
	s_delay_alu instid0(VALU_DEP_2) | instskip(SKIP_2) | instid1(VALU_DEP_2)
	v_add_co_ci_u32_e32 v0, vcc_lo, v1, v5, vcc_lo
	s_wait_alu 0xfffd
	v_add_co_ci_u32_e32 v1, vcc_lo, 0, v7, vcc_lo
	v_add_co_u32 v4, vcc_lo, v0, v6
	s_wait_alu 0xfffd
	s_delay_alu instid0(VALU_DEP_2) | instskip(NEXT) | instid1(VALU_DEP_2)
	v_add_co_ci_u32_e64 v5, null, 0, v1, vcc_lo
	v_mul_lo_u32 v6, s9, v4
	v_mad_co_u64_u32 v[0:1], null, s8, v4, 0
	s_delay_alu instid0(VALU_DEP_3) | instskip(NEXT) | instid1(VALU_DEP_2)
	v_mul_lo_u32 v7, s8, v5
	v_sub_co_u32 v0, vcc_lo, v9, v0
	s_delay_alu instid0(VALU_DEP_2) | instskip(SKIP_3) | instid1(VALU_DEP_3)
	v_add3_u32 v1, v1, v7, v6
	v_add_co_u32 v7, s2, v4, 2
	s_wait_alu 0xf1ff
	v_add_co_ci_u32_e64 v9, null, 0, v5, s2
	v_sub_nc_u32_e32 v6, v10, v1
	v_sub_co_u32 v11, s2, v0, s8
	s_wait_alu 0xfffd
	v_sub_co_ci_u32_e64 v1, null, v10, v1, vcc_lo
	s_delay_alu instid0(VALU_DEP_3) | instskip(NEXT) | instid1(VALU_DEP_3)
	v_subrev_co_ci_u32_e64 v6, null, s9, v6, vcc_lo
	v_cmp_le_u32_e32 vcc_lo, s8, v11
	s_wait_alu 0xf1ff
	s_delay_alu instid0(VALU_DEP_2) | instskip(SKIP_2) | instid1(VALU_DEP_2)
	v_subrev_co_ci_u32_e64 v6, null, 0, v6, s2
	s_wait_alu 0xfffd
	v_cndmask_b32_e64 v10, 0, -1, vcc_lo
	v_cmp_le_u32_e32 vcc_lo, s9, v6
	s_wait_alu 0xfffd
	v_cndmask_b32_e64 v11, 0, -1, vcc_lo
	v_cmp_le_u32_e32 vcc_lo, s8, v0
	;; [unrolled: 3-line block ×3, first 2 shown]
	s_wait_alu 0xfffd
	v_cndmask_b32_e64 v12, 0, -1, vcc_lo
	v_cmp_eq_u32_e32 vcc_lo, s9, v6
	s_wait_alu 0xfffd
	v_cndmask_b32_e32 v6, v11, v10, vcc_lo
	v_add_co_u32 v10, vcc_lo, v4, 1
	s_wait_alu 0xfffd
	v_add_co_ci_u32_e64 v11, null, 0, v5, vcc_lo
	v_cmp_eq_u32_e32 vcc_lo, s9, v1
	s_wait_alu 0xfffd
	v_cndmask_b32_e32 v0, v12, v0, vcc_lo
	v_cmp_ne_u32_e32 vcc_lo, 0, v6
	v_xor_b32_e32 v6, s6, v8
	s_wait_alu 0xfffd
	v_cndmask_b32_e32 v1, v11, v9, vcc_lo
	v_cmp_ne_u32_e64 s2, 0, v0
	v_cndmask_b32_e32 v0, v10, v7, vcc_lo
	s_wait_alu 0xf1ff
	s_delay_alu instid0(VALU_DEP_2) | instskip(NEXT) | instid1(VALU_DEP_2)
	v_cndmask_b32_e64 v1, v5, v1, s2
	v_cndmask_b32_e64 v0, v4, v0, s2
	s_delay_alu instid0(VALU_DEP_2) | instskip(NEXT) | instid1(VALU_DEP_2)
	v_xor_b32_e32 v1, v1, v6
	v_xor_b32_e32 v0, v0, v6
	s_delay_alu instid0(VALU_DEP_1) | instskip(SKIP_1) | instid1(VALU_DEP_3)
	v_sub_co_u32 v0, vcc_lo, v0, v6
	s_wait_alu 0xfffd
	v_sub_co_ci_u32_e64 v1, null, v1, v6, vcc_lo
.LBB105_2:
	s_wait_alu 0xfffe
	s_or_saveexec_b32 s2, s3
	s_load_b64 s[20:21], s[20:21], 0x0
	s_xor_b32 exec_lo, exec_lo, s2
	s_cbranch_execz .LBB105_4
; %bb.3:
	v_cvt_f32_u32_e32 v0, s4
	s_sub_co_i32 s3, 0, s4
	s_delay_alu instid0(VALU_DEP_1) | instskip(NEXT) | instid1(TRANS32_DEP_1)
	v_rcp_iflag_f32_e32 v0, v0
	v_mul_f32_e32 v0, 0x4f7ffffe, v0
	s_delay_alu instid0(VALU_DEP_1) | instskip(SKIP_1) | instid1(VALU_DEP_1)
	v_cvt_u32_f32_e32 v0, v0
	s_wait_alu 0xfffe
	v_mul_lo_u32 v1, s3, v0
	s_delay_alu instid0(VALU_DEP_1) | instskip(NEXT) | instid1(VALU_DEP_1)
	v_mul_hi_u32 v1, v0, v1
	v_add_nc_u32_e32 v0, v0, v1
	s_delay_alu instid0(VALU_DEP_1) | instskip(NEXT) | instid1(VALU_DEP_1)
	v_mul_hi_u32 v0, v2, v0
	v_mul_lo_u32 v1, v0, s4
	v_add_nc_u32_e32 v4, 1, v0
	s_delay_alu instid0(VALU_DEP_2) | instskip(NEXT) | instid1(VALU_DEP_1)
	v_sub_nc_u32_e32 v1, v2, v1
	v_subrev_nc_u32_e32 v5, s4, v1
	v_cmp_le_u32_e32 vcc_lo, s4, v1
	s_wait_alu 0xfffd
	s_delay_alu instid0(VALU_DEP_2) | instskip(NEXT) | instid1(VALU_DEP_1)
	v_dual_cndmask_b32 v1, v1, v5 :: v_dual_cndmask_b32 v0, v0, v4
	v_cmp_le_u32_e32 vcc_lo, s4, v1
	s_delay_alu instid0(VALU_DEP_2) | instskip(SKIP_1) | instid1(VALU_DEP_1)
	v_dual_mov_b32 v1, 0 :: v_dual_add_nc_u32 v4, 1, v0
	s_wait_alu 0xfffd
	v_cndmask_b32_e32 v0, v0, v4, vcc_lo
.LBB105_4:
	s_or_b32 exec_lo, exec_lo, s2
	s_load_b128 s[24:27], s[0:1], 0x20
	v_mul_lo_u32 v6, v1, s4
	s_delay_alu instid0(VALU_DEP_2) | instskip(SKIP_3) | instid1(VALU_DEP_2)
	v_mul_lo_u32 v7, v0, s5
	v_mad_co_u64_u32 v[4:5], null, v0, s4, 0
	s_wait_kmcnt 0x0
	v_cmp_gt_i64_e64 s2, s[20:21], v[0:1]
	v_add3_u32 v5, v5, v7, v6
	s_delay_alu instid0(VALU_DEP_3) | instskip(SKIP_1) | instid1(VALU_DEP_2)
	v_sub_co_u32 v4, vcc_lo, v2, v4
	s_wait_alu 0xfffd
	v_sub_co_ci_u32_e64 v5, null, v3, v5, vcc_lo
	s_delay_alu instid0(VALU_DEP_1)
	v_cmp_gt_i64_e32 vcc_lo, s[26:27], v[4:5]
	s_and_b32 s2, vcc_lo, s2
	s_wait_alu 0xfffe
	s_and_saveexec_b32 s3, s2
	s_cbranch_execz .LBB105_18
; %bb.5:
	s_load_b256 s[4:11], s[0:1], 0x38
	v_lshlrev_b64_e32 v[2:3], 3, v[0:1]
	s_load_b256 s[12:19], s[0:1], 0x0
	s_add_nc_u64 s[2:3], s[20:21], -1
	v_dual_mov_b32 v6, s24 :: v_dual_mov_b32 v7, s25
	s_wait_kmcnt 0x0
	s_delay_alu instid0(VALU_DEP_2)
	v_add_co_u32 v8, vcc_lo, s10, v2
	s_wait_alu 0xfffd
	v_add_co_ci_u32_e64 v9, null, s11, v3, vcc_lo
	s_wait_alu 0xfffe
	v_cmp_ne_u64_e32 vcc_lo, s[2:3], v[0:1]
	global_load_b64 v[2:3], v[8:9], off
	s_and_saveexec_b32 s2, vcc_lo
	s_cbranch_execz .LBB105_7
; %bb.6:
	global_load_b64 v[6:7], v[8:9], off offset:8
.LBB105_7:
	s_wait_alu 0xfffe
	s_or_b32 exec_lo, exec_lo, s2
	v_lshlrev_b64_e32 v[4:5], 2, v[4:5]
	s_wait_loadcnt 0x0
	v_mov_b32_e32 v3, 0
	s_mov_b32 s2, exec_lo
	v_cmpx_lt_i32_e64 v2, v6
	s_cbranch_execz .LBB105_17
; %bb.8:
	s_load_b32 s0, s[0:1], 0x30
	v_ashrrev_i32_e32 v3, 31, v2
	v_add_co_u32 v17, vcc_lo, s14, v4
	s_wait_alu 0xfffd
	v_add_co_ci_u32_e64 v18, null, s15, v5, vcc_lo
	s_delay_alu instid0(VALU_DEP_3)
	v_lshlrev_b64_e32 v[11:12], 3, v[2:3]
	s_cmp_lg_u64 s[18:19], 0
	v_mov_b32_e32 v7, 0
	s_cselect_b32 s1, -1, 0
	s_cmp_lg_u64 s[6:7], 0
	v_mov_b32_e32 v3, 0
	v_add_co_u32 v9, vcc_lo, s12, v11
	s_wait_alu 0xfffd
	v_add_co_ci_u32_e64 v10, null, s13, v12, vcc_lo
	v_add_co_u32 v11, vcc_lo, s18, v11
	s_wait_alu 0xfffd
	v_add_co_ci_u32_e64 v12, null, s19, v12, vcc_lo
	s_cselect_b32 s3, -1, 0
	s_wait_kmcnt 0x0
	s_cmp_lg_u32 s0, 0
	s_mov_b32 s11, 0
	s_cselect_b32 s10, -1, 0
	s_mov_b32 s12, s26
	s_branch .LBB105_10
.LBB105_9:                              ;   in Loop: Header=BB105_10 Depth=1
	v_add_nc_u32_e32 v2, 1, v2
	v_add_co_u32 v9, vcc_lo, v9, 8
	s_wait_alu 0xfffd
	v_add_co_ci_u32_e64 v10, null, 0, v10, vcc_lo
	s_delay_alu instid0(VALU_DEP_3)
	v_cmp_ge_i32_e32 vcc_lo, v2, v6
	v_add_co_u32 v11, s0, v11, 8
	s_wait_loadcnt 0x0
	v_fmac_f32_e32 v3, v16, v14
	s_wait_alu 0xf1ff
	v_add_co_ci_u32_e64 v12, null, 0, v12, s0
	s_or_b32 s11, vcc_lo, s11
	s_wait_alu 0xfffe
	s_and_not1_b32 exec_lo, exec_lo, s11
	s_cbranch_execz .LBB105_16
.LBB105_10:                             ; =>This Inner Loop Header: Depth=1
	global_load_b64 v[15:16], v[9:10], off
	s_wait_loadcnt 0x0
	v_mov_b32_e32 v8, v15
	s_delay_alu instid0(VALU_DEP_1) | instskip(NEXT) | instid1(VALU_DEP_1)
	v_ashrrev_i64 v[13:14], 29, v[7:8]
	v_add_co_u32 v13, vcc_lo, s16, v13
	s_wait_alu 0xfffd
	s_delay_alu instid0(VALU_DEP_2)
	v_add_co_ci_u32_e64 v14, null, s17, v14, vcc_lo
	s_wait_alu 0xfffe
	s_and_not1_b32 vcc_lo, exec_lo, s1
	global_load_b64 v[13:14], v[13:14], off
	s_wait_alu 0xfffe
	s_cbranch_vccnz .LBB105_15
; %bb.11:                               ;   in Loop: Header=BB105_10 Depth=1
	global_load_b64 v[19:20], v[11:12], off
	s_wait_loadcnt 0x0
	v_cvt_f64_i32_e32 v[20:21], v20
	v_cvt_f64_u32_e32 v[22:23], v19
	s_delay_alu instid0(VALU_DEP_2) | instskip(NEXT) | instid1(VALU_DEP_1)
	v_ldexp_f64 v[19:20], v[20:21], 32
	v_add_f64_e32 v[19:20], v[19:20], v[22:23]
	s_delay_alu instid0(VALU_DEP_1) | instskip(NEXT) | instid1(VALU_DEP_1)
	v_div_scale_f64 v[21:22], null, v[19:20], v[19:20], 1.0
	v_rcp_f64_e32 v[23:24], v[21:22]
	s_delay_alu instid0(TRANS32_DEP_1) | instskip(NEXT) | instid1(VALU_DEP_1)
	v_fma_f64 v[25:26], -v[21:22], v[23:24], 1.0
	v_fma_f64 v[23:24], v[23:24], v[25:26], v[23:24]
	s_delay_alu instid0(VALU_DEP_1) | instskip(NEXT) | instid1(VALU_DEP_1)
	v_fma_f64 v[25:26], -v[21:22], v[23:24], 1.0
	v_fma_f64 v[23:24], v[23:24], v[25:26], v[23:24]
	v_div_scale_f64 v[25:26], vcc_lo, 1.0, v[19:20], 1.0
	s_delay_alu instid0(VALU_DEP_1) | instskip(NEXT) | instid1(VALU_DEP_1)
	v_mul_f64_e32 v[27:28], v[25:26], v[23:24]
	v_fma_f64 v[21:22], -v[21:22], v[27:28], v[25:26]
	s_wait_alu 0xfffd
	s_delay_alu instid0(VALU_DEP_1) | instskip(NEXT) | instid1(VALU_DEP_1)
	v_div_fmas_f64 v[21:22], v[21:22], v[23:24], v[27:28]
	v_div_fixup_f64 v[19:20], v[21:22], v[19:20], 1.0
	s_delay_alu instid0(VALU_DEP_1)
	v_cvt_f32_f64_e32 v16, v[19:20]
	s_and_not1_b32 vcc_lo, exec_lo, s3
	s_wait_alu 0xfffe
	s_cbranch_vccnz .LBB105_13
.LBB105_12:                             ;   in Loop: Header=BB105_10 Depth=1
	v_ashrrev_i32_e32 v8, 31, v15
	v_mul_lo_u32 v21, v15, s9
	v_mad_co_u64_u32 v[19:20], null, v15, s8, 0
	s_delay_alu instid0(VALU_DEP_3) | instskip(NEXT) | instid1(VALU_DEP_1)
	v_mul_lo_u32 v8, v8, s8
	v_add3_u32 v20, v20, v21, v8
	s_delay_alu instid0(VALU_DEP_1) | instskip(NEXT) | instid1(VALU_DEP_1)
	v_lshlrev_b64_e32 v[19:20], 2, v[19:20]
	v_add_co_u32 v19, vcc_lo, s6, v19
	s_wait_alu 0xfffd
	s_delay_alu instid0(VALU_DEP_2)
	v_add_co_ci_u32_e64 v20, null, s7, v20, vcc_lo
	global_load_b32 v8, v[19:20], off
	s_wait_loadcnt 0x0
	v_mul_f32_e32 v16, v16, v8
.LBB105_13:                             ;   in Loop: Header=BB105_10 Depth=1
	s_wait_loadcnt 0x0
	v_mul_lo_u32 v8, s12, v13
	v_mul_lo_u32 v19, 0, v14
	v_mad_co_u64_u32 v[14:15], null, 0, v13, 0
	s_delay_alu instid0(VALU_DEP_1) | instskip(NEXT) | instid1(VALU_DEP_1)
	v_add3_u32 v15, v15, v19, v8
	v_ashrrev_i64 v[14:15], 30, v[14:15]
	s_delay_alu instid0(VALU_DEP_1) | instskip(SKIP_1) | instid1(VALU_DEP_2)
	v_add_co_u32 v14, vcc_lo, v17, v14
	s_wait_alu 0xfffd
	v_add_co_ci_u32_e64 v15, null, v18, v15, vcc_lo
	s_and_not1_b32 vcc_lo, exec_lo, s10
	global_load_b32 v14, v[14:15], off
	s_wait_alu 0xfffe
	s_cbranch_vccnz .LBB105_9
; %bb.14:                               ;   in Loop: Header=BB105_10 Depth=1
	v_mov_b32_e32 v8, v13
	s_delay_alu instid0(VALU_DEP_1) | instskip(NEXT) | instid1(VALU_DEP_1)
	v_ashrrev_i64 v[19:20], 29, v[7:8]
	v_add_co_u32 v19, vcc_lo, s4, v19
	s_wait_alu 0xfffd
	s_delay_alu instid0(VALU_DEP_2) | instskip(SKIP_4) | instid1(VALU_DEP_2)
	v_add_co_ci_u32_e64 v20, null, s5, v20, vcc_lo
	global_load_b64 v[19:20], v[19:20], off
	s_wait_loadcnt 0x0
	v_xor_b32_e32 v8, v19, v20
	v_cls_i32_e32 v13, v20
	v_ashrrev_i32_e32 v8, 31, v8
	s_delay_alu instid0(VALU_DEP_2) | instskip(NEXT) | instid1(VALU_DEP_2)
	v_add_nc_u32_e32 v13, -1, v13
	v_add_nc_u32_e32 v8, 32, v8
	s_delay_alu instid0(VALU_DEP_1) | instskip(NEXT) | instid1(VALU_DEP_1)
	v_min_u32_e32 v8, v13, v8
	v_lshlrev_b64_e32 v[19:20], v8, v[19:20]
	v_sub_nc_u32_e32 v8, 32, v8
	s_delay_alu instid0(VALU_DEP_2) | instskip(NEXT) | instid1(VALU_DEP_1)
	v_min_u32_e32 v13, 1, v19
	v_or_b32_e32 v13, v20, v13
	s_delay_alu instid0(VALU_DEP_1) | instskip(NEXT) | instid1(VALU_DEP_1)
	v_cvt_f32_i32_e32 v13, v13
	v_ldexp_f32 v8, v13, v8
	s_delay_alu instid0(VALU_DEP_1) | instskip(NEXT) | instid1(VALU_DEP_1)
	v_div_scale_f32 v13, null, v8, v8, v14
	v_rcp_f32_e32 v15, v13
	s_delay_alu instid0(TRANS32_DEP_1) | instskip(NEXT) | instid1(VALU_DEP_1)
	v_fma_f32 v19, -v13, v15, 1.0
	v_fmac_f32_e32 v15, v19, v15
	v_div_scale_f32 v19, vcc_lo, v14, v8, v14
	s_delay_alu instid0(VALU_DEP_1) | instskip(NEXT) | instid1(VALU_DEP_1)
	v_mul_f32_e32 v20, v19, v15
	v_fma_f32 v21, -v13, v20, v19
	s_delay_alu instid0(VALU_DEP_1) | instskip(NEXT) | instid1(VALU_DEP_1)
	v_fmac_f32_e32 v20, v21, v15
	v_fma_f32 v13, -v13, v20, v19
	s_wait_alu 0xfffd
	s_delay_alu instid0(VALU_DEP_1) | instskip(NEXT) | instid1(VALU_DEP_1)
	v_div_fmas_f32 v13, v13, v15, v20
	v_div_fixup_f32 v14, v13, v8, v14
	s_branch .LBB105_9
.LBB105_15:                             ;   in Loop: Header=BB105_10 Depth=1
	v_mov_b32_e32 v16, 1.0
	s_and_not1_b32 vcc_lo, exec_lo, s3
	s_wait_alu 0xfffe
	s_cbranch_vccz .LBB105_12
	s_branch .LBB105_13
.LBB105_16:
	s_or_b32 exec_lo, exec_lo, s11
.LBB105_17:
	s_wait_alu 0xfffe
	s_or_b32 exec_lo, exec_lo, s2
	v_mul_lo_u32 v2, v1, s26
	v_mul_lo_u32 v6, v0, s27
	v_mad_co_u64_u32 v[0:1], null, v0, s26, 0
	s_delay_alu instid0(VALU_DEP_1) | instskip(NEXT) | instid1(VALU_DEP_1)
	v_add3_u32 v1, v1, v6, v2
	v_lshlrev_b64_e32 v[0:1], 2, v[0:1]
	s_delay_alu instid0(VALU_DEP_1) | instskip(SKIP_1) | instid1(VALU_DEP_2)
	v_add_co_u32 v0, vcc_lo, s22, v0
	s_wait_alu 0xfffd
	v_add_co_ci_u32_e64 v1, null, s23, v1, vcc_lo
	s_delay_alu instid0(VALU_DEP_2) | instskip(SKIP_1) | instid1(VALU_DEP_2)
	v_add_co_u32 v0, vcc_lo, v0, v4
	s_wait_alu 0xfffd
	v_add_co_ci_u32_e64 v1, null, v1, v5, vcc_lo
	global_store_b32 v[0:1], v3, off
.LBB105_18:
	s_endpgm
	.section	.rodata,"a",@progbits
	.p2align	6, 0x0
	.amdhsa_kernel _ZN2at6native12_GLOBAL__N_124compute_grad_weight_bagsIflEEvPKT0_PKT_S5_S5_lliS5_S8_lS5_PKlPNS_14AccumulateTypeIS6_Lb1EE4typeEl
		.amdhsa_group_segment_fixed_size 0
		.amdhsa_private_segment_fixed_size 0
		.amdhsa_kernarg_size 368
		.amdhsa_user_sgpr_count 2
		.amdhsa_user_sgpr_dispatch_ptr 0
		.amdhsa_user_sgpr_queue_ptr 0
		.amdhsa_user_sgpr_kernarg_segment_ptr 1
		.amdhsa_user_sgpr_dispatch_id 0
		.amdhsa_user_sgpr_private_segment_size 0
		.amdhsa_wavefront_size32 1
		.amdhsa_uses_dynamic_stack 0
		.amdhsa_enable_private_segment 0
		.amdhsa_system_sgpr_workgroup_id_x 1
		.amdhsa_system_sgpr_workgroup_id_y 0
		.amdhsa_system_sgpr_workgroup_id_z 0
		.amdhsa_system_sgpr_workgroup_info 0
		.amdhsa_system_vgpr_workitem_id 0
		.amdhsa_next_free_vgpr 29
		.amdhsa_next_free_sgpr 28
		.amdhsa_reserve_vcc 1
		.amdhsa_float_round_mode_32 0
		.amdhsa_float_round_mode_16_64 0
		.amdhsa_float_denorm_mode_32 3
		.amdhsa_float_denorm_mode_16_64 3
		.amdhsa_fp16_overflow 0
		.amdhsa_workgroup_processor_mode 1
		.amdhsa_memory_ordered 1
		.amdhsa_forward_progress 1
		.amdhsa_inst_pref_size 18
		.amdhsa_round_robin_scheduling 0
		.amdhsa_exception_fp_ieee_invalid_op 0
		.amdhsa_exception_fp_denorm_src 0
		.amdhsa_exception_fp_ieee_div_zero 0
		.amdhsa_exception_fp_ieee_overflow 0
		.amdhsa_exception_fp_ieee_underflow 0
		.amdhsa_exception_fp_ieee_inexact 0
		.amdhsa_exception_int_div_zero 0
	.end_amdhsa_kernel
	.section	.text._ZN2at6native12_GLOBAL__N_124compute_grad_weight_bagsIflEEvPKT0_PKT_S5_S5_lliS5_S8_lS5_PKlPNS_14AccumulateTypeIS6_Lb1EE4typeEl,"axG",@progbits,_ZN2at6native12_GLOBAL__N_124compute_grad_weight_bagsIflEEvPKT0_PKT_S5_S5_lliS5_S8_lS5_PKlPNS_14AccumulateTypeIS6_Lb1EE4typeEl,comdat
.Lfunc_end105:
	.size	_ZN2at6native12_GLOBAL__N_124compute_grad_weight_bagsIflEEvPKT0_PKT_S5_S5_lliS5_S8_lS5_PKlPNS_14AccumulateTypeIS6_Lb1EE4typeEl, .Lfunc_end105-_ZN2at6native12_GLOBAL__N_124compute_grad_weight_bagsIflEEvPKT0_PKT_S5_S5_lliS5_S8_lS5_PKlPNS_14AccumulateTypeIS6_Lb1EE4typeEl
                                        ; -- End function
	.set _ZN2at6native12_GLOBAL__N_124compute_grad_weight_bagsIflEEvPKT0_PKT_S5_S5_lliS5_S8_lS5_PKlPNS_14AccumulateTypeIS6_Lb1EE4typeEl.num_vgpr, 29
	.set _ZN2at6native12_GLOBAL__N_124compute_grad_weight_bagsIflEEvPKT0_PKT_S5_S5_lliS5_S8_lS5_PKlPNS_14AccumulateTypeIS6_Lb1EE4typeEl.num_agpr, 0
	.set _ZN2at6native12_GLOBAL__N_124compute_grad_weight_bagsIflEEvPKT0_PKT_S5_S5_lliS5_S8_lS5_PKlPNS_14AccumulateTypeIS6_Lb1EE4typeEl.numbered_sgpr, 28
	.set _ZN2at6native12_GLOBAL__N_124compute_grad_weight_bagsIflEEvPKT0_PKT_S5_S5_lliS5_S8_lS5_PKlPNS_14AccumulateTypeIS6_Lb1EE4typeEl.num_named_barrier, 0
	.set _ZN2at6native12_GLOBAL__N_124compute_grad_weight_bagsIflEEvPKT0_PKT_S5_S5_lliS5_S8_lS5_PKlPNS_14AccumulateTypeIS6_Lb1EE4typeEl.private_seg_size, 0
	.set _ZN2at6native12_GLOBAL__N_124compute_grad_weight_bagsIflEEvPKT0_PKT_S5_S5_lliS5_S8_lS5_PKlPNS_14AccumulateTypeIS6_Lb1EE4typeEl.uses_vcc, 1
	.set _ZN2at6native12_GLOBAL__N_124compute_grad_weight_bagsIflEEvPKT0_PKT_S5_S5_lliS5_S8_lS5_PKlPNS_14AccumulateTypeIS6_Lb1EE4typeEl.uses_flat_scratch, 0
	.set _ZN2at6native12_GLOBAL__N_124compute_grad_weight_bagsIflEEvPKT0_PKT_S5_S5_lliS5_S8_lS5_PKlPNS_14AccumulateTypeIS6_Lb1EE4typeEl.has_dyn_sized_stack, 0
	.set _ZN2at6native12_GLOBAL__N_124compute_grad_weight_bagsIflEEvPKT0_PKT_S5_S5_lliS5_S8_lS5_PKlPNS_14AccumulateTypeIS6_Lb1EE4typeEl.has_recursion, 0
	.set _ZN2at6native12_GLOBAL__N_124compute_grad_weight_bagsIflEEvPKT0_PKT_S5_S5_lliS5_S8_lS5_PKlPNS_14AccumulateTypeIS6_Lb1EE4typeEl.has_indirect_call, 0
	.section	.AMDGPU.csdata,"",@progbits
; Kernel info:
; codeLenInByte = 2236
; TotalNumSgprs: 30
; NumVgprs: 29
; ScratchSize: 0
; MemoryBound: 0
; FloatMode: 240
; IeeeMode: 1
; LDSByteSize: 0 bytes/workgroup (compile time only)
; SGPRBlocks: 0
; VGPRBlocks: 3
; NumSGPRsForWavesPerEU: 30
; NumVGPRsForWavesPerEU: 29
; Occupancy: 16
; WaveLimiterHint : 1
; COMPUTE_PGM_RSRC2:SCRATCH_EN: 0
; COMPUTE_PGM_RSRC2:USER_SGPR: 2
; COMPUTE_PGM_RSRC2:TRAP_HANDLER: 0
; COMPUTE_PGM_RSRC2:TGID_X_EN: 1
; COMPUTE_PGM_RSRC2:TGID_Y_EN: 0
; COMPUTE_PGM_RSRC2:TGID_Z_EN: 0
; COMPUTE_PGM_RSRC2:TIDIG_COMP_CNT: 0
	.section	.text._ZN2at6native12_GLOBAL__N_119compute_grad_weightIflEEvPKT0_PKT_S5_llS5_PKlPNS_14AccumulateTypeIS6_Lb1EE4typeEl,"axG",@progbits,_ZN2at6native12_GLOBAL__N_119compute_grad_weightIflEEvPKT0_PKT_S5_llS5_PKlPNS_14AccumulateTypeIS6_Lb1EE4typeEl,comdat
	.globl	_ZN2at6native12_GLOBAL__N_119compute_grad_weightIflEEvPKT0_PKT_S5_llS5_PKlPNS_14AccumulateTypeIS6_Lb1EE4typeEl ; -- Begin function _ZN2at6native12_GLOBAL__N_119compute_grad_weightIflEEvPKT0_PKT_S5_llS5_PKlPNS_14AccumulateTypeIS6_Lb1EE4typeEl
	.p2align	8
	.type	_ZN2at6native12_GLOBAL__N_119compute_grad_weightIflEEvPKT0_PKT_S5_llS5_PKlPNS_14AccumulateTypeIS6_Lb1EE4typeEl,@function
_ZN2at6native12_GLOBAL__N_119compute_grad_weightIflEEvPKT0_PKT_S5_llS5_PKlPNS_14AccumulateTypeIS6_Lb1EE4typeEl: ; @_ZN2at6native12_GLOBAL__N_119compute_grad_weightIflEEvPKT0_PKT_S5_llS5_PKlPNS_14AccumulateTypeIS6_Lb1EE4typeEl
; %bb.0:
	s_clause 0x2
	s_load_b32 s20, s[0:1], 0x54
	s_load_b64 s[2:3], s[0:1], 0x40
	s_load_b512 s[4:19], s[0:1], 0x0
	v_mov_b32_e32 v1, 0
	s_delay_alu instid0(VALU_DEP_1) | instskip(SKIP_2) | instid1(SALU_CYCLE_1)
	v_mov_b32_e32 v4, v1
	s_wait_kmcnt 0x0
	s_and_b32 s0, s20, 0xffff
	v_mad_co_u64_u32 v[2:3], null, s0, ttmp9, v[0:1]
                                        ; implicit-def: $vgpr0_vgpr1
	s_mov_b32 s0, exec_lo
	v_or_b32_e32 v5, s3, v3
	s_delay_alu instid0(VALU_DEP_1)
	v_cmpx_ne_u64_e32 0, v[4:5]
	s_wait_alu 0xfffe
	s_xor_b32 s1, exec_lo, s0
	s_cbranch_execz .LBB106_2
; %bb.1:
	s_ashr_i32 s20, s3, 31
	s_mov_b32 s31, 0
	s_mov_b32 s21, s20
	v_ashrrev_i32_e32 v8, 31, v3
	s_add_nc_u64 s[22:23], s[2:3], s[20:21]
	s_delay_alu instid0(SALU_CYCLE_1) | instskip(NEXT) | instid1(VALU_DEP_1)
	s_xor_b64 s[22:23], s[22:23], s[20:21]
	v_add_co_u32 v0, vcc_lo, v2, v8
	s_cvt_f32_u32 s0, s22
	s_cvt_f32_u32 s21, s23
	s_sub_nc_u64 s[26:27], 0, s[22:23]
	v_add_co_ci_u32_e64 v1, null, v3, v8, vcc_lo
	s_wait_alu 0xfffe
	s_fmamk_f32 s0, s21, 0x4f800000, s0
	v_xor_b32_e32 v9, v0, v8
	s_delay_alu instid0(VALU_DEP_2) | instskip(SKIP_2) | instid1(TRANS32_DEP_1)
	v_xor_b32_e32 v10, v1, v8
	s_wait_alu 0xfffe
	v_s_rcp_f32 s0, s0
	s_mul_f32 s0, s0, 0x5f7ffffc
	s_wait_alu 0xfffe
	s_delay_alu instid0(SALU_CYCLE_2) | instskip(NEXT) | instid1(SALU_CYCLE_3)
	s_mul_f32 s21, s0, 0x2f800000
	s_trunc_f32 s21, s21
	s_delay_alu instid0(SALU_CYCLE_3) | instskip(SKIP_2) | instid1(SALU_CYCLE_1)
	s_fmamk_f32 s0, s21, 0xcf800000, s0
	s_cvt_u32_f32 s25, s21
	s_wait_alu 0xfffe
	s_cvt_u32_f32 s24, s0
	s_delay_alu instid0(SALU_CYCLE_3) | instskip(NEXT) | instid1(SALU_CYCLE_1)
	s_mul_u64 s[28:29], s[26:27], s[24:25]
	s_mul_hi_u32 s35, s24, s29
	s_mul_i32 s34, s24, s29
	s_mul_hi_u32 s30, s24, s28
	s_mul_i32 s21, s25, s28
	s_add_nc_u64 s[34:35], s[30:31], s[34:35]
	s_mul_hi_u32 s0, s25, s28
	s_mul_hi_u32 s33, s25, s29
	s_add_co_u32 s21, s34, s21
	s_wait_alu 0xfffe
	s_add_co_ci_u32 s30, s35, s0
	s_mul_i32 s28, s25, s29
	s_add_co_ci_u32 s29, s33, 0
	s_delay_alu instid0(SALU_CYCLE_1) | instskip(NEXT) | instid1(SALU_CYCLE_1)
	s_add_nc_u64 s[28:29], s[30:31], s[28:29]
	s_add_co_u32 s24, s24, s28
	s_cselect_b32 s0, -1, 0
	s_wait_alu 0xfffe
	s_cmp_lg_u32 s0, 0
	s_add_co_ci_u32 s25, s25, s29
	s_delay_alu instid0(SALU_CYCLE_1) | instskip(NEXT) | instid1(SALU_CYCLE_1)
	s_mul_u64 s[26:27], s[26:27], s[24:25]
	s_mul_hi_u32 s29, s24, s27
	s_mul_i32 s28, s24, s27
	s_mul_hi_u32 s30, s24, s26
	s_mul_i32 s21, s25, s26
	s_add_nc_u64 s[28:29], s[30:31], s[28:29]
	s_mul_hi_u32 s0, s25, s26
	s_mul_hi_u32 s33, s25, s27
	s_add_co_u32 s21, s28, s21
	s_wait_alu 0xfffe
	s_add_co_ci_u32 s30, s29, s0
	s_mul_i32 s26, s25, s27
	s_add_co_ci_u32 s27, s33, 0
	s_delay_alu instid0(SALU_CYCLE_1) | instskip(NEXT) | instid1(SALU_CYCLE_1)
	s_add_nc_u64 s[26:27], s[30:31], s[26:27]
	s_add_co_u32 s0, s24, s26
	s_cselect_b32 s21, -1, 0
	s_wait_alu 0xfffe
	v_mul_hi_u32 v11, v9, s0
	s_cmp_lg_u32 s21, 0
	v_mad_co_u64_u32 v[4:5], null, v10, s0, 0
	s_add_co_ci_u32 s21, s25, s27
	s_delay_alu instid0(SALU_CYCLE_1) | instskip(SKIP_1) | instid1(VALU_DEP_2)
	v_mad_co_u64_u32 v[0:1], null, v9, s21, 0
	v_mad_co_u64_u32 v[6:7], null, v10, s21, 0
	v_add_co_u32 v0, vcc_lo, v11, v0
	s_wait_alu 0xfffd
	s_delay_alu instid0(VALU_DEP_3) | instskip(NEXT) | instid1(VALU_DEP_2)
	v_add_co_ci_u32_e64 v1, null, 0, v1, vcc_lo
	v_add_co_u32 v0, vcc_lo, v0, v4
	s_wait_alu 0xfffd
	s_delay_alu instid0(VALU_DEP_2) | instskip(SKIP_2) | instid1(VALU_DEP_2)
	v_add_co_ci_u32_e32 v0, vcc_lo, v1, v5, vcc_lo
	s_wait_alu 0xfffd
	v_add_co_ci_u32_e32 v1, vcc_lo, 0, v7, vcc_lo
	v_add_co_u32 v4, vcc_lo, v0, v6
	s_wait_alu 0xfffd
	s_delay_alu instid0(VALU_DEP_2) | instskip(NEXT) | instid1(VALU_DEP_2)
	v_add_co_ci_u32_e64 v5, null, 0, v1, vcc_lo
	v_mul_lo_u32 v6, s23, v4
	v_mad_co_u64_u32 v[0:1], null, s22, v4, 0
	s_delay_alu instid0(VALU_DEP_3) | instskip(NEXT) | instid1(VALU_DEP_2)
	v_mul_lo_u32 v7, s22, v5
	v_sub_co_u32 v0, vcc_lo, v9, v0
	s_delay_alu instid0(VALU_DEP_2) | instskip(SKIP_3) | instid1(VALU_DEP_3)
	v_add3_u32 v1, v1, v7, v6
	v_add_co_u32 v7, s0, v4, 2
	s_wait_alu 0xf1ff
	v_add_co_ci_u32_e64 v9, null, 0, v5, s0
	v_sub_nc_u32_e32 v6, v10, v1
	v_sub_co_u32 v11, s0, v0, s22
	s_wait_alu 0xfffd
	v_sub_co_ci_u32_e64 v1, null, v10, v1, vcc_lo
	s_delay_alu instid0(VALU_DEP_3) | instskip(NEXT) | instid1(VALU_DEP_3)
	v_subrev_co_ci_u32_e64 v6, null, s23, v6, vcc_lo
	v_cmp_le_u32_e32 vcc_lo, s22, v11
	s_wait_alu 0xf1ff
	s_delay_alu instid0(VALU_DEP_2) | instskip(SKIP_2) | instid1(VALU_DEP_2)
	v_subrev_co_ci_u32_e64 v6, null, 0, v6, s0
	s_wait_alu 0xfffd
	v_cndmask_b32_e64 v10, 0, -1, vcc_lo
	v_cmp_le_u32_e32 vcc_lo, s23, v6
	s_wait_alu 0xfffd
	v_cndmask_b32_e64 v11, 0, -1, vcc_lo
	v_cmp_le_u32_e32 vcc_lo, s22, v0
	;; [unrolled: 3-line block ×3, first 2 shown]
	s_wait_alu 0xfffd
	v_cndmask_b32_e64 v12, 0, -1, vcc_lo
	v_cmp_eq_u32_e32 vcc_lo, s23, v6
	s_wait_alu 0xfffd
	v_cndmask_b32_e32 v6, v11, v10, vcc_lo
	v_add_co_u32 v10, vcc_lo, v4, 1
	s_wait_alu 0xfffd
	v_add_co_ci_u32_e64 v11, null, 0, v5, vcc_lo
	v_cmp_eq_u32_e32 vcc_lo, s23, v1
	s_wait_alu 0xfffd
	v_cndmask_b32_e32 v0, v12, v0, vcc_lo
	v_cmp_ne_u32_e32 vcc_lo, 0, v6
	v_xor_b32_e32 v6, s20, v8
	s_wait_alu 0xfffd
	v_cndmask_b32_e32 v1, v11, v9, vcc_lo
	v_cmp_ne_u32_e64 s0, 0, v0
	v_cndmask_b32_e32 v0, v10, v7, vcc_lo
	s_wait_alu 0xf1ff
	s_delay_alu instid0(VALU_DEP_2) | instskip(NEXT) | instid1(VALU_DEP_2)
	v_cndmask_b32_e64 v1, v5, v1, s0
	v_cndmask_b32_e64 v0, v4, v0, s0
	s_delay_alu instid0(VALU_DEP_2) | instskip(NEXT) | instid1(VALU_DEP_2)
	v_xor_b32_e32 v1, v1, v6
	v_xor_b32_e32 v0, v0, v6
	s_delay_alu instid0(VALU_DEP_1) | instskip(SKIP_1) | instid1(VALU_DEP_3)
	v_sub_co_u32 v0, vcc_lo, v0, v6
	s_wait_alu 0xfffd
	v_sub_co_ci_u32_e64 v1, null, v1, v6, vcc_lo
.LBB106_2:
	s_wait_alu 0xfffe
	s_or_saveexec_b32 s0, s1
	s_load_b64 s[16:17], s[16:17], 0x0
	s_xor_b32 exec_lo, exec_lo, s0
	s_cbranch_execz .LBB106_4
; %bb.3:
	v_cvt_f32_u32_e32 v0, s2
	s_sub_co_i32 s1, 0, s2
	s_delay_alu instid0(VALU_DEP_1) | instskip(NEXT) | instid1(TRANS32_DEP_1)
	v_rcp_iflag_f32_e32 v0, v0
	v_mul_f32_e32 v0, 0x4f7ffffe, v0
	s_delay_alu instid0(VALU_DEP_1) | instskip(SKIP_1) | instid1(VALU_DEP_1)
	v_cvt_u32_f32_e32 v0, v0
	s_wait_alu 0xfffe
	v_mul_lo_u32 v1, s1, v0
	s_delay_alu instid0(VALU_DEP_1) | instskip(NEXT) | instid1(VALU_DEP_1)
	v_mul_hi_u32 v1, v0, v1
	v_add_nc_u32_e32 v0, v0, v1
	s_delay_alu instid0(VALU_DEP_1) | instskip(NEXT) | instid1(VALU_DEP_1)
	v_mul_hi_u32 v0, v2, v0
	v_mul_lo_u32 v1, v0, s2
	v_add_nc_u32_e32 v4, 1, v0
	s_delay_alu instid0(VALU_DEP_2) | instskip(NEXT) | instid1(VALU_DEP_1)
	v_sub_nc_u32_e32 v1, v2, v1
	v_subrev_nc_u32_e32 v5, s2, v1
	v_cmp_le_u32_e32 vcc_lo, s2, v1
	s_wait_alu 0xfffd
	s_delay_alu instid0(VALU_DEP_2) | instskip(NEXT) | instid1(VALU_DEP_1)
	v_dual_cndmask_b32 v1, v1, v5 :: v_dual_cndmask_b32 v0, v0, v4
	v_cmp_le_u32_e32 vcc_lo, s2, v1
	s_delay_alu instid0(VALU_DEP_2) | instskip(SKIP_1) | instid1(VALU_DEP_1)
	v_dual_mov_b32 v1, 0 :: v_dual_add_nc_u32 v4, 1, v0
	s_wait_alu 0xfffd
	v_cndmask_b32_e32 v0, v0, v4, vcc_lo
.LBB106_4:
	s_or_b32 exec_lo, exec_lo, s0
	s_delay_alu instid0(VALU_DEP_2) | instskip(NEXT) | instid1(VALU_DEP_2)
	v_mul_lo_u32 v6, v1, s2
	v_mul_lo_u32 v7, v0, s3
	v_mad_co_u64_u32 v[4:5], null, v0, s2, 0
	s_wait_kmcnt 0x0
	v_cmp_gt_i64_e64 s0, s[16:17], v[0:1]
	s_delay_alu instid0(VALU_DEP_2) | instskip(NEXT) | instid1(VALU_DEP_3)
	v_add3_u32 v5, v5, v7, v6
	v_sub_co_u32 v4, vcc_lo, v2, v4
	s_wait_alu 0xfffd
	s_delay_alu instid0(VALU_DEP_2) | instskip(NEXT) | instid1(VALU_DEP_1)
	v_sub_co_ci_u32_e64 v5, null, v3, v5, vcc_lo
	v_cmp_gt_i64_e32 vcc_lo, s[12:13], v[4:5]
	s_and_b32 s0, vcc_lo, s0
	s_wait_alu 0xfffe
	s_and_saveexec_b32 s1, s0
	s_cbranch_execz .LBB106_15
; %bb.5:
	v_lshlrev_b64_e32 v[2:3], 3, v[0:1]
	s_add_nc_u64 s[0:1], s[16:17], -1
	v_dual_mov_b32 v6, s10 :: v_dual_mov_b32 v7, s11
	s_delay_alu instid0(VALU_DEP_2) | instskip(SKIP_1) | instid1(VALU_DEP_3)
	v_add_co_u32 v8, vcc_lo, s14, v2
	s_wait_alu 0xfffd
	v_add_co_ci_u32_e64 v9, null, s15, v3, vcc_lo
	s_wait_alu 0xfffe
	v_cmp_ne_u64_e32 vcc_lo, s[0:1], v[0:1]
	global_load_b64 v[2:3], v[8:9], off
	s_and_saveexec_b32 s0, vcc_lo
	s_cbranch_execz .LBB106_7
; %bb.6:
	global_load_b64 v[6:7], v[8:9], off offset:8
.LBB106_7:
	s_wait_alu 0xfffe
	s_or_b32 exec_lo, exec_lo, s0
	v_lshlrev_b64_e32 v[4:5], 2, v[4:5]
	s_wait_loadcnt 0x0
	v_mov_b32_e32 v3, 0
	s_mov_b32 s1, exec_lo
	v_cmpx_lt_i32_e64 v2, v6
	s_cbranch_execz .LBB106_14
; %bb.8:
	v_ashrrev_i32_e32 v3, 31, v2
	v_add_co_u32 v13, vcc_lo, s6, v4
	s_wait_alu 0xfffd
	v_add_co_ci_u32_e64 v14, null, s7, v5, vcc_lo
	s_delay_alu instid0(VALU_DEP_3) | instskip(SKIP_4) | instid1(VALU_DEP_2)
	v_lshlrev_b64_e32 v[9:10], 3, v[2:3]
	v_mov_b32_e32 v3, 0
	s_cmp_lg_u64 s[8:9], 0
	s_mov_b32 s3, 0
	s_cselect_b32 s2, -1, 0
	v_add_co_u32 v7, vcc_lo, s4, v9
	s_wait_alu 0xfffd
	v_add_co_ci_u32_e64 v8, null, s5, v10, vcc_lo
	v_add_co_u32 v9, vcc_lo, s8, v9
	s_wait_alu 0xfffd
	v_add_co_ci_u32_e64 v10, null, s9, v10, vcc_lo
	s_branch .LBB106_11
.LBB106_9:                              ;   in Loop: Header=BB106_11 Depth=1
	global_load_b64 v[15:16], v[9:10], off
	s_wait_loadcnt 0x0
	v_xor_b32_e32 v17, v15, v16
	v_cls_i32_e32 v18, v16
	s_delay_alu instid0(VALU_DEP_2) | instskip(NEXT) | instid1(VALU_DEP_2)
	v_ashrrev_i32_e32 v17, 31, v17
	v_add_nc_u32_e32 v18, -1, v18
	s_delay_alu instid0(VALU_DEP_2) | instskip(NEXT) | instid1(VALU_DEP_1)
	v_add_nc_u32_e32 v17, 32, v17
	v_min_u32_e32 v17, v18, v17
	s_delay_alu instid0(VALU_DEP_1) | instskip(NEXT) | instid1(VALU_DEP_1)
	v_lshlrev_b64_e32 v[15:16], v17, v[15:16]
	v_min_u32_e32 v15, 1, v15
	s_delay_alu instid0(VALU_DEP_1) | instskip(SKIP_1) | instid1(VALU_DEP_2)
	v_or_b32_e32 v15, v16, v15
	v_sub_nc_u32_e32 v16, 32, v17
	v_cvt_f32_i32_e32 v15, v15
	s_delay_alu instid0(VALU_DEP_1) | instskip(NEXT) | instid1(VALU_DEP_1)
	v_ldexp_f32 v15, v15, v16
	v_div_scale_f32 v16, null, v15, v15, 1.0
	s_delay_alu instid0(VALU_DEP_1) | instskip(NEXT) | instid1(TRANS32_DEP_1)
	v_rcp_f32_e32 v17, v16
	v_fma_f32 v18, -v16, v17, 1.0
	s_delay_alu instid0(VALU_DEP_1) | instskip(SKIP_1) | instid1(VALU_DEP_1)
	v_fmac_f32_e32 v17, v18, v17
	v_div_scale_f32 v18, vcc_lo, 1.0, v15, 1.0
	v_mul_f32_e32 v19, v18, v17
	s_delay_alu instid0(VALU_DEP_1) | instskip(NEXT) | instid1(VALU_DEP_1)
	v_fma_f32 v20, -v16, v19, v18
	v_fmac_f32_e32 v19, v20, v17
	s_delay_alu instid0(VALU_DEP_1) | instskip(SKIP_1) | instid1(VALU_DEP_1)
	v_fma_f32 v16, -v16, v19, v18
	s_wait_alu 0xfffd
	v_div_fmas_f32 v16, v16, v17, v19
	s_delay_alu instid0(VALU_DEP_1)
	v_div_fixup_f32 v15, v16, v15, 1.0
.LBB106_10:                             ;   in Loop: Header=BB106_11 Depth=1
	s_wait_loadcnt 0x0
	v_mul_lo_u32 v16, v12, s12
	v_mul_lo_u32 v17, v11, s13
	v_mad_co_u64_u32 v[11:12], null, v11, s12, 0
	v_add_co_u32 v9, s0, v9, 8
	s_wait_alu 0xf1ff
	v_add_co_ci_u32_e64 v10, null, 0, v10, s0
	s_delay_alu instid0(VALU_DEP_3) | instskip(NEXT) | instid1(VALU_DEP_1)
	v_add3_u32 v12, v12, v17, v16
	v_lshlrev_b64_e32 v[11:12], 2, v[11:12]
	s_delay_alu instid0(VALU_DEP_1) | instskip(SKIP_1) | instid1(VALU_DEP_2)
	v_add_co_u32 v11, vcc_lo, v13, v11
	s_wait_alu 0xfffd
	v_add_co_ci_u32_e64 v12, null, v14, v12, vcc_lo
	v_add_co_u32 v7, vcc_lo, v7, 8
	s_wait_alu 0xfffd
	v_add_co_ci_u32_e64 v8, null, 0, v8, vcc_lo
	global_load_b32 v11, v[11:12], off
	s_wait_loadcnt 0x0
	v_dual_fmac_f32 v3, v15, v11 :: v_dual_add_nc_u32 v2, 1, v2
	s_delay_alu instid0(VALU_DEP_1)
	v_cmp_ge_i32_e32 vcc_lo, v2, v6
	s_or_b32 s3, vcc_lo, s3
	s_wait_alu 0xfffe
	s_and_not1_b32 exec_lo, exec_lo, s3
	s_cbranch_execz .LBB106_13
.LBB106_11:                             ; =>This Inner Loop Header: Depth=1
	global_load_b64 v[11:12], v[7:8], off
	s_wait_alu 0xfffe
	s_and_not1_b32 vcc_lo, exec_lo, s2
	s_wait_alu 0xfffe
	s_cbranch_vccz .LBB106_9
; %bb.12:                               ;   in Loop: Header=BB106_11 Depth=1
	v_mov_b32_e32 v15, 1.0
	s_branch .LBB106_10
.LBB106_13:
	s_or_b32 exec_lo, exec_lo, s3
.LBB106_14:
	s_wait_alu 0xfffe
	s_or_b32 exec_lo, exec_lo, s1
	v_mul_lo_u32 v2, v1, s12
	v_mul_lo_u32 v6, v0, s13
	v_mad_co_u64_u32 v[0:1], null, v0, s12, 0
	s_delay_alu instid0(VALU_DEP_1) | instskip(NEXT) | instid1(VALU_DEP_1)
	v_add3_u32 v1, v1, v6, v2
	v_lshlrev_b64_e32 v[0:1], 2, v[0:1]
	s_delay_alu instid0(VALU_DEP_1) | instskip(SKIP_1) | instid1(VALU_DEP_2)
	v_add_co_u32 v0, vcc_lo, s18, v0
	s_wait_alu 0xfffd
	v_add_co_ci_u32_e64 v1, null, s19, v1, vcc_lo
	s_delay_alu instid0(VALU_DEP_2) | instskip(SKIP_1) | instid1(VALU_DEP_2)
	v_add_co_u32 v0, vcc_lo, v0, v4
	s_wait_alu 0xfffd
	v_add_co_ci_u32_e64 v1, null, v1, v5, vcc_lo
	global_store_b32 v[0:1], v3, off
.LBB106_15:
	s_endpgm
	.section	.rodata,"a",@progbits
	.p2align	6, 0x0
	.amdhsa_kernel _ZN2at6native12_GLOBAL__N_119compute_grad_weightIflEEvPKT0_PKT_S5_llS5_PKlPNS_14AccumulateTypeIS6_Lb1EE4typeEl
		.amdhsa_group_segment_fixed_size 0
		.amdhsa_private_segment_fixed_size 0
		.amdhsa_kernarg_size 328
		.amdhsa_user_sgpr_count 2
		.amdhsa_user_sgpr_dispatch_ptr 0
		.amdhsa_user_sgpr_queue_ptr 0
		.amdhsa_user_sgpr_kernarg_segment_ptr 1
		.amdhsa_user_sgpr_dispatch_id 0
		.amdhsa_user_sgpr_private_segment_size 0
		.amdhsa_wavefront_size32 1
		.amdhsa_uses_dynamic_stack 0
		.amdhsa_enable_private_segment 0
		.amdhsa_system_sgpr_workgroup_id_x 1
		.amdhsa_system_sgpr_workgroup_id_y 0
		.amdhsa_system_sgpr_workgroup_id_z 0
		.amdhsa_system_sgpr_workgroup_info 0
		.amdhsa_system_vgpr_workitem_id 0
		.amdhsa_next_free_vgpr 21
		.amdhsa_next_free_sgpr 36
		.amdhsa_reserve_vcc 1
		.amdhsa_float_round_mode_32 0
		.amdhsa_float_round_mode_16_64 0
		.amdhsa_float_denorm_mode_32 3
		.amdhsa_float_denorm_mode_16_64 3
		.amdhsa_fp16_overflow 0
		.amdhsa_workgroup_processor_mode 1
		.amdhsa_memory_ordered 1
		.amdhsa_forward_progress 1
		.amdhsa_inst_pref_size 14
		.amdhsa_round_robin_scheduling 0
		.amdhsa_exception_fp_ieee_invalid_op 0
		.amdhsa_exception_fp_denorm_src 0
		.amdhsa_exception_fp_ieee_div_zero 0
		.amdhsa_exception_fp_ieee_overflow 0
		.amdhsa_exception_fp_ieee_underflow 0
		.amdhsa_exception_fp_ieee_inexact 0
		.amdhsa_exception_int_div_zero 0
	.end_amdhsa_kernel
	.section	.text._ZN2at6native12_GLOBAL__N_119compute_grad_weightIflEEvPKT0_PKT_S5_llS5_PKlPNS_14AccumulateTypeIS6_Lb1EE4typeEl,"axG",@progbits,_ZN2at6native12_GLOBAL__N_119compute_grad_weightIflEEvPKT0_PKT_S5_llS5_PKlPNS_14AccumulateTypeIS6_Lb1EE4typeEl,comdat
.Lfunc_end106:
	.size	_ZN2at6native12_GLOBAL__N_119compute_grad_weightIflEEvPKT0_PKT_S5_llS5_PKlPNS_14AccumulateTypeIS6_Lb1EE4typeEl, .Lfunc_end106-_ZN2at6native12_GLOBAL__N_119compute_grad_weightIflEEvPKT0_PKT_S5_llS5_PKlPNS_14AccumulateTypeIS6_Lb1EE4typeEl
                                        ; -- End function
	.set _ZN2at6native12_GLOBAL__N_119compute_grad_weightIflEEvPKT0_PKT_S5_llS5_PKlPNS_14AccumulateTypeIS6_Lb1EE4typeEl.num_vgpr, 21
	.set _ZN2at6native12_GLOBAL__N_119compute_grad_weightIflEEvPKT0_PKT_S5_llS5_PKlPNS_14AccumulateTypeIS6_Lb1EE4typeEl.num_agpr, 0
	.set _ZN2at6native12_GLOBAL__N_119compute_grad_weightIflEEvPKT0_PKT_S5_llS5_PKlPNS_14AccumulateTypeIS6_Lb1EE4typeEl.numbered_sgpr, 36
	.set _ZN2at6native12_GLOBAL__N_119compute_grad_weightIflEEvPKT0_PKT_S5_llS5_PKlPNS_14AccumulateTypeIS6_Lb1EE4typeEl.num_named_barrier, 0
	.set _ZN2at6native12_GLOBAL__N_119compute_grad_weightIflEEvPKT0_PKT_S5_llS5_PKlPNS_14AccumulateTypeIS6_Lb1EE4typeEl.private_seg_size, 0
	.set _ZN2at6native12_GLOBAL__N_119compute_grad_weightIflEEvPKT0_PKT_S5_llS5_PKlPNS_14AccumulateTypeIS6_Lb1EE4typeEl.uses_vcc, 1
	.set _ZN2at6native12_GLOBAL__N_119compute_grad_weightIflEEvPKT0_PKT_S5_llS5_PKlPNS_14AccumulateTypeIS6_Lb1EE4typeEl.uses_flat_scratch, 0
	.set _ZN2at6native12_GLOBAL__N_119compute_grad_weightIflEEvPKT0_PKT_S5_llS5_PKlPNS_14AccumulateTypeIS6_Lb1EE4typeEl.has_dyn_sized_stack, 0
	.set _ZN2at6native12_GLOBAL__N_119compute_grad_weightIflEEvPKT0_PKT_S5_llS5_PKlPNS_14AccumulateTypeIS6_Lb1EE4typeEl.has_recursion, 0
	.set _ZN2at6native12_GLOBAL__N_119compute_grad_weightIflEEvPKT0_PKT_S5_llS5_PKlPNS_14AccumulateTypeIS6_Lb1EE4typeEl.has_indirect_call, 0
	.section	.AMDGPU.csdata,"",@progbits
; Kernel info:
; codeLenInByte = 1792
; TotalNumSgprs: 38
; NumVgprs: 21
; ScratchSize: 0
; MemoryBound: 0
; FloatMode: 240
; IeeeMode: 1
; LDSByteSize: 0 bytes/workgroup (compile time only)
; SGPRBlocks: 0
; VGPRBlocks: 2
; NumSGPRsForWavesPerEU: 38
; NumVGPRsForWavesPerEU: 21
; Occupancy: 16
; WaveLimiterHint : 1
; COMPUTE_PGM_RSRC2:SCRATCH_EN: 0
; COMPUTE_PGM_RSRC2:USER_SGPR: 2
; COMPUTE_PGM_RSRC2:TRAP_HANDLER: 0
; COMPUTE_PGM_RSRC2:TGID_X_EN: 1
; COMPUTE_PGM_RSRC2:TGID_Y_EN: 0
; COMPUTE_PGM_RSRC2:TGID_Z_EN: 0
; COMPUTE_PGM_RSRC2:TIDIG_COMP_CNT: 0
	.section	.text._ZN2at6native12_GLOBAL__N_115sum_and_scatterIflEEvPKT0_PT_lS5_PKlPKNS_14AccumulateTypeIS6_Lb1EE4typeES5_S9_ll,"axG",@progbits,_ZN2at6native12_GLOBAL__N_115sum_and_scatterIflEEvPKT0_PT_lS5_PKlPKNS_14AccumulateTypeIS6_Lb1EE4typeES5_S9_ll,comdat
	.globl	_ZN2at6native12_GLOBAL__N_115sum_and_scatterIflEEvPKT0_PT_lS5_PKlPKNS_14AccumulateTypeIS6_Lb1EE4typeES5_S9_ll ; -- Begin function _ZN2at6native12_GLOBAL__N_115sum_and_scatterIflEEvPKT0_PT_lS5_PKlPKNS_14AccumulateTypeIS6_Lb1EE4typeES5_S9_ll
	.p2align	8
	.type	_ZN2at6native12_GLOBAL__N_115sum_and_scatterIflEEvPKT0_PT_lS5_PKlPKNS_14AccumulateTypeIS6_Lb1EE4typeES5_S9_ll,@function
_ZN2at6native12_GLOBAL__N_115sum_and_scatterIflEEvPKT0_PT_lS5_PKlPKNS_14AccumulateTypeIS6_Lb1EE4typeES5_S9_ll: ; @_ZN2at6native12_GLOBAL__N_115sum_and_scatterIflEEvPKT0_PT_lS5_PKlPKNS_14AccumulateTypeIS6_Lb1EE4typeES5_S9_ll
; %bb.0:
	s_clause 0x2
	s_load_b32 s2, s[0:1], 0x5c
	s_load_b128 s[20:23], s[0:1], 0x40
	s_load_b512 s[4:19], s[0:1], 0x0
	v_mov_b32_e32 v1, 0
                                        ; implicit-def: $vgpr6_vgpr7
	s_delay_alu instid0(VALU_DEP_1) | instskip(SKIP_2) | instid1(SALU_CYCLE_1)
	v_mov_b32_e32 v4, v1
	s_wait_kmcnt 0x0
	s_and_b32 s0, s2, 0xffff
	v_mad_co_u64_u32 v[2:3], null, s0, ttmp9, v[0:1]
	s_mov_b32 s0, exec_lo
	v_or_b32_e32 v5, s23, v3
	s_delay_alu instid0(VALU_DEP_1)
	v_cmpx_ne_u64_e32 0, v[4:5]
	s_wait_alu 0xfffe
	s_xor_b32 s1, exec_lo, s0
	s_cbranch_execz .LBB107_2
; %bb.1:
	s_ashr_i32 s2, s23, 31
	s_mov_b32 s35, 0
	s_mov_b32 s3, s2
	v_ashrrev_i32_e32 v8, 31, v3
	s_add_nc_u64 s[24:25], s[22:23], s[2:3]
	s_delay_alu instid0(SALU_CYCLE_1) | instskip(NEXT) | instid1(VALU_DEP_1)
	s_xor_b64 s[24:25], s[24:25], s[2:3]
	v_add_co_u32 v0, vcc_lo, v2, v8
	s_cvt_f32_u32 s0, s24
	s_cvt_f32_u32 s3, s25
	s_sub_nc_u64 s[28:29], 0, s[24:25]
	v_add_co_ci_u32_e64 v1, null, v3, v8, vcc_lo
	s_wait_alu 0xfffe
	s_fmamk_f32 s0, s3, 0x4f800000, s0
	v_xor_b32_e32 v9, v0, v8
	s_delay_alu instid0(VALU_DEP_2) | instskip(SKIP_2) | instid1(TRANS32_DEP_1)
	v_xor_b32_e32 v10, v1, v8
	s_wait_alu 0xfffe
	v_s_rcp_f32 s0, s0
	s_mul_f32 s0, s0, 0x5f7ffffc
	s_wait_alu 0xfffe
	s_delay_alu instid0(SALU_CYCLE_2) | instskip(NEXT) | instid1(SALU_CYCLE_3)
	s_mul_f32 s3, s0, 0x2f800000
	s_trunc_f32 s3, s3
	s_delay_alu instid0(SALU_CYCLE_3) | instskip(SKIP_2) | instid1(SALU_CYCLE_1)
	s_fmamk_f32 s0, s3, 0xcf800000, s0
	s_cvt_u32_f32 s27, s3
	s_wait_alu 0xfffe
	s_cvt_u32_f32 s26, s0
	s_delay_alu instid0(SALU_CYCLE_3) | instskip(NEXT) | instid1(SALU_CYCLE_1)
	s_mul_u64 s[30:31], s[28:29], s[26:27]
	s_mul_hi_u32 s37, s26, s31
	s_mul_i32 s36, s26, s31
	s_mul_hi_u32 s34, s26, s30
	s_mul_i32 s3, s27, s30
	s_add_nc_u64 s[36:37], s[34:35], s[36:37]
	s_mul_hi_u32 s0, s27, s30
	s_mul_hi_u32 s33, s27, s31
	s_add_co_u32 s3, s36, s3
	s_wait_alu 0xfffe
	s_add_co_ci_u32 s34, s37, s0
	s_mul_i32 s30, s27, s31
	s_add_co_ci_u32 s31, s33, 0
	s_delay_alu instid0(SALU_CYCLE_1) | instskip(NEXT) | instid1(SALU_CYCLE_1)
	s_add_nc_u64 s[30:31], s[34:35], s[30:31]
	s_add_co_u32 s26, s26, s30
	s_cselect_b32 s0, -1, 0
	s_wait_alu 0xfffe
	s_cmp_lg_u32 s0, 0
	s_add_co_ci_u32 s27, s27, s31
	s_delay_alu instid0(SALU_CYCLE_1) | instskip(NEXT) | instid1(SALU_CYCLE_1)
	s_mul_u64 s[28:29], s[28:29], s[26:27]
	s_mul_hi_u32 s31, s26, s29
	s_mul_i32 s30, s26, s29
	s_mul_hi_u32 s34, s26, s28
	s_mul_i32 s3, s27, s28
	s_add_nc_u64 s[30:31], s[34:35], s[30:31]
	s_mul_hi_u32 s0, s27, s28
	s_mul_hi_u32 s33, s27, s29
	s_add_co_u32 s3, s30, s3
	s_wait_alu 0xfffe
	s_add_co_ci_u32 s34, s31, s0
	s_mul_i32 s28, s27, s29
	s_add_co_ci_u32 s29, s33, 0
	s_delay_alu instid0(SALU_CYCLE_1) | instskip(NEXT) | instid1(SALU_CYCLE_1)
	s_add_nc_u64 s[28:29], s[34:35], s[28:29]
	s_add_co_u32 s0, s26, s28
	s_cselect_b32 s3, -1, 0
	s_wait_alu 0xfffe
	v_mul_hi_u32 v11, v9, s0
	s_cmp_lg_u32 s3, 0
	v_mad_co_u64_u32 v[4:5], null, v10, s0, 0
	s_add_co_ci_u32 s3, s27, s29
	s_delay_alu instid0(SALU_CYCLE_1) | instskip(SKIP_1) | instid1(VALU_DEP_2)
	v_mad_co_u64_u32 v[0:1], null, v9, s3, 0
	v_mad_co_u64_u32 v[6:7], null, v10, s3, 0
	v_add_co_u32 v0, vcc_lo, v11, v0
	s_wait_alu 0xfffd
	s_delay_alu instid0(VALU_DEP_3) | instskip(NEXT) | instid1(VALU_DEP_2)
	v_add_co_ci_u32_e64 v1, null, 0, v1, vcc_lo
	v_add_co_u32 v0, vcc_lo, v0, v4
	s_wait_alu 0xfffd
	s_delay_alu instid0(VALU_DEP_2) | instskip(SKIP_2) | instid1(VALU_DEP_2)
	v_add_co_ci_u32_e32 v0, vcc_lo, v1, v5, vcc_lo
	s_wait_alu 0xfffd
	v_add_co_ci_u32_e32 v1, vcc_lo, 0, v7, vcc_lo
	v_add_co_u32 v4, vcc_lo, v0, v6
	s_wait_alu 0xfffd
	s_delay_alu instid0(VALU_DEP_2) | instskip(NEXT) | instid1(VALU_DEP_2)
	v_add_co_ci_u32_e64 v5, null, 0, v1, vcc_lo
	v_mul_lo_u32 v6, s25, v4
	v_mad_co_u64_u32 v[0:1], null, s24, v4, 0
	s_delay_alu instid0(VALU_DEP_3) | instskip(NEXT) | instid1(VALU_DEP_2)
	v_mul_lo_u32 v7, s24, v5
	v_sub_co_u32 v0, vcc_lo, v9, v0
	s_delay_alu instid0(VALU_DEP_2) | instskip(SKIP_3) | instid1(VALU_DEP_3)
	v_add3_u32 v1, v1, v7, v6
	v_add_co_u32 v7, s0, v4, 2
	s_wait_alu 0xf1ff
	v_add_co_ci_u32_e64 v9, null, 0, v5, s0
	v_sub_nc_u32_e32 v6, v10, v1
	v_sub_co_u32 v11, s0, v0, s24
	s_wait_alu 0xfffd
	v_sub_co_ci_u32_e64 v1, null, v10, v1, vcc_lo
	s_delay_alu instid0(VALU_DEP_3) | instskip(NEXT) | instid1(VALU_DEP_3)
	v_subrev_co_ci_u32_e64 v6, null, s25, v6, vcc_lo
	v_cmp_le_u32_e32 vcc_lo, s24, v11
	s_wait_alu 0xf1ff
	s_delay_alu instid0(VALU_DEP_2) | instskip(SKIP_2) | instid1(VALU_DEP_2)
	v_subrev_co_ci_u32_e64 v6, null, 0, v6, s0
	s_wait_alu 0xfffd
	v_cndmask_b32_e64 v10, 0, -1, vcc_lo
	v_cmp_le_u32_e32 vcc_lo, s25, v6
	s_wait_alu 0xfffd
	v_cndmask_b32_e64 v11, 0, -1, vcc_lo
	v_cmp_le_u32_e32 vcc_lo, s24, v0
	;; [unrolled: 3-line block ×3, first 2 shown]
	s_wait_alu 0xfffd
	v_cndmask_b32_e64 v12, 0, -1, vcc_lo
	v_cmp_eq_u32_e32 vcc_lo, s25, v6
	s_wait_alu 0xfffd
	v_cndmask_b32_e32 v6, v11, v10, vcc_lo
	v_add_co_u32 v10, vcc_lo, v4, 1
	s_wait_alu 0xfffd
	v_add_co_ci_u32_e64 v11, null, 0, v5, vcc_lo
	v_cmp_eq_u32_e32 vcc_lo, s25, v1
	s_wait_alu 0xfffd
	v_cndmask_b32_e32 v0, v12, v0, vcc_lo
	v_cmp_ne_u32_e32 vcc_lo, 0, v6
	s_wait_alu 0xfffd
	v_cndmask_b32_e32 v1, v11, v9, vcc_lo
	s_delay_alu instid0(VALU_DEP_3) | instskip(SKIP_3) | instid1(VALU_DEP_3)
	v_cmp_ne_u32_e64 s0, 0, v0
	v_cndmask_b32_e32 v0, v10, v7, vcc_lo
	v_xor_b32_e32 v7, s2, v8
	s_wait_alu 0xf1ff
	v_cndmask_b32_e64 v1, v5, v1, s0
	s_delay_alu instid0(VALU_DEP_3) | instskip(NEXT) | instid1(VALU_DEP_2)
	v_cndmask_b32_e64 v0, v4, v0, s0
	v_xor_b32_e32 v1, v1, v7
	s_delay_alu instid0(VALU_DEP_2) | instskip(NEXT) | instid1(VALU_DEP_1)
	v_xor_b32_e32 v0, v0, v7
	v_sub_co_u32 v6, vcc_lo, v0, v7
	s_wait_alu 0xfffd
	s_delay_alu instid0(VALU_DEP_3)
	v_sub_co_ci_u32_e64 v7, null, v1, v7, vcc_lo
.LBB107_2:
	s_wait_alu 0xfffe
	s_or_saveexec_b32 s0, s1
	s_load_b64 s[2:3], s[12:13], 0x0
	s_xor_b32 exec_lo, exec_lo, s0
	s_cbranch_execz .LBB107_4
; %bb.3:
	v_cvt_f32_u32_e32 v0, s22
	s_sub_co_i32 s1, 0, s22
	v_mov_b32_e32 v7, 0
	s_delay_alu instid0(VALU_DEP_2) | instskip(NEXT) | instid1(TRANS32_DEP_1)
	v_rcp_iflag_f32_e32 v0, v0
	v_mul_f32_e32 v0, 0x4f7ffffe, v0
	s_delay_alu instid0(VALU_DEP_1) | instskip(SKIP_1) | instid1(VALU_DEP_1)
	v_cvt_u32_f32_e32 v0, v0
	s_wait_alu 0xfffe
	v_mul_lo_u32 v1, s1, v0
	s_delay_alu instid0(VALU_DEP_1) | instskip(NEXT) | instid1(VALU_DEP_1)
	v_mul_hi_u32 v1, v0, v1
	v_add_nc_u32_e32 v0, v0, v1
	s_delay_alu instid0(VALU_DEP_1) | instskip(NEXT) | instid1(VALU_DEP_1)
	v_mul_hi_u32 v0, v2, v0
	v_mul_lo_u32 v1, v0, s22
	v_add_nc_u32_e32 v4, 1, v0
	s_delay_alu instid0(VALU_DEP_2) | instskip(NEXT) | instid1(VALU_DEP_1)
	v_sub_nc_u32_e32 v1, v2, v1
	v_subrev_nc_u32_e32 v5, s22, v1
	v_cmp_le_u32_e32 vcc_lo, s22, v1
	s_wait_alu 0xfffd
	s_delay_alu instid0(VALU_DEP_2) | instskip(NEXT) | instid1(VALU_DEP_1)
	v_dual_cndmask_b32 v1, v1, v5 :: v_dual_cndmask_b32 v0, v0, v4
	v_cmp_le_u32_e32 vcc_lo, s22, v1
	s_delay_alu instid0(VALU_DEP_2) | instskip(SKIP_1) | instid1(VALU_DEP_1)
	v_add_nc_u32_e32 v4, 1, v0
	s_wait_alu 0xfffd
	v_cndmask_b32_e32 v6, v0, v4, vcc_lo
.LBB107_4:
	s_or_b32 exec_lo, exec_lo, s0
	v_mul_lo_u32 v0, v7, s22
	s_delay_alu instid0(VALU_DEP_2) | instskip(SKIP_3) | instid1(VALU_DEP_2)
	v_mul_lo_u32 v1, v6, s23
	v_mad_co_u64_u32 v[8:9], null, v6, s22, 0
	s_wait_kmcnt 0x0
	v_cmp_gt_i64_e64 s0, s[2:3], v[6:7]
	v_add3_u32 v9, v9, v1, v0
	s_delay_alu instid0(VALU_DEP_3) | instskip(SKIP_1) | instid1(VALU_DEP_2)
	v_sub_co_u32 v0, vcc_lo, v2, v8
	s_wait_alu 0xfffd
	v_sub_co_ci_u32_e64 v1, null, v3, v9, vcc_lo
	s_delay_alu instid0(VALU_DEP_1)
	v_cmp_gt_i64_e32 vcc_lo, s[8:9], v[0:1]
	s_and_b32 s0, vcc_lo, s0
	s_wait_alu 0xfffe
	s_and_saveexec_b32 s1, s0
	s_cbranch_execz .LBB107_11
; %bb.5:
	v_lshlrev_b64_e32 v[4:5], 3, v[6:7]
	s_add_nc_u64 s[0:1], s[2:3], -1
	s_delay_alu instid0(VALU_DEP_1) | instskip(SKIP_1) | instid1(VALU_DEP_2)
	v_add_co_u32 v10, vcc_lo, s16, v4
	s_wait_alu 0xfffd
	v_add_co_ci_u32_e64 v11, null, s17, v5, vcc_lo
	s_delay_alu instid0(VALU_DEP_2) | instskip(SKIP_1) | instid1(VALU_DEP_2)
	v_add_co_u32 v12, vcc_lo, v10, 8
	s_wait_alu 0xfffd
	v_add_co_ci_u32_e64 v13, null, 0, v11, vcc_lo
	s_wait_alu 0xfffe
	v_cmp_eq_u64_e32 vcc_lo, s[0:1], v[6:7]
	v_mov_b32_e32 v6, 0
	s_mov_b32 s1, exec_lo
	s_wait_alu 0xfffd
	v_cndmask_b32_e64 v13, v13, s19, vcc_lo
	v_cndmask_b32_e64 v12, v12, s18, vcc_lo
	global_load_b32 v7, v[10:11], off
	global_load_b32 v10, v[12:13], off
	s_wait_loadcnt 0x0
	v_cmpx_lt_i32_e64 v7, v10
	s_cbranch_execz .LBB107_9
; %bb.6:
	v_ashrrev_i32_e32 v6, 31, v7
	v_mul_lo_u32 v13, s9, v7
	v_mad_co_u64_u32 v[11:12], null, s8, v7, 0
	v_lshlrev_b64_e32 v[2:3], 2, v[2:3]
	s_delay_alu instid0(VALU_DEP_4) | instskip(SKIP_3) | instid1(VALU_DEP_2)
	v_mul_lo_u32 v6, s8, v6
	v_lshlrev_b64_e32 v[8:9], 2, v[8:9]
	s_lshl_b64 s[2:3], s[8:9], 2
	s_mov_b32 s12, 0
	v_add3_u32 v12, v12, v6, v13
	v_mov_b32_e32 v6, 0
	s_delay_alu instid0(VALU_DEP_2) | instskip(NEXT) | instid1(VALU_DEP_1)
	v_lshlrev_b64_e32 v[11:12], 2, v[11:12]
	v_add_co_u32 v2, vcc_lo, v11, v2
	s_wait_alu 0xfffd
	s_delay_alu instid0(VALU_DEP_2) | instskip(NEXT) | instid1(VALU_DEP_2)
	v_add_co_ci_u32_e64 v3, null, v12, v3, vcc_lo
	v_sub_co_u32 v2, vcc_lo, v2, v8
	s_wait_alu 0xfffd
	s_delay_alu instid0(VALU_DEP_2) | instskip(NEXT) | instid1(VALU_DEP_2)
	v_sub_co_ci_u32_e64 v3, null, v3, v9, vcc_lo
	v_add_co_u32 v2, vcc_lo, s14, v2
	s_wait_alu 0xfffd
	s_delay_alu instid0(VALU_DEP_2)
	v_add_co_ci_u32_e64 v3, null, s15, v3, vcc_lo
.LBB107_7:                              ; =>This Inner Loop Header: Depth=1
	global_load_b32 v8, v[2:3], off
	v_add_nc_u32_e32 v7, 1, v7
	s_wait_alu 0xfffe
	v_add_co_u32 v2, vcc_lo, v2, s2
	s_wait_alu 0xfffd
	v_add_co_ci_u32_e64 v3, null, s3, v3, vcc_lo
	s_wait_loadcnt 0x0
	v_add_f32_e32 v6, v6, v8
	v_cmp_ge_i32_e64 s0, v7, v10
	s_or_b32 s12, s0, s12
	s_delay_alu instid0(SALU_CYCLE_1)
	s_and_not1_b32 exec_lo, exec_lo, s12
	s_cbranch_execnz .LBB107_7
; %bb.8:
	s_or_b32 exec_lo, exec_lo, s12
.LBB107_9:
	s_wait_alu 0xfffe
	s_or_b32 exec_lo, exec_lo, s1
	v_add_co_u32 v2, vcc_lo, s10, v4
	s_wait_alu 0xfffd
	v_add_co_ci_u32_e64 v3, null, s11, v5, vcc_lo
	global_load_b64 v[2:3], v[2:3], off
	s_wait_loadcnt 0x0
	v_lshlrev_b64_e32 v[2:3], 3, v[2:3]
	s_delay_alu instid0(VALU_DEP_1) | instskip(SKIP_1) | instid1(VALU_DEP_2)
	v_add_co_u32 v2, vcc_lo, s4, v2
	s_wait_alu 0xfffd
	v_add_co_ci_u32_e64 v3, null, s5, v3, vcc_lo
	global_load_b64 v[2:3], v[2:3], off
	s_wait_loadcnt 0x0
	v_cmp_ne_u64_e32 vcc_lo, s[20:21], v[2:3]
	s_and_b32 exec_lo, exec_lo, vcc_lo
	s_cbranch_execz .LBB107_11
; %bb.10:
	v_mul_lo_u32 v4, v3, s8
	v_mul_lo_u32 v5, v2, s9
	v_mad_co_u64_u32 v[2:3], null, v2, s8, 0
	v_lshlrev_b64_e32 v[0:1], 2, v[0:1]
	s_delay_alu instid0(VALU_DEP_2) | instskip(NEXT) | instid1(VALU_DEP_1)
	v_add3_u32 v3, v3, v5, v4
	v_lshlrev_b64_e32 v[2:3], 2, v[2:3]
	s_delay_alu instid0(VALU_DEP_1) | instskip(SKIP_1) | instid1(VALU_DEP_2)
	v_add_co_u32 v2, vcc_lo, s6, v2
	s_wait_alu 0xfffd
	v_add_co_ci_u32_e64 v3, null, s7, v3, vcc_lo
	s_delay_alu instid0(VALU_DEP_2) | instskip(SKIP_1) | instid1(VALU_DEP_2)
	v_add_co_u32 v0, vcc_lo, v2, v0
	s_wait_alu 0xfffd
	v_add_co_ci_u32_e64 v1, null, v3, v1, vcc_lo
	global_store_b32 v[0:1], v6, off
.LBB107_11:
	s_endpgm
	.section	.rodata,"a",@progbits
	.p2align	6, 0x0
	.amdhsa_kernel _ZN2at6native12_GLOBAL__N_115sum_and_scatterIflEEvPKT0_PT_lS5_PKlPKNS_14AccumulateTypeIS6_Lb1EE4typeES5_S9_ll
		.amdhsa_group_segment_fixed_size 0
		.amdhsa_private_segment_fixed_size 0
		.amdhsa_kernarg_size 336
		.amdhsa_user_sgpr_count 2
		.amdhsa_user_sgpr_dispatch_ptr 0
		.amdhsa_user_sgpr_queue_ptr 0
		.amdhsa_user_sgpr_kernarg_segment_ptr 1
		.amdhsa_user_sgpr_dispatch_id 0
		.amdhsa_user_sgpr_private_segment_size 0
		.amdhsa_wavefront_size32 1
		.amdhsa_uses_dynamic_stack 0
		.amdhsa_enable_private_segment 0
		.amdhsa_system_sgpr_workgroup_id_x 1
		.amdhsa_system_sgpr_workgroup_id_y 0
		.amdhsa_system_sgpr_workgroup_id_z 0
		.amdhsa_system_sgpr_workgroup_info 0
		.amdhsa_system_vgpr_workitem_id 0
		.amdhsa_next_free_vgpr 14
		.amdhsa_next_free_sgpr 38
		.amdhsa_reserve_vcc 1
		.amdhsa_float_round_mode_32 0
		.amdhsa_float_round_mode_16_64 0
		.amdhsa_float_denorm_mode_32 3
		.amdhsa_float_denorm_mode_16_64 3
		.amdhsa_fp16_overflow 0
		.amdhsa_workgroup_processor_mode 1
		.amdhsa_memory_ordered 1
		.amdhsa_forward_progress 1
		.amdhsa_inst_pref_size 13
		.amdhsa_round_robin_scheduling 0
		.amdhsa_exception_fp_ieee_invalid_op 0
		.amdhsa_exception_fp_denorm_src 0
		.amdhsa_exception_fp_ieee_div_zero 0
		.amdhsa_exception_fp_ieee_overflow 0
		.amdhsa_exception_fp_ieee_underflow 0
		.amdhsa_exception_fp_ieee_inexact 0
		.amdhsa_exception_int_div_zero 0
	.end_amdhsa_kernel
	.section	.text._ZN2at6native12_GLOBAL__N_115sum_and_scatterIflEEvPKT0_PT_lS5_PKlPKNS_14AccumulateTypeIS6_Lb1EE4typeES5_S9_ll,"axG",@progbits,_ZN2at6native12_GLOBAL__N_115sum_and_scatterIflEEvPKT0_PT_lS5_PKlPKNS_14AccumulateTypeIS6_Lb1EE4typeES5_S9_ll,comdat
.Lfunc_end107:
	.size	_ZN2at6native12_GLOBAL__N_115sum_and_scatterIflEEvPKT0_PT_lS5_PKlPKNS_14AccumulateTypeIS6_Lb1EE4typeES5_S9_ll, .Lfunc_end107-_ZN2at6native12_GLOBAL__N_115sum_and_scatterIflEEvPKT0_PT_lS5_PKlPKNS_14AccumulateTypeIS6_Lb1EE4typeES5_S9_ll
                                        ; -- End function
	.set _ZN2at6native12_GLOBAL__N_115sum_and_scatterIflEEvPKT0_PT_lS5_PKlPKNS_14AccumulateTypeIS6_Lb1EE4typeES5_S9_ll.num_vgpr, 14
	.set _ZN2at6native12_GLOBAL__N_115sum_and_scatterIflEEvPKT0_PT_lS5_PKlPKNS_14AccumulateTypeIS6_Lb1EE4typeES5_S9_ll.num_agpr, 0
	.set _ZN2at6native12_GLOBAL__N_115sum_and_scatterIflEEvPKT0_PT_lS5_PKlPKNS_14AccumulateTypeIS6_Lb1EE4typeES5_S9_ll.numbered_sgpr, 38
	.set _ZN2at6native12_GLOBAL__N_115sum_and_scatterIflEEvPKT0_PT_lS5_PKlPKNS_14AccumulateTypeIS6_Lb1EE4typeES5_S9_ll.num_named_barrier, 0
	.set _ZN2at6native12_GLOBAL__N_115sum_and_scatterIflEEvPKT0_PT_lS5_PKlPKNS_14AccumulateTypeIS6_Lb1EE4typeES5_S9_ll.private_seg_size, 0
	.set _ZN2at6native12_GLOBAL__N_115sum_and_scatterIflEEvPKT0_PT_lS5_PKlPKNS_14AccumulateTypeIS6_Lb1EE4typeES5_S9_ll.uses_vcc, 1
	.set _ZN2at6native12_GLOBAL__N_115sum_and_scatterIflEEvPKT0_PT_lS5_PKlPKNS_14AccumulateTypeIS6_Lb1EE4typeES5_S9_ll.uses_flat_scratch, 0
	.set _ZN2at6native12_GLOBAL__N_115sum_and_scatterIflEEvPKT0_PT_lS5_PKlPKNS_14AccumulateTypeIS6_Lb1EE4typeES5_S9_ll.has_dyn_sized_stack, 0
	.set _ZN2at6native12_GLOBAL__N_115sum_and_scatterIflEEvPKT0_PT_lS5_PKlPKNS_14AccumulateTypeIS6_Lb1EE4typeES5_S9_ll.has_recursion, 0
	.set _ZN2at6native12_GLOBAL__N_115sum_and_scatterIflEEvPKT0_PT_lS5_PKlPKNS_14AccumulateTypeIS6_Lb1EE4typeES5_S9_ll.has_indirect_call, 0
	.section	.AMDGPU.csdata,"",@progbits
; Kernel info:
; codeLenInByte = 1652
; TotalNumSgprs: 40
; NumVgprs: 14
; ScratchSize: 0
; MemoryBound: 0
; FloatMode: 240
; IeeeMode: 1
; LDSByteSize: 0 bytes/workgroup (compile time only)
; SGPRBlocks: 0
; VGPRBlocks: 1
; NumSGPRsForWavesPerEU: 40
; NumVGPRsForWavesPerEU: 14
; Occupancy: 16
; WaveLimiterHint : 1
; COMPUTE_PGM_RSRC2:SCRATCH_EN: 0
; COMPUTE_PGM_RSRC2:USER_SGPR: 2
; COMPUTE_PGM_RSRC2:TRAP_HANDLER: 0
; COMPUTE_PGM_RSRC2:TGID_X_EN: 1
; COMPUTE_PGM_RSRC2:TGID_Y_EN: 0
; COMPUTE_PGM_RSRC2:TGID_Z_EN: 0
; COMPUTE_PGM_RSRC2:TIDIG_COMP_CNT: 0
	.section	.text._ZN2at6native12_GLOBAL__N_137compute_grad_weight_atomic_accumulateIN3c104HalfEflEEvPKT1_PKT_S7_llS7_PKlS7_S7_S7_PT0_ll,"axG",@progbits,_ZN2at6native12_GLOBAL__N_137compute_grad_weight_atomic_accumulateIN3c104HalfEflEEvPKT1_PKT_S7_llS7_PKlS7_S7_S7_PT0_ll,comdat
	.globl	_ZN2at6native12_GLOBAL__N_137compute_grad_weight_atomic_accumulateIN3c104HalfEflEEvPKT1_PKT_S7_llS7_PKlS7_S7_S7_PT0_ll ; -- Begin function _ZN2at6native12_GLOBAL__N_137compute_grad_weight_atomic_accumulateIN3c104HalfEflEEvPKT1_PKT_S7_llS7_PKlS7_S7_S7_PT0_ll
	.p2align	8
	.type	_ZN2at6native12_GLOBAL__N_137compute_grad_weight_atomic_accumulateIN3c104HalfEflEEvPKT1_PKT_S7_llS7_PKlS7_S7_S7_PT0_ll,@function
_ZN2at6native12_GLOBAL__N_137compute_grad_weight_atomic_accumulateIN3c104HalfEflEEvPKT1_PKT_S7_llS7_PKlS7_S7_S7_PT0_ll: ; @_ZN2at6native12_GLOBAL__N_137compute_grad_weight_atomic_accumulateIN3c104HalfEflEEvPKT1_PKT_S7_llS7_PKlS7_S7_S7_PT0_ll
; %bb.0:
	s_clause 0x1
	s_load_b32 s2, s[0:1], 0x74
	s_load_b64 s[20:21], s[0:1], 0x60
	v_mov_b32_e32 v2, 0
                                        ; implicit-def: $vgpr8_vgpr9
	s_wait_kmcnt 0x0
	s_and_b32 s2, s2, 0xffff
	s_delay_alu instid0(SALU_CYCLE_1) | instskip(SKIP_2) | instid1(VALU_DEP_1)
	v_mad_co_u64_u32 v[0:1], null, ttmp9, s2, v[0:1]
	s_mov_b32 s2, exec_lo
	v_ashrrev_i32_e32 v1, 31, v0
	v_or_b32_e32 v3, s21, v1
	s_delay_alu instid0(VALU_DEP_1)
	v_cmpx_ne_u64_e32 0, v[2:3]
	s_wait_alu 0xfffe
	s_xor_b32 s3, exec_lo, s2
	s_cbranch_execz .LBB108_2
; %bb.1:
	s_ashr_i32 s4, s21, 31
	s_mov_b32 s15, 0
	s_mov_b32 s5, s4
	v_ashrrev_i32_e32 v8, 31, v1
	s_add_nc_u64 s[6:7], s[20:21], s[4:5]
	s_delay_alu instid0(SALU_CYCLE_1) | instskip(NEXT) | instid1(VALU_DEP_1)
	s_xor_b64 s[6:7], s[6:7], s[4:5]
	v_add_co_u32 v2, vcc_lo, v0, v8
	s_cvt_f32_u32 s2, s6
	s_cvt_f32_u32 s5, s7
	s_sub_nc_u64 s[10:11], 0, s[6:7]
	v_add_co_ci_u32_e64 v3, null, v1, v8, vcc_lo
	s_wait_alu 0xfffe
	s_fmamk_f32 s2, s5, 0x4f800000, s2
	v_xor_b32_e32 v9, v2, v8
	s_delay_alu instid0(VALU_DEP_2) | instskip(SKIP_2) | instid1(TRANS32_DEP_1)
	v_xor_b32_e32 v10, v3, v8
	s_wait_alu 0xfffe
	v_s_rcp_f32 s2, s2
	s_mul_f32 s2, s2, 0x5f7ffffc
	s_wait_alu 0xfffe
	s_delay_alu instid0(SALU_CYCLE_2) | instskip(NEXT) | instid1(SALU_CYCLE_3)
	s_mul_f32 s5, s2, 0x2f800000
	s_trunc_f32 s5, s5
	s_delay_alu instid0(SALU_CYCLE_3) | instskip(SKIP_2) | instid1(SALU_CYCLE_1)
	s_fmamk_f32 s2, s5, 0xcf800000, s2
	s_cvt_u32_f32 s9, s5
	s_wait_alu 0xfffe
	s_cvt_u32_f32 s8, s2
	s_delay_alu instid0(SALU_CYCLE_3) | instskip(NEXT) | instid1(SALU_CYCLE_1)
	s_mul_u64 s[12:13], s[10:11], s[8:9]
	s_mul_hi_u32 s17, s8, s13
	s_mul_i32 s16, s8, s13
	s_mul_hi_u32 s14, s8, s12
	s_mul_i32 s5, s9, s12
	s_add_nc_u64 s[16:17], s[14:15], s[16:17]
	s_mul_hi_u32 s2, s9, s12
	s_mul_hi_u32 s18, s9, s13
	s_add_co_u32 s5, s16, s5
	s_wait_alu 0xfffe
	s_add_co_ci_u32 s14, s17, s2
	s_mul_i32 s12, s9, s13
	s_add_co_ci_u32 s13, s18, 0
	s_delay_alu instid0(SALU_CYCLE_1) | instskip(NEXT) | instid1(SALU_CYCLE_1)
	s_add_nc_u64 s[12:13], s[14:15], s[12:13]
	s_add_co_u32 s8, s8, s12
	s_cselect_b32 s2, -1, 0
	s_wait_alu 0xfffe
	s_cmp_lg_u32 s2, 0
	s_add_co_ci_u32 s9, s9, s13
	s_delay_alu instid0(SALU_CYCLE_1) | instskip(NEXT) | instid1(SALU_CYCLE_1)
	s_mul_u64 s[10:11], s[10:11], s[8:9]
	s_mul_hi_u32 s13, s8, s11
	s_mul_i32 s12, s8, s11
	s_mul_hi_u32 s14, s8, s10
	s_mul_i32 s5, s9, s10
	s_add_nc_u64 s[12:13], s[14:15], s[12:13]
	s_mul_hi_u32 s2, s9, s10
	s_mul_hi_u32 s16, s9, s11
	s_add_co_u32 s5, s12, s5
	s_wait_alu 0xfffe
	s_add_co_ci_u32 s14, s13, s2
	s_mul_i32 s10, s9, s11
	s_add_co_ci_u32 s11, s16, 0
	s_delay_alu instid0(SALU_CYCLE_1) | instskip(NEXT) | instid1(SALU_CYCLE_1)
	s_add_nc_u64 s[10:11], s[14:15], s[10:11]
	s_add_co_u32 s2, s8, s10
	s_cselect_b32 s5, -1, 0
	s_wait_alu 0xfffe
	v_mul_hi_u32 v11, v9, s2
	s_cmp_lg_u32 s5, 0
	v_mad_co_u64_u32 v[4:5], null, v10, s2, 0
	s_add_co_ci_u32 s5, s9, s11
	s_delay_alu instid0(SALU_CYCLE_1) | instskip(SKIP_1) | instid1(VALU_DEP_2)
	v_mad_co_u64_u32 v[2:3], null, v9, s5, 0
	v_mad_co_u64_u32 v[6:7], null, v10, s5, 0
	v_add_co_u32 v2, vcc_lo, v11, v2
	s_wait_alu 0xfffd
	s_delay_alu instid0(VALU_DEP_3) | instskip(NEXT) | instid1(VALU_DEP_2)
	v_add_co_ci_u32_e64 v3, null, 0, v3, vcc_lo
	v_add_co_u32 v2, vcc_lo, v2, v4
	s_wait_alu 0xfffd
	s_delay_alu instid0(VALU_DEP_2) | instskip(SKIP_2) | instid1(VALU_DEP_2)
	v_add_co_ci_u32_e32 v2, vcc_lo, v3, v5, vcc_lo
	s_wait_alu 0xfffd
	v_add_co_ci_u32_e32 v3, vcc_lo, 0, v7, vcc_lo
	v_add_co_u32 v4, vcc_lo, v2, v6
	s_wait_alu 0xfffd
	s_delay_alu instid0(VALU_DEP_2) | instskip(NEXT) | instid1(VALU_DEP_2)
	v_add_co_ci_u32_e64 v5, null, 0, v3, vcc_lo
	v_mul_lo_u32 v6, s7, v4
	v_mad_co_u64_u32 v[2:3], null, s6, v4, 0
	s_delay_alu instid0(VALU_DEP_3) | instskip(NEXT) | instid1(VALU_DEP_2)
	v_mul_lo_u32 v7, s6, v5
	v_sub_co_u32 v2, vcc_lo, v9, v2
	s_delay_alu instid0(VALU_DEP_2) | instskip(SKIP_3) | instid1(VALU_DEP_3)
	v_add3_u32 v3, v3, v7, v6
	v_add_co_u32 v7, s2, v4, 2
	s_wait_alu 0xf1ff
	v_add_co_ci_u32_e64 v9, null, 0, v5, s2
	v_sub_nc_u32_e32 v6, v10, v3
	v_sub_co_u32 v11, s2, v2, s6
	s_wait_alu 0xfffd
	v_sub_co_ci_u32_e64 v3, null, v10, v3, vcc_lo
	s_delay_alu instid0(VALU_DEP_3) | instskip(NEXT) | instid1(VALU_DEP_3)
	v_subrev_co_ci_u32_e64 v6, null, s7, v6, vcc_lo
	v_cmp_le_u32_e32 vcc_lo, s6, v11
	s_wait_alu 0xf1ff
	s_delay_alu instid0(VALU_DEP_2) | instskip(SKIP_2) | instid1(VALU_DEP_2)
	v_subrev_co_ci_u32_e64 v6, null, 0, v6, s2
	s_wait_alu 0xfffd
	v_cndmask_b32_e64 v10, 0, -1, vcc_lo
	v_cmp_le_u32_e32 vcc_lo, s7, v6
	s_wait_alu 0xfffd
	v_cndmask_b32_e64 v11, 0, -1, vcc_lo
	v_cmp_le_u32_e32 vcc_lo, s6, v2
	;; [unrolled: 3-line block ×3, first 2 shown]
	s_wait_alu 0xfffd
	v_cndmask_b32_e64 v12, 0, -1, vcc_lo
	v_cmp_eq_u32_e32 vcc_lo, s7, v6
	s_wait_alu 0xfffd
	v_cndmask_b32_e32 v6, v11, v10, vcc_lo
	v_add_co_u32 v10, vcc_lo, v4, 1
	s_wait_alu 0xfffd
	v_add_co_ci_u32_e64 v11, null, 0, v5, vcc_lo
	v_cmp_eq_u32_e32 vcc_lo, s7, v3
	s_wait_alu 0xfffd
	v_cndmask_b32_e32 v2, v12, v2, vcc_lo
	v_cmp_ne_u32_e32 vcc_lo, 0, v6
	v_xor_b32_e32 v6, s4, v8
	s_wait_alu 0xfffd
	v_cndmask_b32_e32 v3, v11, v9, vcc_lo
	v_cmp_ne_u32_e64 s2, 0, v2
	v_cndmask_b32_e32 v2, v10, v7, vcc_lo
	s_wait_alu 0xf1ff
	s_delay_alu instid0(VALU_DEP_2) | instskip(NEXT) | instid1(VALU_DEP_2)
	v_cndmask_b32_e64 v3, v5, v3, s2
	v_cndmask_b32_e64 v2, v4, v2, s2
	s_delay_alu instid0(VALU_DEP_2) | instskip(NEXT) | instid1(VALU_DEP_2)
	v_xor_b32_e32 v3, v3, v6
	v_xor_b32_e32 v2, v2, v6
	s_delay_alu instid0(VALU_DEP_1) | instskip(SKIP_1) | instid1(VALU_DEP_3)
	v_sub_co_u32 v8, vcc_lo, v2, v6
	s_wait_alu 0xfffd
	v_sub_co_ci_u32_e64 v9, null, v3, v6, vcc_lo
.LBB108_2:
	s_wait_alu 0xfffe
	s_or_saveexec_b32 s2, s3
	s_load_b512 s[4:19], s[0:1], 0x0
	s_xor_b32 exec_lo, exec_lo, s2
	s_cbranch_execz .LBB108_4
; %bb.3:
	v_cvt_f32_u32_e32 v2, s20
	s_sub_co_i32 s3, 0, s20
	v_mov_b32_e32 v9, 0
	s_delay_alu instid0(VALU_DEP_2) | instskip(NEXT) | instid1(TRANS32_DEP_1)
	v_rcp_iflag_f32_e32 v2, v2
	v_mul_f32_e32 v2, 0x4f7ffffe, v2
	s_delay_alu instid0(VALU_DEP_1) | instskip(SKIP_1) | instid1(VALU_DEP_1)
	v_cvt_u32_f32_e32 v2, v2
	s_wait_alu 0xfffe
	v_mul_lo_u32 v3, s3, v2
	s_delay_alu instid0(VALU_DEP_1) | instskip(NEXT) | instid1(VALU_DEP_1)
	v_mul_hi_u32 v3, v2, v3
	v_add_nc_u32_e32 v2, v2, v3
	s_delay_alu instid0(VALU_DEP_1) | instskip(NEXT) | instid1(VALU_DEP_1)
	v_mul_hi_u32 v2, v0, v2
	v_mul_lo_u32 v3, v2, s20
	v_add_nc_u32_e32 v4, 1, v2
	s_delay_alu instid0(VALU_DEP_2) | instskip(NEXT) | instid1(VALU_DEP_1)
	v_sub_nc_u32_e32 v3, v0, v3
	v_subrev_nc_u32_e32 v5, s20, v3
	v_cmp_le_u32_e32 vcc_lo, s20, v3
	s_wait_alu 0xfffd
	s_delay_alu instid0(VALU_DEP_2) | instskip(NEXT) | instid1(VALU_DEP_1)
	v_dual_cndmask_b32 v3, v3, v5 :: v_dual_cndmask_b32 v2, v2, v4
	v_cmp_le_u32_e32 vcc_lo, s20, v3
	s_delay_alu instid0(VALU_DEP_2) | instskip(SKIP_1) | instid1(VALU_DEP_1)
	v_add_nc_u32_e32 v4, 1, v2
	s_wait_alu 0xfffd
	v_cndmask_b32_e32 v8, v2, v4, vcc_lo
.LBB108_4:
	s_or_b32 exec_lo, exec_lo, s2
	v_mul_lo_u32 v4, v9, s20
	s_delay_alu instid0(VALU_DEP_2)
	v_mul_lo_u32 v5, v8, s21
	v_mad_co_u64_u32 v[2:3], null, v8, s20, 0
	s_mov_b32 s2, exec_lo
	v_add3_u32 v3, v3, v5, v4
	v_sub_co_u32 v0, vcc_lo, v0, v2
	s_wait_alu 0xfffd
	s_delay_alu instid0(VALU_DEP_2) | instskip(SKIP_1) | instid1(VALU_DEP_1)
	v_sub_co_ci_u32_e64 v1, null, v1, v3, vcc_lo
	s_wait_kmcnt 0x0
	v_cmpx_gt_i64_e64 s[12:13], v[0:1]
	s_cbranch_execz .LBB108_17
; %bb.5:
	s_load_b64 s[2:3], s[16:17], 0x0
	v_ashrrev_i32_e32 v9, 31, v8
	s_wait_kmcnt 0x0
	s_delay_alu instid0(VALU_DEP_1)
	v_cmp_gt_i64_e32 vcc_lo, s[2:3], v[8:9]
	s_and_b32 exec_lo, exec_lo, vcc_lo
	s_cbranch_execz .LBB108_17
; %bb.6:
	v_lshlrev_b64_e32 v[2:3], 3, v[8:9]
	s_load_b256 s[20:27], s[0:1], 0x40
	s_add_nc_u64 s[0:1], s[2:3], -1
	v_dual_mov_b32 v6, s10 :: v_dual_mov_b32 v7, s11
	s_delay_alu instid0(VALU_DEP_2)
	v_add_co_u32 v4, vcc_lo, s14, v2
	s_wait_alu 0xfffd
	v_add_co_ci_u32_e64 v5, null, s15, v3, vcc_lo
	s_wait_alu 0xfffe
	v_cmp_ne_u64_e32 vcc_lo, s[0:1], v[8:9]
	global_load_b64 v[4:5], v[4:5], off
	s_and_saveexec_b32 s0, vcc_lo
	s_cbranch_execz .LBB108_8
; %bb.7:
	v_dual_mov_b32 v6, 0 :: v_dual_add_nc_u32 v7, 1, v8
	s_delay_alu instid0(VALU_DEP_1) | instskip(NEXT) | instid1(VALU_DEP_1)
	v_ashrrev_i64 v[6:7], 29, v[6:7]
	v_add_co_u32 v6, vcc_lo, s14, v6
	s_wait_alu 0xfffd
	s_delay_alu instid0(VALU_DEP_2)
	v_add_co_ci_u32_e64 v7, null, s15, v7, vcc_lo
	global_load_b64 v[6:7], v[6:7], off
.LBB108_8:
	s_wait_alu 0xfffe
	s_or_b32 exec_lo, exec_lo, s0
	v_mov_b32_e32 v14, 0
	s_mov_b32 s1, exec_lo
	s_wait_loadcnt 0x0
	v_cmpx_lt_i64_e64 v[4:5], v[6:7]
	s_cbranch_execz .LBB108_15
; %bb.9:
	v_lshlrev_b64_e32 v[8:9], 1, v[0:1]
	v_lshlrev_b64_e32 v[10:11], 3, v[4:5]
	v_mov_b32_e32 v14, 0
	s_cmp_lg_u64 s[8:9], 0
	s_mov_b32 s3, 0
	s_cselect_b32 s2, -1, 0
	v_add_co_u32 v15, vcc_lo, s6, v8
	s_wait_alu 0xfffd
	v_add_co_ci_u32_e64 v16, null, s7, v9, vcc_lo
	v_add_co_u32 v8, vcc_lo, s8, v10
	s_wait_alu 0xfffd
	v_add_co_ci_u32_e64 v9, null, s9, v11, vcc_lo
	;; [unrolled: 3-line block ×3, first 2 shown]
	s_branch .LBB108_12
.LBB108_10:                             ;   in Loop: Header=BB108_12 Depth=1
	global_load_b64 v[17:18], v[8:9], off
	s_wait_loadcnt 0x0
	v_xor_b32_e32 v19, v17, v18
	v_cls_i32_e32 v20, v18
	s_delay_alu instid0(VALU_DEP_2) | instskip(NEXT) | instid1(VALU_DEP_2)
	v_ashrrev_i32_e32 v19, 31, v19
	v_add_nc_u32_e32 v20, -1, v20
	s_delay_alu instid0(VALU_DEP_2) | instskip(NEXT) | instid1(VALU_DEP_1)
	v_add_nc_u32_e32 v19, 32, v19
	v_min_u32_e32 v19, v20, v19
	s_delay_alu instid0(VALU_DEP_1) | instskip(NEXT) | instid1(VALU_DEP_1)
	v_lshlrev_b64_e32 v[17:18], v19, v[17:18]
	v_min_u32_e32 v17, 1, v17
	s_delay_alu instid0(VALU_DEP_1) | instskip(SKIP_1) | instid1(VALU_DEP_2)
	v_or_b32_e32 v17, v18, v17
	v_sub_nc_u32_e32 v18, 32, v19
	v_cvt_f32_i32_e32 v17, v17
	s_delay_alu instid0(VALU_DEP_1) | instskip(NEXT) | instid1(VALU_DEP_1)
	v_ldexp_f32 v17, v17, v18
	v_div_scale_f32 v18, null, v17, v17, 1.0
	s_delay_alu instid0(VALU_DEP_1) | instskip(NEXT) | instid1(TRANS32_DEP_1)
	v_rcp_f32_e32 v19, v18
	v_fma_f32 v20, -v18, v19, 1.0
	s_delay_alu instid0(VALU_DEP_1) | instskip(SKIP_1) | instid1(VALU_DEP_1)
	v_fmac_f32_e32 v19, v20, v19
	v_div_scale_f32 v20, vcc_lo, 1.0, v17, 1.0
	v_mul_f32_e32 v21, v20, v19
	s_delay_alu instid0(VALU_DEP_1) | instskip(NEXT) | instid1(VALU_DEP_1)
	v_fma_f32 v22, -v18, v21, v20
	v_fmac_f32_e32 v21, v22, v19
	s_delay_alu instid0(VALU_DEP_1) | instskip(SKIP_1) | instid1(VALU_DEP_1)
	v_fma_f32 v18, -v18, v21, v20
	s_wait_alu 0xfffd
	v_div_fmas_f32 v18, v18, v19, v21
	s_delay_alu instid0(VALU_DEP_1)
	v_div_fixup_f32 v17, v18, v17, 1.0
.LBB108_11:                             ;   in Loop: Header=BB108_12 Depth=1
	s_wait_loadcnt 0x0
	v_mul_lo_u32 v18, v13, s12
	v_mul_lo_u32 v19, v12, s13
	v_mad_co_u64_u32 v[12:13], null, v12, s12, 0
	v_add_co_u32 v10, s0, v10, 8
	s_wait_alu 0xf1ff
	v_add_co_ci_u32_e64 v11, null, 0, v11, s0
	s_delay_alu instid0(VALU_DEP_3) | instskip(NEXT) | instid1(VALU_DEP_1)
	v_add3_u32 v13, v13, v19, v18
	v_lshlrev_b64_e32 v[12:13], 1, v[12:13]
	s_delay_alu instid0(VALU_DEP_1) | instskip(SKIP_1) | instid1(VALU_DEP_2)
	v_add_co_u32 v12, vcc_lo, v15, v12
	s_wait_alu 0xfffd
	v_add_co_ci_u32_e64 v13, null, v16, v13, vcc_lo
	v_add_co_u32 v4, vcc_lo, v4, 1
	s_wait_alu 0xfffd
	v_add_co_ci_u32_e64 v5, null, 0, v5, vcc_lo
	global_load_u16 v12, v[12:13], off
	v_add_co_u32 v8, vcc_lo, v8, 8
	s_wait_alu 0xfffd
	v_add_co_ci_u32_e64 v9, null, 0, v9, vcc_lo
	v_cmp_ge_i64_e32 vcc_lo, v[4:5], v[6:7]
	s_or_b32 s3, vcc_lo, s3
	s_wait_loadcnt 0x0
	v_fma_mix_f32 v14, v17, v12, v14 op_sel_hi:[0,1,0]
	s_wait_alu 0xfffe
	s_and_not1_b32 exec_lo, exec_lo, s3
	s_cbranch_execz .LBB108_14
.LBB108_12:                             ; =>This Inner Loop Header: Depth=1
	global_load_b64 v[12:13], v[10:11], off
	s_wait_alu 0xfffe
	s_and_not1_b32 vcc_lo, exec_lo, s2
	s_wait_alu 0xfffe
	s_cbranch_vccz .LBB108_10
; %bb.13:                               ;   in Loop: Header=BB108_12 Depth=1
	v_mov_b32_e32 v17, 1.0
	s_branch .LBB108_11
.LBB108_14:
	s_or_b32 exec_lo, exec_lo, s3
.LBB108_15:
	s_wait_alu 0xfffe
	s_or_b32 exec_lo, exec_lo, s1
	s_wait_kmcnt 0x0
	v_add_co_u32 v2, vcc_lo, s20, v2
	s_wait_alu 0xfffd
	v_add_co_ci_u32_e64 v3, null, s21, v3, vcc_lo
	global_load_b64 v[2:3], v[2:3], off
	s_wait_loadcnt 0x0
	v_lshlrev_b64_e32 v[2:3], 3, v[2:3]
	s_delay_alu instid0(VALU_DEP_1) | instskip(SKIP_1) | instid1(VALU_DEP_2)
	v_add_co_u32 v2, vcc_lo, s22, v2
	s_wait_alu 0xfffd
	v_add_co_ci_u32_e64 v3, null, s23, v3, vcc_lo
	global_load_b64 v[2:3], v[2:3], off
	s_wait_loadcnt 0x0
	v_lshlrev_b64_e32 v[2:3], 3, v[2:3]
	s_delay_alu instid0(VALU_DEP_1) | instskip(SKIP_1) | instid1(VALU_DEP_2)
	v_add_co_u32 v2, vcc_lo, s18, v2
	s_wait_alu 0xfffd
	v_add_co_ci_u32_e64 v3, null, s19, v3, vcc_lo
	global_load_b64 v[2:3], v[2:3], off
	s_wait_loadcnt 0x0
	v_cmp_ne_u64_e32 vcc_lo, s[26:27], v[2:3]
	s_and_b32 exec_lo, exec_lo, vcc_lo
	s_cbranch_execz .LBB108_17
; %bb.16:
	v_mul_lo_u32 v4, v3, s12
	v_mul_lo_u32 v5, v2, s13
	v_mad_co_u64_u32 v[2:3], null, v2, s12, 0
	v_lshlrev_b64_e32 v[0:1], 2, v[0:1]
	s_delay_alu instid0(VALU_DEP_2) | instskip(NEXT) | instid1(VALU_DEP_1)
	v_add3_u32 v3, v3, v5, v4
	v_lshlrev_b64_e32 v[2:3], 2, v[2:3]
	s_delay_alu instid0(VALU_DEP_1) | instskip(SKIP_1) | instid1(VALU_DEP_2)
	v_add_co_u32 v2, vcc_lo, s24, v2
	s_wait_alu 0xfffd
	v_add_co_ci_u32_e64 v3, null, s25, v3, vcc_lo
	s_delay_alu instid0(VALU_DEP_2) | instskip(SKIP_1) | instid1(VALU_DEP_2)
	v_add_co_u32 v0, vcc_lo, v2, v0
	s_wait_alu 0xfffd
	v_add_co_ci_u32_e64 v1, null, v3, v1, vcc_lo
	global_atomic_add_f32 v[0:1], v14, off scope:SCOPE_DEV
.LBB108_17:
	s_endpgm
	.section	.rodata,"a",@progbits
	.p2align	6, 0x0
	.amdhsa_kernel _ZN2at6native12_GLOBAL__N_137compute_grad_weight_atomic_accumulateIN3c104HalfEflEEvPKT1_PKT_S7_llS7_PKlS7_S7_S7_PT0_ll
		.amdhsa_group_segment_fixed_size 0
		.amdhsa_private_segment_fixed_size 0
		.amdhsa_kernarg_size 360
		.amdhsa_user_sgpr_count 2
		.amdhsa_user_sgpr_dispatch_ptr 0
		.amdhsa_user_sgpr_queue_ptr 0
		.amdhsa_user_sgpr_kernarg_segment_ptr 1
		.amdhsa_user_sgpr_dispatch_id 0
		.amdhsa_user_sgpr_private_segment_size 0
		.amdhsa_wavefront_size32 1
		.amdhsa_uses_dynamic_stack 0
		.amdhsa_enable_private_segment 0
		.amdhsa_system_sgpr_workgroup_id_x 1
		.amdhsa_system_sgpr_workgroup_id_y 0
		.amdhsa_system_sgpr_workgroup_id_z 0
		.amdhsa_system_sgpr_workgroup_info 0
		.amdhsa_system_vgpr_workitem_id 0
		.amdhsa_next_free_vgpr 23
		.amdhsa_next_free_sgpr 28
		.amdhsa_reserve_vcc 1
		.amdhsa_float_round_mode_32 0
		.amdhsa_float_round_mode_16_64 0
		.amdhsa_float_denorm_mode_32 3
		.amdhsa_float_denorm_mode_16_64 3
		.amdhsa_fp16_overflow 0
		.amdhsa_workgroup_processor_mode 1
		.amdhsa_memory_ordered 1
		.amdhsa_forward_progress 1
		.amdhsa_inst_pref_size 16
		.amdhsa_round_robin_scheduling 0
		.amdhsa_exception_fp_ieee_invalid_op 0
		.amdhsa_exception_fp_denorm_src 0
		.amdhsa_exception_fp_ieee_div_zero 0
		.amdhsa_exception_fp_ieee_overflow 0
		.amdhsa_exception_fp_ieee_underflow 0
		.amdhsa_exception_fp_ieee_inexact 0
		.amdhsa_exception_int_div_zero 0
	.end_amdhsa_kernel
	.section	.text._ZN2at6native12_GLOBAL__N_137compute_grad_weight_atomic_accumulateIN3c104HalfEflEEvPKT1_PKT_S7_llS7_PKlS7_S7_S7_PT0_ll,"axG",@progbits,_ZN2at6native12_GLOBAL__N_137compute_grad_weight_atomic_accumulateIN3c104HalfEflEEvPKT1_PKT_S7_llS7_PKlS7_S7_S7_PT0_ll,comdat
.Lfunc_end108:
	.size	_ZN2at6native12_GLOBAL__N_137compute_grad_weight_atomic_accumulateIN3c104HalfEflEEvPKT1_PKT_S7_llS7_PKlS7_S7_S7_PT0_ll, .Lfunc_end108-_ZN2at6native12_GLOBAL__N_137compute_grad_weight_atomic_accumulateIN3c104HalfEflEEvPKT1_PKT_S7_llS7_PKlS7_S7_S7_PT0_ll
                                        ; -- End function
	.set _ZN2at6native12_GLOBAL__N_137compute_grad_weight_atomic_accumulateIN3c104HalfEflEEvPKT1_PKT_S7_llS7_PKlS7_S7_S7_PT0_ll.num_vgpr, 23
	.set _ZN2at6native12_GLOBAL__N_137compute_grad_weight_atomic_accumulateIN3c104HalfEflEEvPKT1_PKT_S7_llS7_PKlS7_S7_S7_PT0_ll.num_agpr, 0
	.set _ZN2at6native12_GLOBAL__N_137compute_grad_weight_atomic_accumulateIN3c104HalfEflEEvPKT1_PKT_S7_llS7_PKlS7_S7_S7_PT0_ll.numbered_sgpr, 28
	.set _ZN2at6native12_GLOBAL__N_137compute_grad_weight_atomic_accumulateIN3c104HalfEflEEvPKT1_PKT_S7_llS7_PKlS7_S7_S7_PT0_ll.num_named_barrier, 0
	.set _ZN2at6native12_GLOBAL__N_137compute_grad_weight_atomic_accumulateIN3c104HalfEflEEvPKT1_PKT_S7_llS7_PKlS7_S7_S7_PT0_ll.private_seg_size, 0
	.set _ZN2at6native12_GLOBAL__N_137compute_grad_weight_atomic_accumulateIN3c104HalfEflEEvPKT1_PKT_S7_llS7_PKlS7_S7_S7_PT0_ll.uses_vcc, 1
	.set _ZN2at6native12_GLOBAL__N_137compute_grad_weight_atomic_accumulateIN3c104HalfEflEEvPKT1_PKT_S7_llS7_PKlS7_S7_S7_PT0_ll.uses_flat_scratch, 0
	.set _ZN2at6native12_GLOBAL__N_137compute_grad_weight_atomic_accumulateIN3c104HalfEflEEvPKT1_PKT_S7_llS7_PKlS7_S7_S7_PT0_ll.has_dyn_sized_stack, 0
	.set _ZN2at6native12_GLOBAL__N_137compute_grad_weight_atomic_accumulateIN3c104HalfEflEEvPKT1_PKT_S7_llS7_PKlS7_S7_S7_PT0_ll.has_recursion, 0
	.set _ZN2at6native12_GLOBAL__N_137compute_grad_weight_atomic_accumulateIN3c104HalfEflEEvPKT1_PKT_S7_llS7_PKlS7_S7_S7_PT0_ll.has_indirect_call, 0
	.section	.AMDGPU.csdata,"",@progbits
; Kernel info:
; codeLenInByte = 2004
; TotalNumSgprs: 30
; NumVgprs: 23
; ScratchSize: 0
; MemoryBound: 0
; FloatMode: 240
; IeeeMode: 1
; LDSByteSize: 0 bytes/workgroup (compile time only)
; SGPRBlocks: 0
; VGPRBlocks: 2
; NumSGPRsForWavesPerEU: 30
; NumVGPRsForWavesPerEU: 23
; Occupancy: 16
; WaveLimiterHint : 1
; COMPUTE_PGM_RSRC2:SCRATCH_EN: 0
; COMPUTE_PGM_RSRC2:USER_SGPR: 2
; COMPUTE_PGM_RSRC2:TRAP_HANDLER: 0
; COMPUTE_PGM_RSRC2:TGID_X_EN: 1
; COMPUTE_PGM_RSRC2:TGID_Y_EN: 0
; COMPUTE_PGM_RSRC2:TGID_Z_EN: 0
; COMPUTE_PGM_RSRC2:TIDIG_COMP_CNT: 0
	.section	.text._ZN2at6native12_GLOBAL__N_124compute_grad_weight_bagsIN3c104HalfElEEvPKT0_PKT_S7_S7_lliS7_SA_lS7_PKlPNS_14AccumulateTypeIS8_Lb1EE4typeEl,"axG",@progbits,_ZN2at6native12_GLOBAL__N_124compute_grad_weight_bagsIN3c104HalfElEEvPKT0_PKT_S7_S7_lliS7_SA_lS7_PKlPNS_14AccumulateTypeIS8_Lb1EE4typeEl,comdat
	.globl	_ZN2at6native12_GLOBAL__N_124compute_grad_weight_bagsIN3c104HalfElEEvPKT0_PKT_S7_S7_lliS7_SA_lS7_PKlPNS_14AccumulateTypeIS8_Lb1EE4typeEl ; -- Begin function _ZN2at6native12_GLOBAL__N_124compute_grad_weight_bagsIN3c104HalfElEEvPKT0_PKT_S7_S7_lliS7_SA_lS7_PKlPNS_14AccumulateTypeIS8_Lb1EE4typeEl
	.p2align	8
	.type	_ZN2at6native12_GLOBAL__N_124compute_grad_weight_bagsIN3c104HalfElEEvPKT0_PKT_S7_S7_lliS7_SA_lS7_PKlPNS_14AccumulateTypeIS8_Lb1EE4typeEl,@function
_ZN2at6native12_GLOBAL__N_124compute_grad_weight_bagsIN3c104HalfElEEvPKT0_PKT_S7_S7_lliS7_SA_lS7_PKlPNS_14AccumulateTypeIS8_Lb1EE4typeEl: ; @_ZN2at6native12_GLOBAL__N_124compute_grad_weight_bagsIN3c104HalfElEEvPKT0_PKT_S7_S7_lliS7_SA_lS7_PKlPNS_14AccumulateTypeIS8_Lb1EE4typeEl
; %bb.0:
	s_clause 0x2
	s_load_b32 s2, s[0:1], 0x7c
	s_load_b64 s[4:5], s[0:1], 0x68
	s_load_b128 s[20:23], s[0:1], 0x58
	v_mov_b32_e32 v1, 0
	s_delay_alu instid0(VALU_DEP_1) | instskip(SKIP_2) | instid1(SALU_CYCLE_1)
	v_mov_b32_e32 v4, v1
	s_wait_kmcnt 0x0
	s_and_b32 s2, s2, 0xffff
	v_mad_co_u64_u32 v[2:3], null, s2, ttmp9, v[0:1]
                                        ; implicit-def: $vgpr0_vgpr1
	s_mov_b32 s2, exec_lo
	v_or_b32_e32 v5, s5, v3
	s_delay_alu instid0(VALU_DEP_1)
	v_cmpx_ne_u64_e32 0, v[4:5]
	s_wait_alu 0xfffe
	s_xor_b32 s3, exec_lo, s2
	s_cbranch_execz .LBB109_2
; %bb.1:
	s_ashr_i32 s6, s5, 31
	s_mov_b32 s17, 0
	s_mov_b32 s7, s6
	v_ashrrev_i32_e32 v8, 31, v3
	s_add_nc_u64 s[8:9], s[4:5], s[6:7]
	s_delay_alu instid0(SALU_CYCLE_1) | instskip(NEXT) | instid1(VALU_DEP_1)
	s_xor_b64 s[8:9], s[8:9], s[6:7]
	v_add_co_u32 v0, vcc_lo, v2, v8
	s_cvt_f32_u32 s2, s8
	s_cvt_f32_u32 s7, s9
	s_sub_nc_u64 s[12:13], 0, s[8:9]
	v_add_co_ci_u32_e64 v1, null, v3, v8, vcc_lo
	s_wait_alu 0xfffe
	s_fmamk_f32 s2, s7, 0x4f800000, s2
	v_xor_b32_e32 v9, v0, v8
	s_delay_alu instid0(VALU_DEP_2) | instskip(SKIP_2) | instid1(TRANS32_DEP_1)
	v_xor_b32_e32 v10, v1, v8
	s_wait_alu 0xfffe
	v_s_rcp_f32 s2, s2
	s_mul_f32 s2, s2, 0x5f7ffffc
	s_wait_alu 0xfffe
	s_delay_alu instid0(SALU_CYCLE_2) | instskip(NEXT) | instid1(SALU_CYCLE_3)
	s_mul_f32 s7, s2, 0x2f800000
	s_trunc_f32 s7, s7
	s_delay_alu instid0(SALU_CYCLE_3) | instskip(SKIP_2) | instid1(SALU_CYCLE_1)
	s_fmamk_f32 s2, s7, 0xcf800000, s2
	s_cvt_u32_f32 s11, s7
	s_wait_alu 0xfffe
	s_cvt_u32_f32 s10, s2
	s_delay_alu instid0(SALU_CYCLE_3) | instskip(NEXT) | instid1(SALU_CYCLE_1)
	s_mul_u64 s[14:15], s[12:13], s[10:11]
	s_mul_hi_u32 s19, s10, s15
	s_mul_i32 s18, s10, s15
	s_mul_hi_u32 s16, s10, s14
	s_mul_i32 s7, s11, s14
	s_add_nc_u64 s[18:19], s[16:17], s[18:19]
	s_mul_hi_u32 s2, s11, s14
	s_mul_hi_u32 s24, s11, s15
	s_add_co_u32 s7, s18, s7
	s_wait_alu 0xfffe
	s_add_co_ci_u32 s16, s19, s2
	s_mul_i32 s14, s11, s15
	s_add_co_ci_u32 s15, s24, 0
	s_delay_alu instid0(SALU_CYCLE_1) | instskip(NEXT) | instid1(SALU_CYCLE_1)
	s_add_nc_u64 s[14:15], s[16:17], s[14:15]
	s_add_co_u32 s10, s10, s14
	s_cselect_b32 s2, -1, 0
	s_wait_alu 0xfffe
	s_cmp_lg_u32 s2, 0
	s_add_co_ci_u32 s11, s11, s15
	s_delay_alu instid0(SALU_CYCLE_1) | instskip(NEXT) | instid1(SALU_CYCLE_1)
	s_mul_u64 s[12:13], s[12:13], s[10:11]
	s_mul_hi_u32 s15, s10, s13
	s_mul_i32 s14, s10, s13
	s_mul_hi_u32 s16, s10, s12
	s_mul_i32 s7, s11, s12
	s_add_nc_u64 s[14:15], s[16:17], s[14:15]
	s_mul_hi_u32 s2, s11, s12
	s_mul_hi_u32 s18, s11, s13
	s_add_co_u32 s7, s14, s7
	s_wait_alu 0xfffe
	s_add_co_ci_u32 s16, s15, s2
	s_mul_i32 s12, s11, s13
	s_add_co_ci_u32 s13, s18, 0
	s_delay_alu instid0(SALU_CYCLE_1) | instskip(NEXT) | instid1(SALU_CYCLE_1)
	s_add_nc_u64 s[12:13], s[16:17], s[12:13]
	s_add_co_u32 s2, s10, s12
	s_cselect_b32 s7, -1, 0
	s_wait_alu 0xfffe
	v_mul_hi_u32 v11, v9, s2
	s_cmp_lg_u32 s7, 0
	v_mad_co_u64_u32 v[4:5], null, v10, s2, 0
	s_add_co_ci_u32 s7, s11, s13
	s_delay_alu instid0(SALU_CYCLE_1) | instskip(SKIP_1) | instid1(VALU_DEP_2)
	v_mad_co_u64_u32 v[0:1], null, v9, s7, 0
	v_mad_co_u64_u32 v[6:7], null, v10, s7, 0
	v_add_co_u32 v0, vcc_lo, v11, v0
	s_wait_alu 0xfffd
	s_delay_alu instid0(VALU_DEP_3) | instskip(NEXT) | instid1(VALU_DEP_2)
	v_add_co_ci_u32_e64 v1, null, 0, v1, vcc_lo
	v_add_co_u32 v0, vcc_lo, v0, v4
	s_wait_alu 0xfffd
	s_delay_alu instid0(VALU_DEP_2) | instskip(SKIP_2) | instid1(VALU_DEP_2)
	v_add_co_ci_u32_e32 v0, vcc_lo, v1, v5, vcc_lo
	s_wait_alu 0xfffd
	v_add_co_ci_u32_e32 v1, vcc_lo, 0, v7, vcc_lo
	v_add_co_u32 v4, vcc_lo, v0, v6
	s_wait_alu 0xfffd
	s_delay_alu instid0(VALU_DEP_2) | instskip(NEXT) | instid1(VALU_DEP_2)
	v_add_co_ci_u32_e64 v5, null, 0, v1, vcc_lo
	v_mul_lo_u32 v6, s9, v4
	v_mad_co_u64_u32 v[0:1], null, s8, v4, 0
	s_delay_alu instid0(VALU_DEP_3) | instskip(NEXT) | instid1(VALU_DEP_2)
	v_mul_lo_u32 v7, s8, v5
	v_sub_co_u32 v0, vcc_lo, v9, v0
	s_delay_alu instid0(VALU_DEP_2) | instskip(SKIP_3) | instid1(VALU_DEP_3)
	v_add3_u32 v1, v1, v7, v6
	v_add_co_u32 v7, s2, v4, 2
	s_wait_alu 0xf1ff
	v_add_co_ci_u32_e64 v9, null, 0, v5, s2
	v_sub_nc_u32_e32 v6, v10, v1
	v_sub_co_u32 v11, s2, v0, s8
	s_wait_alu 0xfffd
	v_sub_co_ci_u32_e64 v1, null, v10, v1, vcc_lo
	s_delay_alu instid0(VALU_DEP_3) | instskip(NEXT) | instid1(VALU_DEP_3)
	v_subrev_co_ci_u32_e64 v6, null, s9, v6, vcc_lo
	v_cmp_le_u32_e32 vcc_lo, s8, v11
	s_wait_alu 0xf1ff
	s_delay_alu instid0(VALU_DEP_2) | instskip(SKIP_2) | instid1(VALU_DEP_2)
	v_subrev_co_ci_u32_e64 v6, null, 0, v6, s2
	s_wait_alu 0xfffd
	v_cndmask_b32_e64 v10, 0, -1, vcc_lo
	v_cmp_le_u32_e32 vcc_lo, s9, v6
	s_wait_alu 0xfffd
	v_cndmask_b32_e64 v11, 0, -1, vcc_lo
	v_cmp_le_u32_e32 vcc_lo, s8, v0
	;; [unrolled: 3-line block ×3, first 2 shown]
	s_wait_alu 0xfffd
	v_cndmask_b32_e64 v12, 0, -1, vcc_lo
	v_cmp_eq_u32_e32 vcc_lo, s9, v6
	s_wait_alu 0xfffd
	v_cndmask_b32_e32 v6, v11, v10, vcc_lo
	v_add_co_u32 v10, vcc_lo, v4, 1
	s_wait_alu 0xfffd
	v_add_co_ci_u32_e64 v11, null, 0, v5, vcc_lo
	v_cmp_eq_u32_e32 vcc_lo, s9, v1
	s_wait_alu 0xfffd
	v_cndmask_b32_e32 v0, v12, v0, vcc_lo
	v_cmp_ne_u32_e32 vcc_lo, 0, v6
	v_xor_b32_e32 v6, s6, v8
	s_wait_alu 0xfffd
	v_cndmask_b32_e32 v1, v11, v9, vcc_lo
	v_cmp_ne_u32_e64 s2, 0, v0
	v_cndmask_b32_e32 v0, v10, v7, vcc_lo
	s_wait_alu 0xf1ff
	s_delay_alu instid0(VALU_DEP_2) | instskip(NEXT) | instid1(VALU_DEP_2)
	v_cndmask_b32_e64 v1, v5, v1, s2
	v_cndmask_b32_e64 v0, v4, v0, s2
	s_delay_alu instid0(VALU_DEP_2) | instskip(NEXT) | instid1(VALU_DEP_2)
	v_xor_b32_e32 v1, v1, v6
	v_xor_b32_e32 v0, v0, v6
	s_delay_alu instid0(VALU_DEP_1) | instskip(SKIP_1) | instid1(VALU_DEP_3)
	v_sub_co_u32 v0, vcc_lo, v0, v6
	s_wait_alu 0xfffd
	v_sub_co_ci_u32_e64 v1, null, v1, v6, vcc_lo
.LBB109_2:
	s_wait_alu 0xfffe
	s_or_saveexec_b32 s2, s3
	s_load_b64 s[20:21], s[20:21], 0x0
	s_xor_b32 exec_lo, exec_lo, s2
	s_cbranch_execz .LBB109_4
; %bb.3:
	v_cvt_f32_u32_e32 v0, s4
	s_sub_co_i32 s3, 0, s4
	s_delay_alu instid0(VALU_DEP_1) | instskip(NEXT) | instid1(TRANS32_DEP_1)
	v_rcp_iflag_f32_e32 v0, v0
	v_mul_f32_e32 v0, 0x4f7ffffe, v0
	s_delay_alu instid0(VALU_DEP_1) | instskip(SKIP_1) | instid1(VALU_DEP_1)
	v_cvt_u32_f32_e32 v0, v0
	s_wait_alu 0xfffe
	v_mul_lo_u32 v1, s3, v0
	s_delay_alu instid0(VALU_DEP_1) | instskip(NEXT) | instid1(VALU_DEP_1)
	v_mul_hi_u32 v1, v0, v1
	v_add_nc_u32_e32 v0, v0, v1
	s_delay_alu instid0(VALU_DEP_1) | instskip(NEXT) | instid1(VALU_DEP_1)
	v_mul_hi_u32 v0, v2, v0
	v_mul_lo_u32 v1, v0, s4
	v_add_nc_u32_e32 v4, 1, v0
	s_delay_alu instid0(VALU_DEP_2) | instskip(NEXT) | instid1(VALU_DEP_1)
	v_sub_nc_u32_e32 v1, v2, v1
	v_subrev_nc_u32_e32 v5, s4, v1
	v_cmp_le_u32_e32 vcc_lo, s4, v1
	s_wait_alu 0xfffd
	s_delay_alu instid0(VALU_DEP_2) | instskip(NEXT) | instid1(VALU_DEP_1)
	v_dual_cndmask_b32 v1, v1, v5 :: v_dual_cndmask_b32 v0, v0, v4
	v_cmp_le_u32_e32 vcc_lo, s4, v1
	s_delay_alu instid0(VALU_DEP_2) | instskip(SKIP_1) | instid1(VALU_DEP_1)
	v_dual_mov_b32 v1, 0 :: v_dual_add_nc_u32 v4, 1, v0
	s_wait_alu 0xfffd
	v_cndmask_b32_e32 v0, v0, v4, vcc_lo
.LBB109_4:
	s_or_b32 exec_lo, exec_lo, s2
	s_load_b128 s[24:27], s[0:1], 0x20
	v_mul_lo_u32 v6, v1, s4
	s_delay_alu instid0(VALU_DEP_2) | instskip(SKIP_3) | instid1(VALU_DEP_2)
	v_mul_lo_u32 v7, v0, s5
	v_mad_co_u64_u32 v[4:5], null, v0, s4, 0
	s_wait_kmcnt 0x0
	v_cmp_gt_i64_e64 s2, s[20:21], v[0:1]
	v_add3_u32 v5, v5, v7, v6
	s_delay_alu instid0(VALU_DEP_3) | instskip(SKIP_1) | instid1(VALU_DEP_2)
	v_sub_co_u32 v2, vcc_lo, v2, v4
	s_wait_alu 0xfffd
	v_sub_co_ci_u32_e64 v3, null, v3, v5, vcc_lo
	s_delay_alu instid0(VALU_DEP_1)
	v_cmp_gt_i64_e32 vcc_lo, s[26:27], v[2:3]
	s_and_b32 s2, vcc_lo, s2
	s_wait_alu 0xfffe
	s_and_saveexec_b32 s3, s2
	s_cbranch_execz .LBB109_18
; %bb.5:
	s_load_b256 s[4:11], s[0:1], 0x38
	v_lshlrev_b64_e32 v[4:5], 3, v[0:1]
	s_load_b256 s[12:19], s[0:1], 0x0
	s_add_nc_u64 s[2:3], s[20:21], -1
	v_dual_mov_b32 v6, s24 :: v_dual_mov_b32 v7, s25
	s_wait_kmcnt 0x0
	s_delay_alu instid0(VALU_DEP_2)
	v_add_co_u32 v8, vcc_lo, s10, v4
	s_wait_alu 0xfffd
	v_add_co_ci_u32_e64 v9, null, s11, v5, vcc_lo
	s_wait_alu 0xfffe
	v_cmp_ne_u64_e32 vcc_lo, s[2:3], v[0:1]
	global_load_b64 v[4:5], v[8:9], off
	s_and_saveexec_b32 s2, vcc_lo
	s_cbranch_execz .LBB109_7
; %bb.6:
	global_load_b64 v[6:7], v[8:9], off offset:8
.LBB109_7:
	s_wait_alu 0xfffe
	s_or_b32 exec_lo, exec_lo, s2
	s_wait_loadcnt 0x0
	v_mov_b32_e32 v5, 0
	s_mov_b32 s2, exec_lo
	v_cmpx_lt_i32_e64 v4, v6
	s_cbranch_execz .LBB109_17
; %bb.8:
	s_load_b32 s0, s[0:1], 0x30
	v_ashrrev_i32_e32 v5, 31, v4
	v_lshlrev_b64_e32 v[7:8], 1, v[2:3]
	s_cmp_lg_u64 s[18:19], 0
	v_mov_b32_e32 v11, 0
	s_cselect_b32 s1, -1, 0
	v_lshlrev_b64_e32 v[9:10], 3, v[4:5]
	s_cmp_lg_u64 s[6:7], 0
	v_add_co_u32 v16, vcc_lo, s14, v7
	s_wait_alu 0xfffd
	v_add_co_ci_u32_e64 v17, null, s15, v8, vcc_lo
	s_delay_alu instid0(VALU_DEP_3)
	v_add_co_u32 v7, vcc_lo, s12, v9
	s_wait_alu 0xfffd
	v_add_co_ci_u32_e64 v8, null, s13, v10, vcc_lo
	v_add_co_u32 v9, vcc_lo, s18, v9
	s_wait_alu 0xfffd
	v_add_co_ci_u32_e64 v10, null, s19, v10, vcc_lo
	v_mov_b32_e32 v5, 0
	s_cselect_b32 s3, -1, 0
	s_wait_kmcnt 0x0
	s_cmp_lg_u32 s0, 0
	s_mov_b32 s11, 0
	s_cselect_b32 s10, -1, 0
	s_mov_b32 s12, s26
	s_branch .LBB109_10
.LBB109_9:                              ;   in Loop: Header=BB109_10 Depth=1
	s_delay_alu instid0(VALU_DEP_1) | instskip(SKIP_3) | instid1(VALU_DEP_3)
	v_dual_fmac_f32 v5, v15, v13 :: v_dual_add_nc_u32 v4, 1, v4
	v_add_co_u32 v7, vcc_lo, v7, 8
	s_wait_alu 0xfffd
	v_add_co_ci_u32_e64 v8, null, 0, v8, vcc_lo
	v_cmp_ge_i32_e32 vcc_lo, v4, v6
	v_add_co_u32 v9, s0, v9, 8
	s_wait_alu 0xf1ff
	v_add_co_ci_u32_e64 v10, null, 0, v10, s0
	s_or_b32 s11, vcc_lo, s11
	s_wait_alu 0xfffe
	s_and_not1_b32 exec_lo, exec_lo, s11
	s_cbranch_execz .LBB109_16
.LBB109_10:                             ; =>This Inner Loop Header: Depth=1
	global_load_b64 v[14:15], v[7:8], off
	s_wait_loadcnt 0x0
	v_mov_b32_e32 v12, v14
	s_delay_alu instid0(VALU_DEP_1) | instskip(NEXT) | instid1(VALU_DEP_1)
	v_ashrrev_i64 v[12:13], 29, v[11:12]
	v_add_co_u32 v12, vcc_lo, s16, v12
	s_wait_alu 0xfffd
	s_delay_alu instid0(VALU_DEP_2)
	v_add_co_ci_u32_e64 v13, null, s17, v13, vcc_lo
	s_wait_alu 0xfffe
	s_and_not1_b32 vcc_lo, exec_lo, s1
	global_load_b64 v[12:13], v[12:13], off
	s_wait_alu 0xfffe
	s_cbranch_vccnz .LBB109_15
; %bb.11:                               ;   in Loop: Header=BB109_10 Depth=1
	global_load_b64 v[18:19], v[9:10], off
	s_wait_loadcnt 0x0
	v_cvt_f64_i32_e32 v[19:20], v19
	v_cvt_f64_u32_e32 v[21:22], v18
	s_delay_alu instid0(VALU_DEP_2) | instskip(NEXT) | instid1(VALU_DEP_1)
	v_ldexp_f64 v[18:19], v[19:20], 32
	v_add_f64_e32 v[18:19], v[18:19], v[21:22]
	s_delay_alu instid0(VALU_DEP_1) | instskip(NEXT) | instid1(VALU_DEP_1)
	v_div_scale_f64 v[20:21], null, v[18:19], v[18:19], 1.0
	v_rcp_f64_e32 v[22:23], v[20:21]
	s_delay_alu instid0(TRANS32_DEP_1) | instskip(NEXT) | instid1(VALU_DEP_1)
	v_fma_f64 v[24:25], -v[20:21], v[22:23], 1.0
	v_fma_f64 v[22:23], v[22:23], v[24:25], v[22:23]
	s_delay_alu instid0(VALU_DEP_1) | instskip(NEXT) | instid1(VALU_DEP_1)
	v_fma_f64 v[24:25], -v[20:21], v[22:23], 1.0
	v_fma_f64 v[22:23], v[22:23], v[24:25], v[22:23]
	v_div_scale_f64 v[24:25], vcc_lo, 1.0, v[18:19], 1.0
	s_delay_alu instid0(VALU_DEP_1) | instskip(NEXT) | instid1(VALU_DEP_1)
	v_mul_f64_e32 v[26:27], v[24:25], v[22:23]
	v_fma_f64 v[20:21], -v[20:21], v[26:27], v[24:25]
	s_wait_alu 0xfffd
	s_delay_alu instid0(VALU_DEP_1) | instskip(NEXT) | instid1(VALU_DEP_1)
	v_div_fmas_f64 v[20:21], v[20:21], v[22:23], v[26:27]
	v_div_fixup_f64 v[18:19], v[20:21], v[18:19], 1.0
	s_delay_alu instid0(VALU_DEP_1)
	v_cvt_f32_f64_e32 v15, v[18:19]
	s_and_not1_b32 vcc_lo, exec_lo, s3
	s_wait_alu 0xfffe
	s_cbranch_vccnz .LBB109_13
.LBB109_12:                             ;   in Loop: Header=BB109_10 Depth=1
	v_ashrrev_i32_e32 v20, 31, v14
	v_mul_lo_u32 v21, v14, s9
	v_mad_co_u64_u32 v[18:19], null, v14, s8, 0
	s_delay_alu instid0(VALU_DEP_3) | instskip(NEXT) | instid1(VALU_DEP_1)
	v_mul_lo_u32 v14, v20, s8
	v_add3_u32 v19, v19, v21, v14
	s_delay_alu instid0(VALU_DEP_1) | instskip(NEXT) | instid1(VALU_DEP_1)
	v_lshlrev_b64_e32 v[18:19], 1, v[18:19]
	v_add_co_u32 v18, vcc_lo, s6, v18
	s_wait_alu 0xfffd
	s_delay_alu instid0(VALU_DEP_2) | instskip(SKIP_3) | instid1(VALU_DEP_1)
	v_add_co_ci_u32_e64 v19, null, s7, v19, vcc_lo
	global_load_u16 v14, v[18:19], off
	s_wait_loadcnt 0x0
	v_cvt_f32_f16_e32 v14, v14
	v_mul_f32_e32 v15, v15, v14
.LBB109_13:                             ;   in Loop: Header=BB109_10 Depth=1
	s_wait_loadcnt 0x0
	v_mul_lo_u32 v18, s12, v12
	v_mul_lo_u32 v19, 0, v13
	v_mad_co_u64_u32 v[13:14], null, 0, v12, 0
	s_delay_alu instid0(VALU_DEP_1) | instskip(NEXT) | instid1(VALU_DEP_1)
	v_add3_u32 v14, v14, v19, v18
	v_ashrrev_i64 v[13:14], 31, v[13:14]
	s_delay_alu instid0(VALU_DEP_1) | instskip(SKIP_1) | instid1(VALU_DEP_2)
	v_add_co_u32 v13, vcc_lo, v16, v13
	s_wait_alu 0xfffd
	v_add_co_ci_u32_e64 v14, null, v17, v14, vcc_lo
	s_and_not1_b32 vcc_lo, exec_lo, s10
	global_load_u16 v13, v[13:14], off
	s_wait_loadcnt 0x0
	v_cvt_f32_f16_e32 v13, v13
	s_wait_alu 0xfffe
	s_cbranch_vccnz .LBB109_9
; %bb.14:                               ;   in Loop: Header=BB109_10 Depth=1
	v_ashrrev_i64 v[18:19], 29, v[11:12]
	s_delay_alu instid0(VALU_DEP_1) | instskip(SKIP_1) | instid1(VALU_DEP_2)
	v_add_co_u32 v18, vcc_lo, s4, v18
	s_wait_alu 0xfffd
	v_add_co_ci_u32_e64 v19, null, s5, v19, vcc_lo
	global_load_b64 v[18:19], v[18:19], off
	s_wait_loadcnt 0x0
	v_xor_b32_e32 v12, v18, v19
	v_cls_i32_e32 v14, v19
	s_delay_alu instid0(VALU_DEP_2) | instskip(NEXT) | instid1(VALU_DEP_2)
	v_ashrrev_i32_e32 v12, 31, v12
	v_add_nc_u32_e32 v14, -1, v14
	s_delay_alu instid0(VALU_DEP_2) | instskip(NEXT) | instid1(VALU_DEP_1)
	v_add_nc_u32_e32 v12, 32, v12
	v_min_u32_e32 v12, v14, v12
	s_delay_alu instid0(VALU_DEP_1) | instskip(SKIP_1) | instid1(VALU_DEP_2)
	v_lshlrev_b64_e32 v[18:19], v12, v[18:19]
	v_sub_nc_u32_e32 v12, 32, v12
	v_min_u32_e32 v14, 1, v18
	s_delay_alu instid0(VALU_DEP_1) | instskip(NEXT) | instid1(VALU_DEP_1)
	v_or_b32_e32 v14, v19, v14
	v_cvt_f32_i32_e32 v14, v14
	s_delay_alu instid0(VALU_DEP_1) | instskip(NEXT) | instid1(VALU_DEP_1)
	v_ldexp_f32 v12, v14, v12
	v_div_scale_f32 v14, null, v12, v12, v13
	s_delay_alu instid0(VALU_DEP_1) | instskip(NEXT) | instid1(TRANS32_DEP_1)
	v_rcp_f32_e32 v18, v14
	v_fma_f32 v19, -v14, v18, 1.0
	s_delay_alu instid0(VALU_DEP_1) | instskip(SKIP_1) | instid1(VALU_DEP_1)
	v_fmac_f32_e32 v18, v19, v18
	v_div_scale_f32 v19, vcc_lo, v13, v12, v13
	v_mul_f32_e32 v20, v19, v18
	s_delay_alu instid0(VALU_DEP_1) | instskip(NEXT) | instid1(VALU_DEP_1)
	v_fma_f32 v21, -v14, v20, v19
	v_fmac_f32_e32 v20, v21, v18
	s_delay_alu instid0(VALU_DEP_1) | instskip(SKIP_1) | instid1(VALU_DEP_1)
	v_fma_f32 v14, -v14, v20, v19
	s_wait_alu 0xfffd
	v_div_fmas_f32 v14, v14, v18, v20
	s_delay_alu instid0(VALU_DEP_1)
	v_div_fixup_f32 v13, v14, v12, v13
	s_branch .LBB109_9
.LBB109_15:                             ;   in Loop: Header=BB109_10 Depth=1
	v_mov_b32_e32 v15, 1.0
	s_and_not1_b32 vcc_lo, exec_lo, s3
	s_wait_alu 0xfffe
	s_cbranch_vccz .LBB109_12
	s_branch .LBB109_13
.LBB109_16:
	s_or_b32 exec_lo, exec_lo, s11
.LBB109_17:
	s_wait_alu 0xfffe
	s_or_b32 exec_lo, exec_lo, s2
	v_mul_lo_u32 v4, v1, s26
	v_mul_lo_u32 v6, v0, s27
	v_mad_co_u64_u32 v[0:1], null, v0, s26, 0
	v_lshlrev_b64_e32 v[2:3], 2, v[2:3]
	s_delay_alu instid0(VALU_DEP_2) | instskip(NEXT) | instid1(VALU_DEP_1)
	v_add3_u32 v1, v1, v6, v4
	v_lshlrev_b64_e32 v[0:1], 2, v[0:1]
	s_delay_alu instid0(VALU_DEP_1) | instskip(SKIP_1) | instid1(VALU_DEP_2)
	v_add_co_u32 v0, vcc_lo, s22, v0
	s_wait_alu 0xfffd
	v_add_co_ci_u32_e64 v1, null, s23, v1, vcc_lo
	s_delay_alu instid0(VALU_DEP_2) | instskip(SKIP_1) | instid1(VALU_DEP_2)
	v_add_co_u32 v0, vcc_lo, v0, v2
	s_wait_alu 0xfffd
	v_add_co_ci_u32_e64 v1, null, v1, v3, vcc_lo
	global_store_b32 v[0:1], v5, off
.LBB109_18:
	s_endpgm
	.section	.rodata,"a",@progbits
	.p2align	6, 0x0
	.amdhsa_kernel _ZN2at6native12_GLOBAL__N_124compute_grad_weight_bagsIN3c104HalfElEEvPKT0_PKT_S7_S7_lliS7_SA_lS7_PKlPNS_14AccumulateTypeIS8_Lb1EE4typeEl
		.amdhsa_group_segment_fixed_size 0
		.amdhsa_private_segment_fixed_size 0
		.amdhsa_kernarg_size 368
		.amdhsa_user_sgpr_count 2
		.amdhsa_user_sgpr_dispatch_ptr 0
		.amdhsa_user_sgpr_queue_ptr 0
		.amdhsa_user_sgpr_kernarg_segment_ptr 1
		.amdhsa_user_sgpr_dispatch_id 0
		.amdhsa_user_sgpr_private_segment_size 0
		.amdhsa_wavefront_size32 1
		.amdhsa_uses_dynamic_stack 0
		.amdhsa_enable_private_segment 0
		.amdhsa_system_sgpr_workgroup_id_x 1
		.amdhsa_system_sgpr_workgroup_id_y 0
		.amdhsa_system_sgpr_workgroup_id_z 0
		.amdhsa_system_sgpr_workgroup_info 0
		.amdhsa_system_vgpr_workitem_id 0
		.amdhsa_next_free_vgpr 28
		.amdhsa_next_free_sgpr 28
		.amdhsa_reserve_vcc 1
		.amdhsa_float_round_mode_32 0
		.amdhsa_float_round_mode_16_64 0
		.amdhsa_float_denorm_mode_32 3
		.amdhsa_float_denorm_mode_16_64 3
		.amdhsa_fp16_overflow 0
		.amdhsa_workgroup_processor_mode 1
		.amdhsa_memory_ordered 1
		.amdhsa_forward_progress 1
		.amdhsa_inst_pref_size 18
		.amdhsa_round_robin_scheduling 0
		.amdhsa_exception_fp_ieee_invalid_op 0
		.amdhsa_exception_fp_denorm_src 0
		.amdhsa_exception_fp_ieee_div_zero 0
		.amdhsa_exception_fp_ieee_overflow 0
		.amdhsa_exception_fp_ieee_underflow 0
		.amdhsa_exception_fp_ieee_inexact 0
		.amdhsa_exception_int_div_zero 0
	.end_amdhsa_kernel
	.section	.text._ZN2at6native12_GLOBAL__N_124compute_grad_weight_bagsIN3c104HalfElEEvPKT0_PKT_S7_S7_lliS7_SA_lS7_PKlPNS_14AccumulateTypeIS8_Lb1EE4typeEl,"axG",@progbits,_ZN2at6native12_GLOBAL__N_124compute_grad_weight_bagsIN3c104HalfElEEvPKT0_PKT_S7_S7_lliS7_SA_lS7_PKlPNS_14AccumulateTypeIS8_Lb1EE4typeEl,comdat
.Lfunc_end109:
	.size	_ZN2at6native12_GLOBAL__N_124compute_grad_weight_bagsIN3c104HalfElEEvPKT0_PKT_S7_S7_lliS7_SA_lS7_PKlPNS_14AccumulateTypeIS8_Lb1EE4typeEl, .Lfunc_end109-_ZN2at6native12_GLOBAL__N_124compute_grad_weight_bagsIN3c104HalfElEEvPKT0_PKT_S7_S7_lliS7_SA_lS7_PKlPNS_14AccumulateTypeIS8_Lb1EE4typeEl
                                        ; -- End function
	.set _ZN2at6native12_GLOBAL__N_124compute_grad_weight_bagsIN3c104HalfElEEvPKT0_PKT_S7_S7_lliS7_SA_lS7_PKlPNS_14AccumulateTypeIS8_Lb1EE4typeEl.num_vgpr, 28
	.set _ZN2at6native12_GLOBAL__N_124compute_grad_weight_bagsIN3c104HalfElEEvPKT0_PKT_S7_S7_lliS7_SA_lS7_PKlPNS_14AccumulateTypeIS8_Lb1EE4typeEl.num_agpr, 0
	.set _ZN2at6native12_GLOBAL__N_124compute_grad_weight_bagsIN3c104HalfElEEvPKT0_PKT_S7_S7_lliS7_SA_lS7_PKlPNS_14AccumulateTypeIS8_Lb1EE4typeEl.numbered_sgpr, 28
	.set _ZN2at6native12_GLOBAL__N_124compute_grad_weight_bagsIN3c104HalfElEEvPKT0_PKT_S7_S7_lliS7_SA_lS7_PKlPNS_14AccumulateTypeIS8_Lb1EE4typeEl.num_named_barrier, 0
	.set _ZN2at6native12_GLOBAL__N_124compute_grad_weight_bagsIN3c104HalfElEEvPKT0_PKT_S7_S7_lliS7_SA_lS7_PKlPNS_14AccumulateTypeIS8_Lb1EE4typeEl.private_seg_size, 0
	.set _ZN2at6native12_GLOBAL__N_124compute_grad_weight_bagsIN3c104HalfElEEvPKT0_PKT_S7_S7_lliS7_SA_lS7_PKlPNS_14AccumulateTypeIS8_Lb1EE4typeEl.uses_vcc, 1
	.set _ZN2at6native12_GLOBAL__N_124compute_grad_weight_bagsIN3c104HalfElEEvPKT0_PKT_S7_S7_lliS7_SA_lS7_PKlPNS_14AccumulateTypeIS8_Lb1EE4typeEl.uses_flat_scratch, 0
	.set _ZN2at6native12_GLOBAL__N_124compute_grad_weight_bagsIN3c104HalfElEEvPKT0_PKT_S7_S7_lliS7_SA_lS7_PKlPNS_14AccumulateTypeIS8_Lb1EE4typeEl.has_dyn_sized_stack, 0
	.set _ZN2at6native12_GLOBAL__N_124compute_grad_weight_bagsIN3c104HalfElEEvPKT0_PKT_S7_S7_lliS7_SA_lS7_PKlPNS_14AccumulateTypeIS8_Lb1EE4typeEl.has_recursion, 0
	.set _ZN2at6native12_GLOBAL__N_124compute_grad_weight_bagsIN3c104HalfElEEvPKT0_PKT_S7_S7_lliS7_SA_lS7_PKlPNS_14AccumulateTypeIS8_Lb1EE4typeEl.has_indirect_call, 0
	.section	.AMDGPU.csdata,"",@progbits
; Kernel info:
; codeLenInByte = 2244
; TotalNumSgprs: 30
; NumVgprs: 28
; ScratchSize: 0
; MemoryBound: 0
; FloatMode: 240
; IeeeMode: 1
; LDSByteSize: 0 bytes/workgroup (compile time only)
; SGPRBlocks: 0
; VGPRBlocks: 3
; NumSGPRsForWavesPerEU: 30
; NumVGPRsForWavesPerEU: 28
; Occupancy: 16
; WaveLimiterHint : 1
; COMPUTE_PGM_RSRC2:SCRATCH_EN: 0
; COMPUTE_PGM_RSRC2:USER_SGPR: 2
; COMPUTE_PGM_RSRC2:TRAP_HANDLER: 0
; COMPUTE_PGM_RSRC2:TGID_X_EN: 1
; COMPUTE_PGM_RSRC2:TGID_Y_EN: 0
; COMPUTE_PGM_RSRC2:TGID_Z_EN: 0
; COMPUTE_PGM_RSRC2:TIDIG_COMP_CNT: 0
	.section	.text._ZN2at6native12_GLOBAL__N_119compute_grad_weightIN3c104HalfElEEvPKT0_PKT_S7_llS7_PKlPNS_14AccumulateTypeIS8_Lb1EE4typeEl,"axG",@progbits,_ZN2at6native12_GLOBAL__N_119compute_grad_weightIN3c104HalfElEEvPKT0_PKT_S7_llS7_PKlPNS_14AccumulateTypeIS8_Lb1EE4typeEl,comdat
	.globl	_ZN2at6native12_GLOBAL__N_119compute_grad_weightIN3c104HalfElEEvPKT0_PKT_S7_llS7_PKlPNS_14AccumulateTypeIS8_Lb1EE4typeEl ; -- Begin function _ZN2at6native12_GLOBAL__N_119compute_grad_weightIN3c104HalfElEEvPKT0_PKT_S7_llS7_PKlPNS_14AccumulateTypeIS8_Lb1EE4typeEl
	.p2align	8
	.type	_ZN2at6native12_GLOBAL__N_119compute_grad_weightIN3c104HalfElEEvPKT0_PKT_S7_llS7_PKlPNS_14AccumulateTypeIS8_Lb1EE4typeEl,@function
_ZN2at6native12_GLOBAL__N_119compute_grad_weightIN3c104HalfElEEvPKT0_PKT_S7_llS7_PKlPNS_14AccumulateTypeIS8_Lb1EE4typeEl: ; @_ZN2at6native12_GLOBAL__N_119compute_grad_weightIN3c104HalfElEEvPKT0_PKT_S7_llS7_PKlPNS_14AccumulateTypeIS8_Lb1EE4typeEl
; %bb.0:
	s_clause 0x2
	s_load_b32 s20, s[0:1], 0x54
	s_load_b64 s[2:3], s[0:1], 0x40
	s_load_b512 s[4:19], s[0:1], 0x0
	v_mov_b32_e32 v1, 0
	s_delay_alu instid0(VALU_DEP_1) | instskip(SKIP_2) | instid1(SALU_CYCLE_1)
	v_mov_b32_e32 v4, v1
	s_wait_kmcnt 0x0
	s_and_b32 s0, s20, 0xffff
	v_mad_co_u64_u32 v[2:3], null, s0, ttmp9, v[0:1]
                                        ; implicit-def: $vgpr0_vgpr1
	s_mov_b32 s0, exec_lo
	v_or_b32_e32 v5, s3, v3
	s_delay_alu instid0(VALU_DEP_1)
	v_cmpx_ne_u64_e32 0, v[4:5]
	s_wait_alu 0xfffe
	s_xor_b32 s1, exec_lo, s0
	s_cbranch_execz .LBB110_2
; %bb.1:
	s_ashr_i32 s20, s3, 31
	s_mov_b32 s31, 0
	s_mov_b32 s21, s20
	v_ashrrev_i32_e32 v8, 31, v3
	s_add_nc_u64 s[22:23], s[2:3], s[20:21]
	s_delay_alu instid0(SALU_CYCLE_1) | instskip(NEXT) | instid1(VALU_DEP_1)
	s_xor_b64 s[22:23], s[22:23], s[20:21]
	v_add_co_u32 v0, vcc_lo, v2, v8
	s_cvt_f32_u32 s0, s22
	s_cvt_f32_u32 s21, s23
	s_sub_nc_u64 s[26:27], 0, s[22:23]
	v_add_co_ci_u32_e64 v1, null, v3, v8, vcc_lo
	s_wait_alu 0xfffe
	s_fmamk_f32 s0, s21, 0x4f800000, s0
	v_xor_b32_e32 v9, v0, v8
	s_delay_alu instid0(VALU_DEP_2) | instskip(SKIP_2) | instid1(TRANS32_DEP_1)
	v_xor_b32_e32 v10, v1, v8
	s_wait_alu 0xfffe
	v_s_rcp_f32 s0, s0
	s_mul_f32 s0, s0, 0x5f7ffffc
	s_wait_alu 0xfffe
	s_delay_alu instid0(SALU_CYCLE_2) | instskip(NEXT) | instid1(SALU_CYCLE_3)
	s_mul_f32 s21, s0, 0x2f800000
	s_trunc_f32 s21, s21
	s_delay_alu instid0(SALU_CYCLE_3) | instskip(SKIP_2) | instid1(SALU_CYCLE_1)
	s_fmamk_f32 s0, s21, 0xcf800000, s0
	s_cvt_u32_f32 s25, s21
	s_wait_alu 0xfffe
	s_cvt_u32_f32 s24, s0
	s_delay_alu instid0(SALU_CYCLE_3) | instskip(NEXT) | instid1(SALU_CYCLE_1)
	s_mul_u64 s[28:29], s[26:27], s[24:25]
	s_mul_hi_u32 s35, s24, s29
	s_mul_i32 s34, s24, s29
	s_mul_hi_u32 s30, s24, s28
	s_mul_i32 s21, s25, s28
	s_add_nc_u64 s[34:35], s[30:31], s[34:35]
	s_mul_hi_u32 s0, s25, s28
	s_mul_hi_u32 s33, s25, s29
	s_add_co_u32 s21, s34, s21
	s_wait_alu 0xfffe
	s_add_co_ci_u32 s30, s35, s0
	s_mul_i32 s28, s25, s29
	s_add_co_ci_u32 s29, s33, 0
	s_delay_alu instid0(SALU_CYCLE_1) | instskip(NEXT) | instid1(SALU_CYCLE_1)
	s_add_nc_u64 s[28:29], s[30:31], s[28:29]
	s_add_co_u32 s24, s24, s28
	s_cselect_b32 s0, -1, 0
	s_wait_alu 0xfffe
	s_cmp_lg_u32 s0, 0
	s_add_co_ci_u32 s25, s25, s29
	s_delay_alu instid0(SALU_CYCLE_1) | instskip(NEXT) | instid1(SALU_CYCLE_1)
	s_mul_u64 s[26:27], s[26:27], s[24:25]
	s_mul_hi_u32 s29, s24, s27
	s_mul_i32 s28, s24, s27
	s_mul_hi_u32 s30, s24, s26
	s_mul_i32 s21, s25, s26
	s_add_nc_u64 s[28:29], s[30:31], s[28:29]
	s_mul_hi_u32 s0, s25, s26
	s_mul_hi_u32 s33, s25, s27
	s_add_co_u32 s21, s28, s21
	s_wait_alu 0xfffe
	s_add_co_ci_u32 s30, s29, s0
	s_mul_i32 s26, s25, s27
	s_add_co_ci_u32 s27, s33, 0
	s_delay_alu instid0(SALU_CYCLE_1) | instskip(NEXT) | instid1(SALU_CYCLE_1)
	s_add_nc_u64 s[26:27], s[30:31], s[26:27]
	s_add_co_u32 s0, s24, s26
	s_cselect_b32 s21, -1, 0
	s_wait_alu 0xfffe
	v_mul_hi_u32 v11, v9, s0
	s_cmp_lg_u32 s21, 0
	v_mad_co_u64_u32 v[4:5], null, v10, s0, 0
	s_add_co_ci_u32 s21, s25, s27
	s_delay_alu instid0(SALU_CYCLE_1) | instskip(SKIP_1) | instid1(VALU_DEP_2)
	v_mad_co_u64_u32 v[0:1], null, v9, s21, 0
	v_mad_co_u64_u32 v[6:7], null, v10, s21, 0
	v_add_co_u32 v0, vcc_lo, v11, v0
	s_wait_alu 0xfffd
	s_delay_alu instid0(VALU_DEP_3) | instskip(NEXT) | instid1(VALU_DEP_2)
	v_add_co_ci_u32_e64 v1, null, 0, v1, vcc_lo
	v_add_co_u32 v0, vcc_lo, v0, v4
	s_wait_alu 0xfffd
	s_delay_alu instid0(VALU_DEP_2) | instskip(SKIP_2) | instid1(VALU_DEP_2)
	v_add_co_ci_u32_e32 v0, vcc_lo, v1, v5, vcc_lo
	s_wait_alu 0xfffd
	v_add_co_ci_u32_e32 v1, vcc_lo, 0, v7, vcc_lo
	v_add_co_u32 v4, vcc_lo, v0, v6
	s_wait_alu 0xfffd
	s_delay_alu instid0(VALU_DEP_2) | instskip(NEXT) | instid1(VALU_DEP_2)
	v_add_co_ci_u32_e64 v5, null, 0, v1, vcc_lo
	v_mul_lo_u32 v6, s23, v4
	v_mad_co_u64_u32 v[0:1], null, s22, v4, 0
	s_delay_alu instid0(VALU_DEP_3) | instskip(NEXT) | instid1(VALU_DEP_2)
	v_mul_lo_u32 v7, s22, v5
	v_sub_co_u32 v0, vcc_lo, v9, v0
	s_delay_alu instid0(VALU_DEP_2) | instskip(SKIP_3) | instid1(VALU_DEP_3)
	v_add3_u32 v1, v1, v7, v6
	v_add_co_u32 v7, s0, v4, 2
	s_wait_alu 0xf1ff
	v_add_co_ci_u32_e64 v9, null, 0, v5, s0
	v_sub_nc_u32_e32 v6, v10, v1
	v_sub_co_u32 v11, s0, v0, s22
	s_wait_alu 0xfffd
	v_sub_co_ci_u32_e64 v1, null, v10, v1, vcc_lo
	s_delay_alu instid0(VALU_DEP_3) | instskip(NEXT) | instid1(VALU_DEP_3)
	v_subrev_co_ci_u32_e64 v6, null, s23, v6, vcc_lo
	v_cmp_le_u32_e32 vcc_lo, s22, v11
	s_wait_alu 0xf1ff
	s_delay_alu instid0(VALU_DEP_2) | instskip(SKIP_2) | instid1(VALU_DEP_2)
	v_subrev_co_ci_u32_e64 v6, null, 0, v6, s0
	s_wait_alu 0xfffd
	v_cndmask_b32_e64 v10, 0, -1, vcc_lo
	v_cmp_le_u32_e32 vcc_lo, s23, v6
	s_wait_alu 0xfffd
	v_cndmask_b32_e64 v11, 0, -1, vcc_lo
	v_cmp_le_u32_e32 vcc_lo, s22, v0
	s_wait_alu 0xfffd
	v_cndmask_b32_e64 v0, 0, -1, vcc_lo
	v_cmp_le_u32_e32 vcc_lo, s23, v1
	s_wait_alu 0xfffd
	v_cndmask_b32_e64 v12, 0, -1, vcc_lo
	v_cmp_eq_u32_e32 vcc_lo, s23, v6
	s_wait_alu 0xfffd
	v_cndmask_b32_e32 v6, v11, v10, vcc_lo
	v_add_co_u32 v10, vcc_lo, v4, 1
	s_wait_alu 0xfffd
	v_add_co_ci_u32_e64 v11, null, 0, v5, vcc_lo
	v_cmp_eq_u32_e32 vcc_lo, s23, v1
	s_wait_alu 0xfffd
	v_cndmask_b32_e32 v0, v12, v0, vcc_lo
	v_cmp_ne_u32_e32 vcc_lo, 0, v6
	v_xor_b32_e32 v6, s20, v8
	s_wait_alu 0xfffd
	v_cndmask_b32_e32 v1, v11, v9, vcc_lo
	v_cmp_ne_u32_e64 s0, 0, v0
	v_cndmask_b32_e32 v0, v10, v7, vcc_lo
	s_wait_alu 0xf1ff
	s_delay_alu instid0(VALU_DEP_2) | instskip(NEXT) | instid1(VALU_DEP_2)
	v_cndmask_b32_e64 v1, v5, v1, s0
	v_cndmask_b32_e64 v0, v4, v0, s0
	s_delay_alu instid0(VALU_DEP_2) | instskip(NEXT) | instid1(VALU_DEP_2)
	v_xor_b32_e32 v1, v1, v6
	v_xor_b32_e32 v0, v0, v6
	s_delay_alu instid0(VALU_DEP_1) | instskip(SKIP_1) | instid1(VALU_DEP_3)
	v_sub_co_u32 v0, vcc_lo, v0, v6
	s_wait_alu 0xfffd
	v_sub_co_ci_u32_e64 v1, null, v1, v6, vcc_lo
.LBB110_2:
	s_wait_alu 0xfffe
	s_or_saveexec_b32 s0, s1
	s_load_b64 s[16:17], s[16:17], 0x0
	s_xor_b32 exec_lo, exec_lo, s0
	s_cbranch_execz .LBB110_4
; %bb.3:
	v_cvt_f32_u32_e32 v0, s2
	s_sub_co_i32 s1, 0, s2
	s_delay_alu instid0(VALU_DEP_1) | instskip(NEXT) | instid1(TRANS32_DEP_1)
	v_rcp_iflag_f32_e32 v0, v0
	v_mul_f32_e32 v0, 0x4f7ffffe, v0
	s_delay_alu instid0(VALU_DEP_1) | instskip(SKIP_1) | instid1(VALU_DEP_1)
	v_cvt_u32_f32_e32 v0, v0
	s_wait_alu 0xfffe
	v_mul_lo_u32 v1, s1, v0
	s_delay_alu instid0(VALU_DEP_1) | instskip(NEXT) | instid1(VALU_DEP_1)
	v_mul_hi_u32 v1, v0, v1
	v_add_nc_u32_e32 v0, v0, v1
	s_delay_alu instid0(VALU_DEP_1) | instskip(NEXT) | instid1(VALU_DEP_1)
	v_mul_hi_u32 v0, v2, v0
	v_mul_lo_u32 v1, v0, s2
	v_add_nc_u32_e32 v4, 1, v0
	s_delay_alu instid0(VALU_DEP_2) | instskip(NEXT) | instid1(VALU_DEP_1)
	v_sub_nc_u32_e32 v1, v2, v1
	v_subrev_nc_u32_e32 v5, s2, v1
	v_cmp_le_u32_e32 vcc_lo, s2, v1
	s_wait_alu 0xfffd
	s_delay_alu instid0(VALU_DEP_2) | instskip(NEXT) | instid1(VALU_DEP_1)
	v_dual_cndmask_b32 v1, v1, v5 :: v_dual_cndmask_b32 v0, v0, v4
	v_cmp_le_u32_e32 vcc_lo, s2, v1
	s_delay_alu instid0(VALU_DEP_2) | instskip(SKIP_1) | instid1(VALU_DEP_1)
	v_dual_mov_b32 v1, 0 :: v_dual_add_nc_u32 v4, 1, v0
	s_wait_alu 0xfffd
	v_cndmask_b32_e32 v0, v0, v4, vcc_lo
.LBB110_4:
	s_or_b32 exec_lo, exec_lo, s0
	s_delay_alu instid0(VALU_DEP_2) | instskip(NEXT) | instid1(VALU_DEP_2)
	v_mul_lo_u32 v6, v1, s2
	v_mul_lo_u32 v7, v0, s3
	v_mad_co_u64_u32 v[4:5], null, v0, s2, 0
	s_wait_kmcnt 0x0
	v_cmp_gt_i64_e64 s0, s[16:17], v[0:1]
	s_delay_alu instid0(VALU_DEP_2) | instskip(NEXT) | instid1(VALU_DEP_3)
	v_add3_u32 v5, v5, v7, v6
	v_sub_co_u32 v2, vcc_lo, v2, v4
	s_wait_alu 0xfffd
	s_delay_alu instid0(VALU_DEP_2) | instskip(NEXT) | instid1(VALU_DEP_1)
	v_sub_co_ci_u32_e64 v3, null, v3, v5, vcc_lo
	v_cmp_gt_i64_e32 vcc_lo, s[12:13], v[2:3]
	s_and_b32 s0, vcc_lo, s0
	s_wait_alu 0xfffe
	s_and_saveexec_b32 s1, s0
	s_cbranch_execz .LBB110_15
; %bb.5:
	v_lshlrev_b64_e32 v[4:5], 3, v[0:1]
	s_add_nc_u64 s[0:1], s[16:17], -1
	v_dual_mov_b32 v6, s10 :: v_dual_mov_b32 v7, s11
	s_delay_alu instid0(VALU_DEP_2) | instskip(SKIP_1) | instid1(VALU_DEP_3)
	v_add_co_u32 v8, vcc_lo, s14, v4
	s_wait_alu 0xfffd
	v_add_co_ci_u32_e64 v9, null, s15, v5, vcc_lo
	s_wait_alu 0xfffe
	v_cmp_ne_u64_e32 vcc_lo, s[0:1], v[0:1]
	global_load_b64 v[4:5], v[8:9], off
	s_and_saveexec_b32 s0, vcc_lo
	s_cbranch_execz .LBB110_7
; %bb.6:
	global_load_b64 v[6:7], v[8:9], off offset:8
.LBB110_7:
	s_wait_alu 0xfffe
	s_or_b32 exec_lo, exec_lo, s0
	s_wait_loadcnt 0x0
	v_mov_b32_e32 v5, 0
	s_mov_b32 s1, exec_lo
	v_cmpx_lt_i32_e64 v4, v6
	s_cbranch_execz .LBB110_14
; %bb.8:
	v_ashrrev_i32_e32 v5, 31, v4
	v_lshlrev_b64_e32 v[7:8], 1, v[2:3]
	s_cmp_lg_u64 s[8:9], 0
	s_mov_b32 s3, 0
	s_cselect_b32 s2, -1, 0
	v_lshlrev_b64_e32 v[9:10], 3, v[4:5]
	v_mov_b32_e32 v5, 0
	v_add_co_u32 v13, vcc_lo, s6, v7
	s_wait_alu 0xfffd
	v_add_co_ci_u32_e64 v14, null, s7, v8, vcc_lo
	s_delay_alu instid0(VALU_DEP_4)
	v_add_co_u32 v7, vcc_lo, s4, v9
	s_wait_alu 0xfffd
	v_add_co_ci_u32_e64 v8, null, s5, v10, vcc_lo
	v_add_co_u32 v9, vcc_lo, s8, v9
	s_wait_alu 0xfffd
	v_add_co_ci_u32_e64 v10, null, s9, v10, vcc_lo
	s_branch .LBB110_11
.LBB110_9:                              ;   in Loop: Header=BB110_11 Depth=1
	global_load_b64 v[15:16], v[9:10], off
	s_wait_loadcnt 0x0
	v_xor_b32_e32 v17, v15, v16
	v_cls_i32_e32 v18, v16
	s_delay_alu instid0(VALU_DEP_2) | instskip(NEXT) | instid1(VALU_DEP_2)
	v_ashrrev_i32_e32 v17, 31, v17
	v_add_nc_u32_e32 v18, -1, v18
	s_delay_alu instid0(VALU_DEP_2) | instskip(NEXT) | instid1(VALU_DEP_1)
	v_add_nc_u32_e32 v17, 32, v17
	v_min_u32_e32 v17, v18, v17
	s_delay_alu instid0(VALU_DEP_1) | instskip(NEXT) | instid1(VALU_DEP_1)
	v_lshlrev_b64_e32 v[15:16], v17, v[15:16]
	v_min_u32_e32 v15, 1, v15
	s_delay_alu instid0(VALU_DEP_1) | instskip(SKIP_1) | instid1(VALU_DEP_2)
	v_or_b32_e32 v15, v16, v15
	v_sub_nc_u32_e32 v16, 32, v17
	v_cvt_f32_i32_e32 v15, v15
	s_delay_alu instid0(VALU_DEP_1) | instskip(NEXT) | instid1(VALU_DEP_1)
	v_ldexp_f32 v15, v15, v16
	v_div_scale_f32 v16, null, v15, v15, 1.0
	s_delay_alu instid0(VALU_DEP_1) | instskip(NEXT) | instid1(TRANS32_DEP_1)
	v_rcp_f32_e32 v17, v16
	v_fma_f32 v18, -v16, v17, 1.0
	s_delay_alu instid0(VALU_DEP_1) | instskip(SKIP_1) | instid1(VALU_DEP_1)
	v_fmac_f32_e32 v17, v18, v17
	v_div_scale_f32 v18, vcc_lo, 1.0, v15, 1.0
	v_mul_f32_e32 v19, v18, v17
	s_delay_alu instid0(VALU_DEP_1) | instskip(NEXT) | instid1(VALU_DEP_1)
	v_fma_f32 v20, -v16, v19, v18
	v_fmac_f32_e32 v19, v20, v17
	s_delay_alu instid0(VALU_DEP_1) | instskip(SKIP_1) | instid1(VALU_DEP_1)
	v_fma_f32 v16, -v16, v19, v18
	s_wait_alu 0xfffd
	v_div_fmas_f32 v16, v16, v17, v19
	s_delay_alu instid0(VALU_DEP_1)
	v_div_fixup_f32 v15, v16, v15, 1.0
.LBB110_10:                             ;   in Loop: Header=BB110_11 Depth=1
	s_wait_loadcnt 0x0
	v_mul_lo_u32 v16, v12, s12
	v_mul_lo_u32 v17, v11, s13
	v_mad_co_u64_u32 v[11:12], null, v11, s12, 0
	v_add_nc_u32_e32 v4, 1, v4
	v_add_co_u32 v9, s0, v9, 8
	s_wait_alu 0xf1ff
	v_add_co_ci_u32_e64 v10, null, 0, v10, s0
	s_delay_alu instid0(VALU_DEP_4) | instskip(NEXT) | instid1(VALU_DEP_1)
	v_add3_u32 v12, v12, v17, v16
	v_lshlrev_b64_e32 v[11:12], 1, v[11:12]
	s_delay_alu instid0(VALU_DEP_1) | instskip(SKIP_1) | instid1(VALU_DEP_2)
	v_add_co_u32 v11, vcc_lo, v13, v11
	s_wait_alu 0xfffd
	v_add_co_ci_u32_e64 v12, null, v14, v12, vcc_lo
	v_add_co_u32 v7, vcc_lo, v7, 8
	s_wait_alu 0xfffd
	v_add_co_ci_u32_e64 v8, null, 0, v8, vcc_lo
	global_load_u16 v11, v[11:12], off
	v_cmp_ge_i32_e32 vcc_lo, v4, v6
	s_or_b32 s3, vcc_lo, s3
	s_wait_loadcnt 0x0
	v_fma_mix_f32 v5, v15, v11, v5 op_sel_hi:[0,1,0]
	s_wait_alu 0xfffe
	s_and_not1_b32 exec_lo, exec_lo, s3
	s_cbranch_execz .LBB110_13
.LBB110_11:                             ; =>This Inner Loop Header: Depth=1
	global_load_b64 v[11:12], v[7:8], off
	s_wait_alu 0xfffe
	s_and_not1_b32 vcc_lo, exec_lo, s2
	s_wait_alu 0xfffe
	s_cbranch_vccz .LBB110_9
; %bb.12:                               ;   in Loop: Header=BB110_11 Depth=1
	v_mov_b32_e32 v15, 1.0
	s_branch .LBB110_10
.LBB110_13:
	s_or_b32 exec_lo, exec_lo, s3
.LBB110_14:
	s_wait_alu 0xfffe
	s_or_b32 exec_lo, exec_lo, s1
	v_mul_lo_u32 v4, v1, s12
	v_mul_lo_u32 v6, v0, s13
	v_mad_co_u64_u32 v[0:1], null, v0, s12, 0
	v_lshlrev_b64_e32 v[2:3], 2, v[2:3]
	s_delay_alu instid0(VALU_DEP_2) | instskip(NEXT) | instid1(VALU_DEP_1)
	v_add3_u32 v1, v1, v6, v4
	v_lshlrev_b64_e32 v[0:1], 2, v[0:1]
	s_delay_alu instid0(VALU_DEP_1) | instskip(SKIP_1) | instid1(VALU_DEP_2)
	v_add_co_u32 v0, vcc_lo, s18, v0
	s_wait_alu 0xfffd
	v_add_co_ci_u32_e64 v1, null, s19, v1, vcc_lo
	s_delay_alu instid0(VALU_DEP_2) | instskip(SKIP_1) | instid1(VALU_DEP_2)
	v_add_co_u32 v0, vcc_lo, v0, v2
	s_wait_alu 0xfffd
	v_add_co_ci_u32_e64 v1, null, v1, v3, vcc_lo
	global_store_b32 v[0:1], v5, off
.LBB110_15:
	s_endpgm
	.section	.rodata,"a",@progbits
	.p2align	6, 0x0
	.amdhsa_kernel _ZN2at6native12_GLOBAL__N_119compute_grad_weightIN3c104HalfElEEvPKT0_PKT_S7_llS7_PKlPNS_14AccumulateTypeIS8_Lb1EE4typeEl
		.amdhsa_group_segment_fixed_size 0
		.amdhsa_private_segment_fixed_size 0
		.amdhsa_kernarg_size 328
		.amdhsa_user_sgpr_count 2
		.amdhsa_user_sgpr_dispatch_ptr 0
		.amdhsa_user_sgpr_queue_ptr 0
		.amdhsa_user_sgpr_kernarg_segment_ptr 1
		.amdhsa_user_sgpr_dispatch_id 0
		.amdhsa_user_sgpr_private_segment_size 0
		.amdhsa_wavefront_size32 1
		.amdhsa_uses_dynamic_stack 0
		.amdhsa_enable_private_segment 0
		.amdhsa_system_sgpr_workgroup_id_x 1
		.amdhsa_system_sgpr_workgroup_id_y 0
		.amdhsa_system_sgpr_workgroup_id_z 0
		.amdhsa_system_sgpr_workgroup_info 0
		.amdhsa_system_vgpr_workitem_id 0
		.amdhsa_next_free_vgpr 21
		.amdhsa_next_free_sgpr 36
		.amdhsa_reserve_vcc 1
		.amdhsa_float_round_mode_32 0
		.amdhsa_float_round_mode_16_64 0
		.amdhsa_float_denorm_mode_32 3
		.amdhsa_float_denorm_mode_16_64 3
		.amdhsa_fp16_overflow 0
		.amdhsa_workgroup_processor_mode 1
		.amdhsa_memory_ordered 1
		.amdhsa_forward_progress 1
		.amdhsa_inst_pref_size 15
		.amdhsa_round_robin_scheduling 0
		.amdhsa_exception_fp_ieee_invalid_op 0
		.amdhsa_exception_fp_denorm_src 0
		.amdhsa_exception_fp_ieee_div_zero 0
		.amdhsa_exception_fp_ieee_overflow 0
		.amdhsa_exception_fp_ieee_underflow 0
		.amdhsa_exception_fp_ieee_inexact 0
		.amdhsa_exception_int_div_zero 0
	.end_amdhsa_kernel
	.section	.text._ZN2at6native12_GLOBAL__N_119compute_grad_weightIN3c104HalfElEEvPKT0_PKT_S7_llS7_PKlPNS_14AccumulateTypeIS8_Lb1EE4typeEl,"axG",@progbits,_ZN2at6native12_GLOBAL__N_119compute_grad_weightIN3c104HalfElEEvPKT0_PKT_S7_llS7_PKlPNS_14AccumulateTypeIS8_Lb1EE4typeEl,comdat
.Lfunc_end110:
	.size	_ZN2at6native12_GLOBAL__N_119compute_grad_weightIN3c104HalfElEEvPKT0_PKT_S7_llS7_PKlPNS_14AccumulateTypeIS8_Lb1EE4typeEl, .Lfunc_end110-_ZN2at6native12_GLOBAL__N_119compute_grad_weightIN3c104HalfElEEvPKT0_PKT_S7_llS7_PKlPNS_14AccumulateTypeIS8_Lb1EE4typeEl
                                        ; -- End function
	.set _ZN2at6native12_GLOBAL__N_119compute_grad_weightIN3c104HalfElEEvPKT0_PKT_S7_llS7_PKlPNS_14AccumulateTypeIS8_Lb1EE4typeEl.num_vgpr, 21
	.set _ZN2at6native12_GLOBAL__N_119compute_grad_weightIN3c104HalfElEEvPKT0_PKT_S7_llS7_PKlPNS_14AccumulateTypeIS8_Lb1EE4typeEl.num_agpr, 0
	.set _ZN2at6native12_GLOBAL__N_119compute_grad_weightIN3c104HalfElEEvPKT0_PKT_S7_llS7_PKlPNS_14AccumulateTypeIS8_Lb1EE4typeEl.numbered_sgpr, 36
	.set _ZN2at6native12_GLOBAL__N_119compute_grad_weightIN3c104HalfElEEvPKT0_PKT_S7_llS7_PKlPNS_14AccumulateTypeIS8_Lb1EE4typeEl.num_named_barrier, 0
	.set _ZN2at6native12_GLOBAL__N_119compute_grad_weightIN3c104HalfElEEvPKT0_PKT_S7_llS7_PKlPNS_14AccumulateTypeIS8_Lb1EE4typeEl.private_seg_size, 0
	.set _ZN2at6native12_GLOBAL__N_119compute_grad_weightIN3c104HalfElEEvPKT0_PKT_S7_llS7_PKlPNS_14AccumulateTypeIS8_Lb1EE4typeEl.uses_vcc, 1
	.set _ZN2at6native12_GLOBAL__N_119compute_grad_weightIN3c104HalfElEEvPKT0_PKT_S7_llS7_PKlPNS_14AccumulateTypeIS8_Lb1EE4typeEl.uses_flat_scratch, 0
	.set _ZN2at6native12_GLOBAL__N_119compute_grad_weightIN3c104HalfElEEvPKT0_PKT_S7_llS7_PKlPNS_14AccumulateTypeIS8_Lb1EE4typeEl.has_dyn_sized_stack, 0
	.set _ZN2at6native12_GLOBAL__N_119compute_grad_weightIN3c104HalfElEEvPKT0_PKT_S7_llS7_PKlPNS_14AccumulateTypeIS8_Lb1EE4typeEl.has_recursion, 0
	.set _ZN2at6native12_GLOBAL__N_119compute_grad_weightIN3c104HalfElEEvPKT0_PKT_S7_llS7_PKlPNS_14AccumulateTypeIS8_Lb1EE4typeEl.has_indirect_call, 0
	.section	.AMDGPU.csdata,"",@progbits
; Kernel info:
; codeLenInByte = 1796
; TotalNumSgprs: 38
; NumVgprs: 21
; ScratchSize: 0
; MemoryBound: 0
; FloatMode: 240
; IeeeMode: 1
; LDSByteSize: 0 bytes/workgroup (compile time only)
; SGPRBlocks: 0
; VGPRBlocks: 2
; NumSGPRsForWavesPerEU: 38
; NumVGPRsForWavesPerEU: 21
; Occupancy: 16
; WaveLimiterHint : 1
; COMPUTE_PGM_RSRC2:SCRATCH_EN: 0
; COMPUTE_PGM_RSRC2:USER_SGPR: 2
; COMPUTE_PGM_RSRC2:TRAP_HANDLER: 0
; COMPUTE_PGM_RSRC2:TGID_X_EN: 1
; COMPUTE_PGM_RSRC2:TGID_Y_EN: 0
; COMPUTE_PGM_RSRC2:TGID_Z_EN: 0
; COMPUTE_PGM_RSRC2:TIDIG_COMP_CNT: 0
	.section	.text._ZN2at6native12_GLOBAL__N_115sum_and_scatterIN3c104HalfElEEvPKT0_PT_lS7_PKlPKNS_14AccumulateTypeIS8_Lb1EE4typeES7_SB_ll,"axG",@progbits,_ZN2at6native12_GLOBAL__N_115sum_and_scatterIN3c104HalfElEEvPKT0_PT_lS7_PKlPKNS_14AccumulateTypeIS8_Lb1EE4typeES7_SB_ll,comdat
	.globl	_ZN2at6native12_GLOBAL__N_115sum_and_scatterIN3c104HalfElEEvPKT0_PT_lS7_PKlPKNS_14AccumulateTypeIS8_Lb1EE4typeES7_SB_ll ; -- Begin function _ZN2at6native12_GLOBAL__N_115sum_and_scatterIN3c104HalfElEEvPKT0_PT_lS7_PKlPKNS_14AccumulateTypeIS8_Lb1EE4typeES7_SB_ll
	.p2align	8
	.type	_ZN2at6native12_GLOBAL__N_115sum_and_scatterIN3c104HalfElEEvPKT0_PT_lS7_PKlPKNS_14AccumulateTypeIS8_Lb1EE4typeES7_SB_ll,@function
_ZN2at6native12_GLOBAL__N_115sum_and_scatterIN3c104HalfElEEvPKT0_PT_lS7_PKlPKNS_14AccumulateTypeIS8_Lb1EE4typeES7_SB_ll: ; @_ZN2at6native12_GLOBAL__N_115sum_and_scatterIN3c104HalfElEEvPKT0_PT_lS7_PKlPKNS_14AccumulateTypeIS8_Lb1EE4typeES7_SB_ll
; %bb.0:
	s_clause 0x2
	s_load_b32 s2, s[0:1], 0x5c
	s_load_b128 s[20:23], s[0:1], 0x40
	s_load_b512 s[4:19], s[0:1], 0x0
	v_mov_b32_e32 v1, 0
                                        ; implicit-def: $vgpr6_vgpr7
	s_delay_alu instid0(VALU_DEP_1) | instskip(SKIP_2) | instid1(SALU_CYCLE_1)
	v_mov_b32_e32 v4, v1
	s_wait_kmcnt 0x0
	s_and_b32 s0, s2, 0xffff
	v_mad_co_u64_u32 v[2:3], null, s0, ttmp9, v[0:1]
	s_mov_b32 s0, exec_lo
	v_or_b32_e32 v5, s23, v3
	s_delay_alu instid0(VALU_DEP_1)
	v_cmpx_ne_u64_e32 0, v[4:5]
	s_wait_alu 0xfffe
	s_xor_b32 s1, exec_lo, s0
	s_cbranch_execz .LBB111_2
; %bb.1:
	s_ashr_i32 s2, s23, 31
	s_mov_b32 s35, 0
	s_mov_b32 s3, s2
	v_ashrrev_i32_e32 v8, 31, v3
	s_add_nc_u64 s[24:25], s[22:23], s[2:3]
	s_delay_alu instid0(SALU_CYCLE_1) | instskip(NEXT) | instid1(VALU_DEP_1)
	s_xor_b64 s[24:25], s[24:25], s[2:3]
	v_add_co_u32 v0, vcc_lo, v2, v8
	s_cvt_f32_u32 s0, s24
	s_cvt_f32_u32 s3, s25
	s_sub_nc_u64 s[28:29], 0, s[24:25]
	v_add_co_ci_u32_e64 v1, null, v3, v8, vcc_lo
	s_wait_alu 0xfffe
	s_fmamk_f32 s0, s3, 0x4f800000, s0
	v_xor_b32_e32 v9, v0, v8
	s_delay_alu instid0(VALU_DEP_2) | instskip(SKIP_2) | instid1(TRANS32_DEP_1)
	v_xor_b32_e32 v10, v1, v8
	s_wait_alu 0xfffe
	v_s_rcp_f32 s0, s0
	s_mul_f32 s0, s0, 0x5f7ffffc
	s_wait_alu 0xfffe
	s_delay_alu instid0(SALU_CYCLE_2) | instskip(NEXT) | instid1(SALU_CYCLE_3)
	s_mul_f32 s3, s0, 0x2f800000
	s_trunc_f32 s3, s3
	s_delay_alu instid0(SALU_CYCLE_3) | instskip(SKIP_2) | instid1(SALU_CYCLE_1)
	s_fmamk_f32 s0, s3, 0xcf800000, s0
	s_cvt_u32_f32 s27, s3
	s_wait_alu 0xfffe
	s_cvt_u32_f32 s26, s0
	s_delay_alu instid0(SALU_CYCLE_3) | instskip(NEXT) | instid1(SALU_CYCLE_1)
	s_mul_u64 s[30:31], s[28:29], s[26:27]
	s_mul_hi_u32 s37, s26, s31
	s_mul_i32 s36, s26, s31
	s_mul_hi_u32 s34, s26, s30
	s_mul_i32 s3, s27, s30
	s_add_nc_u64 s[36:37], s[34:35], s[36:37]
	s_mul_hi_u32 s0, s27, s30
	s_mul_hi_u32 s33, s27, s31
	s_add_co_u32 s3, s36, s3
	s_wait_alu 0xfffe
	s_add_co_ci_u32 s34, s37, s0
	s_mul_i32 s30, s27, s31
	s_add_co_ci_u32 s31, s33, 0
	s_delay_alu instid0(SALU_CYCLE_1) | instskip(NEXT) | instid1(SALU_CYCLE_1)
	s_add_nc_u64 s[30:31], s[34:35], s[30:31]
	s_add_co_u32 s26, s26, s30
	s_cselect_b32 s0, -1, 0
	s_wait_alu 0xfffe
	s_cmp_lg_u32 s0, 0
	s_add_co_ci_u32 s27, s27, s31
	s_delay_alu instid0(SALU_CYCLE_1) | instskip(NEXT) | instid1(SALU_CYCLE_1)
	s_mul_u64 s[28:29], s[28:29], s[26:27]
	s_mul_hi_u32 s31, s26, s29
	s_mul_i32 s30, s26, s29
	s_mul_hi_u32 s34, s26, s28
	s_mul_i32 s3, s27, s28
	s_add_nc_u64 s[30:31], s[34:35], s[30:31]
	s_mul_hi_u32 s0, s27, s28
	s_mul_hi_u32 s33, s27, s29
	s_add_co_u32 s3, s30, s3
	s_wait_alu 0xfffe
	s_add_co_ci_u32 s34, s31, s0
	s_mul_i32 s28, s27, s29
	s_add_co_ci_u32 s29, s33, 0
	s_delay_alu instid0(SALU_CYCLE_1) | instskip(NEXT) | instid1(SALU_CYCLE_1)
	s_add_nc_u64 s[28:29], s[34:35], s[28:29]
	s_add_co_u32 s0, s26, s28
	s_cselect_b32 s3, -1, 0
	s_wait_alu 0xfffe
	v_mul_hi_u32 v11, v9, s0
	s_cmp_lg_u32 s3, 0
	v_mad_co_u64_u32 v[4:5], null, v10, s0, 0
	s_add_co_ci_u32 s3, s27, s29
	s_delay_alu instid0(SALU_CYCLE_1) | instskip(SKIP_1) | instid1(VALU_DEP_2)
	v_mad_co_u64_u32 v[0:1], null, v9, s3, 0
	v_mad_co_u64_u32 v[6:7], null, v10, s3, 0
	v_add_co_u32 v0, vcc_lo, v11, v0
	s_wait_alu 0xfffd
	s_delay_alu instid0(VALU_DEP_3) | instskip(NEXT) | instid1(VALU_DEP_2)
	v_add_co_ci_u32_e64 v1, null, 0, v1, vcc_lo
	v_add_co_u32 v0, vcc_lo, v0, v4
	s_wait_alu 0xfffd
	s_delay_alu instid0(VALU_DEP_2) | instskip(SKIP_2) | instid1(VALU_DEP_2)
	v_add_co_ci_u32_e32 v0, vcc_lo, v1, v5, vcc_lo
	s_wait_alu 0xfffd
	v_add_co_ci_u32_e32 v1, vcc_lo, 0, v7, vcc_lo
	v_add_co_u32 v4, vcc_lo, v0, v6
	s_wait_alu 0xfffd
	s_delay_alu instid0(VALU_DEP_2) | instskip(NEXT) | instid1(VALU_DEP_2)
	v_add_co_ci_u32_e64 v5, null, 0, v1, vcc_lo
	v_mul_lo_u32 v6, s25, v4
	v_mad_co_u64_u32 v[0:1], null, s24, v4, 0
	s_delay_alu instid0(VALU_DEP_3) | instskip(NEXT) | instid1(VALU_DEP_2)
	v_mul_lo_u32 v7, s24, v5
	v_sub_co_u32 v0, vcc_lo, v9, v0
	s_delay_alu instid0(VALU_DEP_2) | instskip(SKIP_3) | instid1(VALU_DEP_3)
	v_add3_u32 v1, v1, v7, v6
	v_add_co_u32 v7, s0, v4, 2
	s_wait_alu 0xf1ff
	v_add_co_ci_u32_e64 v9, null, 0, v5, s0
	v_sub_nc_u32_e32 v6, v10, v1
	v_sub_co_u32 v11, s0, v0, s24
	s_wait_alu 0xfffd
	v_sub_co_ci_u32_e64 v1, null, v10, v1, vcc_lo
	s_delay_alu instid0(VALU_DEP_3) | instskip(NEXT) | instid1(VALU_DEP_3)
	v_subrev_co_ci_u32_e64 v6, null, s25, v6, vcc_lo
	v_cmp_le_u32_e32 vcc_lo, s24, v11
	s_wait_alu 0xf1ff
	s_delay_alu instid0(VALU_DEP_2) | instskip(SKIP_2) | instid1(VALU_DEP_2)
	v_subrev_co_ci_u32_e64 v6, null, 0, v6, s0
	s_wait_alu 0xfffd
	v_cndmask_b32_e64 v10, 0, -1, vcc_lo
	v_cmp_le_u32_e32 vcc_lo, s25, v6
	s_wait_alu 0xfffd
	v_cndmask_b32_e64 v11, 0, -1, vcc_lo
	v_cmp_le_u32_e32 vcc_lo, s24, v0
	;; [unrolled: 3-line block ×3, first 2 shown]
	s_wait_alu 0xfffd
	v_cndmask_b32_e64 v12, 0, -1, vcc_lo
	v_cmp_eq_u32_e32 vcc_lo, s25, v6
	s_wait_alu 0xfffd
	v_cndmask_b32_e32 v6, v11, v10, vcc_lo
	v_add_co_u32 v10, vcc_lo, v4, 1
	s_wait_alu 0xfffd
	v_add_co_ci_u32_e64 v11, null, 0, v5, vcc_lo
	v_cmp_eq_u32_e32 vcc_lo, s25, v1
	s_wait_alu 0xfffd
	v_cndmask_b32_e32 v0, v12, v0, vcc_lo
	v_cmp_ne_u32_e32 vcc_lo, 0, v6
	s_wait_alu 0xfffd
	v_cndmask_b32_e32 v1, v11, v9, vcc_lo
	s_delay_alu instid0(VALU_DEP_3) | instskip(SKIP_3) | instid1(VALU_DEP_3)
	v_cmp_ne_u32_e64 s0, 0, v0
	v_cndmask_b32_e32 v0, v10, v7, vcc_lo
	v_xor_b32_e32 v7, s2, v8
	s_wait_alu 0xf1ff
	v_cndmask_b32_e64 v1, v5, v1, s0
	s_delay_alu instid0(VALU_DEP_3) | instskip(NEXT) | instid1(VALU_DEP_2)
	v_cndmask_b32_e64 v0, v4, v0, s0
	v_xor_b32_e32 v1, v1, v7
	s_delay_alu instid0(VALU_DEP_2) | instskip(NEXT) | instid1(VALU_DEP_1)
	v_xor_b32_e32 v0, v0, v7
	v_sub_co_u32 v6, vcc_lo, v0, v7
	s_wait_alu 0xfffd
	s_delay_alu instid0(VALU_DEP_3)
	v_sub_co_ci_u32_e64 v7, null, v1, v7, vcc_lo
.LBB111_2:
	s_wait_alu 0xfffe
	s_or_saveexec_b32 s0, s1
	s_load_b64 s[2:3], s[12:13], 0x0
	s_xor_b32 exec_lo, exec_lo, s0
	s_cbranch_execz .LBB111_4
; %bb.3:
	v_cvt_f32_u32_e32 v0, s22
	s_sub_co_i32 s1, 0, s22
	v_mov_b32_e32 v7, 0
	s_delay_alu instid0(VALU_DEP_2) | instskip(NEXT) | instid1(TRANS32_DEP_1)
	v_rcp_iflag_f32_e32 v0, v0
	v_mul_f32_e32 v0, 0x4f7ffffe, v0
	s_delay_alu instid0(VALU_DEP_1) | instskip(SKIP_1) | instid1(VALU_DEP_1)
	v_cvt_u32_f32_e32 v0, v0
	s_wait_alu 0xfffe
	v_mul_lo_u32 v1, s1, v0
	s_delay_alu instid0(VALU_DEP_1) | instskip(NEXT) | instid1(VALU_DEP_1)
	v_mul_hi_u32 v1, v0, v1
	v_add_nc_u32_e32 v0, v0, v1
	s_delay_alu instid0(VALU_DEP_1) | instskip(NEXT) | instid1(VALU_DEP_1)
	v_mul_hi_u32 v0, v2, v0
	v_mul_lo_u32 v1, v0, s22
	v_add_nc_u32_e32 v4, 1, v0
	s_delay_alu instid0(VALU_DEP_2) | instskip(NEXT) | instid1(VALU_DEP_1)
	v_sub_nc_u32_e32 v1, v2, v1
	v_subrev_nc_u32_e32 v5, s22, v1
	v_cmp_le_u32_e32 vcc_lo, s22, v1
	s_wait_alu 0xfffd
	s_delay_alu instid0(VALU_DEP_2) | instskip(NEXT) | instid1(VALU_DEP_1)
	v_dual_cndmask_b32 v1, v1, v5 :: v_dual_cndmask_b32 v0, v0, v4
	v_cmp_le_u32_e32 vcc_lo, s22, v1
	s_delay_alu instid0(VALU_DEP_2) | instskip(SKIP_1) | instid1(VALU_DEP_1)
	v_add_nc_u32_e32 v4, 1, v0
	s_wait_alu 0xfffd
	v_cndmask_b32_e32 v6, v0, v4, vcc_lo
.LBB111_4:
	s_or_b32 exec_lo, exec_lo, s0
	v_mul_lo_u32 v0, v7, s22
	s_delay_alu instid0(VALU_DEP_2) | instskip(SKIP_3) | instid1(VALU_DEP_2)
	v_mul_lo_u32 v1, v6, s23
	v_mad_co_u64_u32 v[8:9], null, v6, s22, 0
	s_wait_kmcnt 0x0
	v_cmp_gt_i64_e64 s0, s[2:3], v[6:7]
	v_add3_u32 v9, v9, v1, v0
	s_delay_alu instid0(VALU_DEP_3) | instskip(SKIP_1) | instid1(VALU_DEP_2)
	v_sub_co_u32 v0, vcc_lo, v2, v8
	s_wait_alu 0xfffd
	v_sub_co_ci_u32_e64 v1, null, v3, v9, vcc_lo
	s_delay_alu instid0(VALU_DEP_1)
	v_cmp_gt_i64_e32 vcc_lo, s[8:9], v[0:1]
	s_and_b32 s0, vcc_lo, s0
	s_wait_alu 0xfffe
	s_and_saveexec_b32 s1, s0
	s_cbranch_execz .LBB111_11
; %bb.5:
	v_lshlrev_b64_e32 v[4:5], 3, v[6:7]
	s_add_nc_u64 s[0:1], s[2:3], -1
	s_delay_alu instid0(VALU_DEP_1) | instskip(SKIP_1) | instid1(VALU_DEP_2)
	v_add_co_u32 v10, vcc_lo, s16, v4
	s_wait_alu 0xfffd
	v_add_co_ci_u32_e64 v11, null, s17, v5, vcc_lo
	s_delay_alu instid0(VALU_DEP_2) | instskip(SKIP_1) | instid1(VALU_DEP_2)
	v_add_co_u32 v12, vcc_lo, v10, 8
	s_wait_alu 0xfffd
	v_add_co_ci_u32_e64 v13, null, 0, v11, vcc_lo
	s_wait_alu 0xfffe
	v_cmp_eq_u64_e32 vcc_lo, s[0:1], v[6:7]
	s_mov_b32 s1, exec_lo
	s_wait_alu 0xfffd
	v_cndmask_b32_e64 v13, v13, s19, vcc_lo
	v_cndmask_b32_e64 v12, v12, s18, vcc_lo
	global_load_b32 v6, v[10:11], off
	global_load_b32 v7, v[12:13], off
	v_mov_b32_e32 v10, 0
	s_wait_loadcnt 0x0
	v_cmpx_lt_i32_e64 v6, v7
	s_cbranch_execz .LBB111_9
; %bb.6:
	v_ashrrev_i32_e32 v12, 31, v6
	v_mul_lo_u32 v13, s9, v6
	v_mad_co_u64_u32 v[10:11], null, s8, v6, 0
	v_lshlrev_b64_e32 v[2:3], 2, v[2:3]
	s_delay_alu instid0(VALU_DEP_4) | instskip(SKIP_3) | instid1(VALU_DEP_2)
	v_mul_lo_u32 v12, s8, v12
	v_lshlrev_b64_e32 v[8:9], 2, v[8:9]
	s_lshl_b64 s[2:3], s[8:9], 2
	s_mov_b32 s12, 0
	v_add3_u32 v11, v11, v12, v13
	s_delay_alu instid0(VALU_DEP_1) | instskip(NEXT) | instid1(VALU_DEP_1)
	v_lshlrev_b64_e32 v[10:11], 2, v[10:11]
	v_add_co_u32 v2, vcc_lo, v10, v2
	s_wait_alu 0xfffd
	s_delay_alu instid0(VALU_DEP_2) | instskip(NEXT) | instid1(VALU_DEP_2)
	v_add_co_ci_u32_e64 v3, null, v11, v3, vcc_lo
	v_sub_co_u32 v2, vcc_lo, v2, v8
	s_wait_alu 0xfffd
	s_delay_alu instid0(VALU_DEP_2) | instskip(SKIP_1) | instid1(VALU_DEP_3)
	v_sub_co_ci_u32_e64 v3, null, v3, v9, vcc_lo
	v_mov_b32_e32 v8, 0
	v_add_co_u32 v2, vcc_lo, s14, v2
	s_wait_alu 0xfffd
	s_delay_alu instid0(VALU_DEP_3)
	v_add_co_ci_u32_e64 v3, null, s15, v3, vcc_lo
.LBB111_7:                              ; =>This Inner Loop Header: Depth=1
	global_load_b32 v9, v[2:3], off
	v_add_nc_u32_e32 v6, 1, v6
	s_wait_alu 0xfffe
	v_add_co_u32 v2, vcc_lo, v2, s2
	s_wait_alu 0xfffd
	v_add_co_ci_u32_e64 v3, null, s3, v3, vcc_lo
	v_cmp_ge_i32_e64 s0, v6, v7
	s_or_b32 s12, s0, s12
	s_wait_loadcnt 0x0
	v_add_f32_e32 v8, v8, v9
	s_and_not1_b32 exec_lo, exec_lo, s12
	s_cbranch_execnz .LBB111_7
; %bb.8:
	s_or_b32 exec_lo, exec_lo, s12
	s_delay_alu instid0(VALU_DEP_1)
	v_cvt_f16_f32_e32 v10, v8
.LBB111_9:
	s_wait_alu 0xfffe
	s_or_b32 exec_lo, exec_lo, s1
	v_add_co_u32 v2, vcc_lo, s10, v4
	s_wait_alu 0xfffd
	v_add_co_ci_u32_e64 v3, null, s11, v5, vcc_lo
	global_load_b64 v[2:3], v[2:3], off
	s_wait_loadcnt 0x0
	v_lshlrev_b64_e32 v[2:3], 3, v[2:3]
	s_delay_alu instid0(VALU_DEP_1) | instskip(SKIP_1) | instid1(VALU_DEP_2)
	v_add_co_u32 v2, vcc_lo, s4, v2
	s_wait_alu 0xfffd
	v_add_co_ci_u32_e64 v3, null, s5, v3, vcc_lo
	global_load_b64 v[2:3], v[2:3], off
	s_wait_loadcnt 0x0
	v_cmp_ne_u64_e32 vcc_lo, s[20:21], v[2:3]
	s_and_b32 exec_lo, exec_lo, vcc_lo
	s_cbranch_execz .LBB111_11
; %bb.10:
	v_mul_lo_u32 v4, v3, s8
	v_mul_lo_u32 v5, v2, s9
	v_mad_co_u64_u32 v[2:3], null, v2, s8, 0
	v_lshlrev_b64_e32 v[0:1], 1, v[0:1]
	s_delay_alu instid0(VALU_DEP_2) | instskip(NEXT) | instid1(VALU_DEP_1)
	v_add3_u32 v3, v3, v5, v4
	v_lshlrev_b64_e32 v[2:3], 1, v[2:3]
	s_delay_alu instid0(VALU_DEP_1) | instskip(SKIP_1) | instid1(VALU_DEP_2)
	v_add_co_u32 v2, vcc_lo, s6, v2
	s_wait_alu 0xfffd
	v_add_co_ci_u32_e64 v3, null, s7, v3, vcc_lo
	s_delay_alu instid0(VALU_DEP_2) | instskip(SKIP_1) | instid1(VALU_DEP_2)
	v_add_co_u32 v0, vcc_lo, v2, v0
	s_wait_alu 0xfffd
	v_add_co_ci_u32_e64 v1, null, v3, v1, vcc_lo
	global_store_b16 v[0:1], v10, off
.LBB111_11:
	s_endpgm
	.section	.rodata,"a",@progbits
	.p2align	6, 0x0
	.amdhsa_kernel _ZN2at6native12_GLOBAL__N_115sum_and_scatterIN3c104HalfElEEvPKT0_PT_lS7_PKlPKNS_14AccumulateTypeIS8_Lb1EE4typeES7_SB_ll
		.amdhsa_group_segment_fixed_size 0
		.amdhsa_private_segment_fixed_size 0
		.amdhsa_kernarg_size 336
		.amdhsa_user_sgpr_count 2
		.amdhsa_user_sgpr_dispatch_ptr 0
		.amdhsa_user_sgpr_queue_ptr 0
		.amdhsa_user_sgpr_kernarg_segment_ptr 1
		.amdhsa_user_sgpr_dispatch_id 0
		.amdhsa_user_sgpr_private_segment_size 0
		.amdhsa_wavefront_size32 1
		.amdhsa_uses_dynamic_stack 0
		.amdhsa_enable_private_segment 0
		.amdhsa_system_sgpr_workgroup_id_x 1
		.amdhsa_system_sgpr_workgroup_id_y 0
		.amdhsa_system_sgpr_workgroup_id_z 0
		.amdhsa_system_sgpr_workgroup_info 0
		.amdhsa_system_vgpr_workitem_id 0
		.amdhsa_next_free_vgpr 14
		.amdhsa_next_free_sgpr 38
		.amdhsa_reserve_vcc 1
		.amdhsa_float_round_mode_32 0
		.amdhsa_float_round_mode_16_64 0
		.amdhsa_float_denorm_mode_32 3
		.amdhsa_float_denorm_mode_16_64 3
		.amdhsa_fp16_overflow 0
		.amdhsa_workgroup_processor_mode 1
		.amdhsa_memory_ordered 1
		.amdhsa_forward_progress 1
		.amdhsa_inst_pref_size 13
		.amdhsa_round_robin_scheduling 0
		.amdhsa_exception_fp_ieee_invalid_op 0
		.amdhsa_exception_fp_denorm_src 0
		.amdhsa_exception_fp_ieee_div_zero 0
		.amdhsa_exception_fp_ieee_overflow 0
		.amdhsa_exception_fp_ieee_underflow 0
		.amdhsa_exception_fp_ieee_inexact 0
		.amdhsa_exception_int_div_zero 0
	.end_amdhsa_kernel
	.section	.text._ZN2at6native12_GLOBAL__N_115sum_and_scatterIN3c104HalfElEEvPKT0_PT_lS7_PKlPKNS_14AccumulateTypeIS8_Lb1EE4typeES7_SB_ll,"axG",@progbits,_ZN2at6native12_GLOBAL__N_115sum_and_scatterIN3c104HalfElEEvPKT0_PT_lS7_PKlPKNS_14AccumulateTypeIS8_Lb1EE4typeES7_SB_ll,comdat
.Lfunc_end111:
	.size	_ZN2at6native12_GLOBAL__N_115sum_and_scatterIN3c104HalfElEEvPKT0_PT_lS7_PKlPKNS_14AccumulateTypeIS8_Lb1EE4typeES7_SB_ll, .Lfunc_end111-_ZN2at6native12_GLOBAL__N_115sum_and_scatterIN3c104HalfElEEvPKT0_PT_lS7_PKlPKNS_14AccumulateTypeIS8_Lb1EE4typeES7_SB_ll
                                        ; -- End function
	.set _ZN2at6native12_GLOBAL__N_115sum_and_scatterIN3c104HalfElEEvPKT0_PT_lS7_PKlPKNS_14AccumulateTypeIS8_Lb1EE4typeES7_SB_ll.num_vgpr, 14
	.set _ZN2at6native12_GLOBAL__N_115sum_and_scatterIN3c104HalfElEEvPKT0_PT_lS7_PKlPKNS_14AccumulateTypeIS8_Lb1EE4typeES7_SB_ll.num_agpr, 0
	.set _ZN2at6native12_GLOBAL__N_115sum_and_scatterIN3c104HalfElEEvPKT0_PT_lS7_PKlPKNS_14AccumulateTypeIS8_Lb1EE4typeES7_SB_ll.numbered_sgpr, 38
	.set _ZN2at6native12_GLOBAL__N_115sum_and_scatterIN3c104HalfElEEvPKT0_PT_lS7_PKlPKNS_14AccumulateTypeIS8_Lb1EE4typeES7_SB_ll.num_named_barrier, 0
	.set _ZN2at6native12_GLOBAL__N_115sum_and_scatterIN3c104HalfElEEvPKT0_PT_lS7_PKlPKNS_14AccumulateTypeIS8_Lb1EE4typeES7_SB_ll.private_seg_size, 0
	.set _ZN2at6native12_GLOBAL__N_115sum_and_scatterIN3c104HalfElEEvPKT0_PT_lS7_PKlPKNS_14AccumulateTypeIS8_Lb1EE4typeES7_SB_ll.uses_vcc, 1
	.set _ZN2at6native12_GLOBAL__N_115sum_and_scatterIN3c104HalfElEEvPKT0_PT_lS7_PKlPKNS_14AccumulateTypeIS8_Lb1EE4typeES7_SB_ll.uses_flat_scratch, 0
	.set _ZN2at6native12_GLOBAL__N_115sum_and_scatterIN3c104HalfElEEvPKT0_PT_lS7_PKlPKNS_14AccumulateTypeIS8_Lb1EE4typeES7_SB_ll.has_dyn_sized_stack, 0
	.set _ZN2at6native12_GLOBAL__N_115sum_and_scatterIN3c104HalfElEEvPKT0_PT_lS7_PKlPKNS_14AccumulateTypeIS8_Lb1EE4typeES7_SB_ll.has_recursion, 0
	.set _ZN2at6native12_GLOBAL__N_115sum_and_scatterIN3c104HalfElEEvPKT0_PT_lS7_PKlPKNS_14AccumulateTypeIS8_Lb1EE4typeES7_SB_ll.has_indirect_call, 0
	.section	.AMDGPU.csdata,"",@progbits
; Kernel info:
; codeLenInByte = 1656
; TotalNumSgprs: 40
; NumVgprs: 14
; ScratchSize: 0
; MemoryBound: 0
; FloatMode: 240
; IeeeMode: 1
; LDSByteSize: 0 bytes/workgroup (compile time only)
; SGPRBlocks: 0
; VGPRBlocks: 1
; NumSGPRsForWavesPerEU: 40
; NumVGPRsForWavesPerEU: 14
; Occupancy: 16
; WaveLimiterHint : 1
; COMPUTE_PGM_RSRC2:SCRATCH_EN: 0
; COMPUTE_PGM_RSRC2:USER_SGPR: 2
; COMPUTE_PGM_RSRC2:TRAP_HANDLER: 0
; COMPUTE_PGM_RSRC2:TGID_X_EN: 1
; COMPUTE_PGM_RSRC2:TGID_Y_EN: 0
; COMPUTE_PGM_RSRC2:TGID_Z_EN: 0
; COMPUTE_PGM_RSRC2:TIDIG_COMP_CNT: 0
	.section	.text._ZN2at6native12_GLOBAL__N_137compute_grad_weight_atomic_accumulateIN3c108BFloat16EflEEvPKT1_PKT_S7_llS7_PKlS7_S7_S7_PT0_ll,"axG",@progbits,_ZN2at6native12_GLOBAL__N_137compute_grad_weight_atomic_accumulateIN3c108BFloat16EflEEvPKT1_PKT_S7_llS7_PKlS7_S7_S7_PT0_ll,comdat
	.globl	_ZN2at6native12_GLOBAL__N_137compute_grad_weight_atomic_accumulateIN3c108BFloat16EflEEvPKT1_PKT_S7_llS7_PKlS7_S7_S7_PT0_ll ; -- Begin function _ZN2at6native12_GLOBAL__N_137compute_grad_weight_atomic_accumulateIN3c108BFloat16EflEEvPKT1_PKT_S7_llS7_PKlS7_S7_S7_PT0_ll
	.p2align	8
	.type	_ZN2at6native12_GLOBAL__N_137compute_grad_weight_atomic_accumulateIN3c108BFloat16EflEEvPKT1_PKT_S7_llS7_PKlS7_S7_S7_PT0_ll,@function
_ZN2at6native12_GLOBAL__N_137compute_grad_weight_atomic_accumulateIN3c108BFloat16EflEEvPKT1_PKT_S7_llS7_PKlS7_S7_S7_PT0_ll: ; @_ZN2at6native12_GLOBAL__N_137compute_grad_weight_atomic_accumulateIN3c108BFloat16EflEEvPKT1_PKT_S7_llS7_PKlS7_S7_S7_PT0_ll
; %bb.0:
	s_clause 0x1
	s_load_b32 s2, s[0:1], 0x74
	s_load_b64 s[20:21], s[0:1], 0x60
	v_mov_b32_e32 v2, 0
                                        ; implicit-def: $vgpr8_vgpr9
	s_wait_kmcnt 0x0
	s_and_b32 s2, s2, 0xffff
	s_delay_alu instid0(SALU_CYCLE_1) | instskip(SKIP_2) | instid1(VALU_DEP_1)
	v_mad_co_u64_u32 v[0:1], null, ttmp9, s2, v[0:1]
	s_mov_b32 s2, exec_lo
	v_ashrrev_i32_e32 v1, 31, v0
	v_or_b32_e32 v3, s21, v1
	s_delay_alu instid0(VALU_DEP_1)
	v_cmpx_ne_u64_e32 0, v[2:3]
	s_wait_alu 0xfffe
	s_xor_b32 s3, exec_lo, s2
	s_cbranch_execz .LBB112_2
; %bb.1:
	s_ashr_i32 s4, s21, 31
	s_mov_b32 s15, 0
	s_mov_b32 s5, s4
	v_ashrrev_i32_e32 v8, 31, v1
	s_add_nc_u64 s[6:7], s[20:21], s[4:5]
	s_delay_alu instid0(SALU_CYCLE_1) | instskip(NEXT) | instid1(VALU_DEP_1)
	s_xor_b64 s[6:7], s[6:7], s[4:5]
	v_add_co_u32 v2, vcc_lo, v0, v8
	s_cvt_f32_u32 s2, s6
	s_cvt_f32_u32 s5, s7
	s_sub_nc_u64 s[10:11], 0, s[6:7]
	v_add_co_ci_u32_e64 v3, null, v1, v8, vcc_lo
	s_wait_alu 0xfffe
	s_fmamk_f32 s2, s5, 0x4f800000, s2
	v_xor_b32_e32 v9, v2, v8
	s_delay_alu instid0(VALU_DEP_2) | instskip(SKIP_2) | instid1(TRANS32_DEP_1)
	v_xor_b32_e32 v10, v3, v8
	s_wait_alu 0xfffe
	v_s_rcp_f32 s2, s2
	s_mul_f32 s2, s2, 0x5f7ffffc
	s_wait_alu 0xfffe
	s_delay_alu instid0(SALU_CYCLE_2) | instskip(NEXT) | instid1(SALU_CYCLE_3)
	s_mul_f32 s5, s2, 0x2f800000
	s_trunc_f32 s5, s5
	s_delay_alu instid0(SALU_CYCLE_3) | instskip(SKIP_2) | instid1(SALU_CYCLE_1)
	s_fmamk_f32 s2, s5, 0xcf800000, s2
	s_cvt_u32_f32 s9, s5
	s_wait_alu 0xfffe
	s_cvt_u32_f32 s8, s2
	s_delay_alu instid0(SALU_CYCLE_3) | instskip(NEXT) | instid1(SALU_CYCLE_1)
	s_mul_u64 s[12:13], s[10:11], s[8:9]
	s_mul_hi_u32 s17, s8, s13
	s_mul_i32 s16, s8, s13
	s_mul_hi_u32 s14, s8, s12
	s_mul_i32 s5, s9, s12
	s_add_nc_u64 s[16:17], s[14:15], s[16:17]
	s_mul_hi_u32 s2, s9, s12
	s_mul_hi_u32 s18, s9, s13
	s_add_co_u32 s5, s16, s5
	s_wait_alu 0xfffe
	s_add_co_ci_u32 s14, s17, s2
	s_mul_i32 s12, s9, s13
	s_add_co_ci_u32 s13, s18, 0
	s_delay_alu instid0(SALU_CYCLE_1) | instskip(NEXT) | instid1(SALU_CYCLE_1)
	s_add_nc_u64 s[12:13], s[14:15], s[12:13]
	s_add_co_u32 s8, s8, s12
	s_cselect_b32 s2, -1, 0
	s_wait_alu 0xfffe
	s_cmp_lg_u32 s2, 0
	s_add_co_ci_u32 s9, s9, s13
	s_delay_alu instid0(SALU_CYCLE_1) | instskip(NEXT) | instid1(SALU_CYCLE_1)
	s_mul_u64 s[10:11], s[10:11], s[8:9]
	s_mul_hi_u32 s13, s8, s11
	s_mul_i32 s12, s8, s11
	s_mul_hi_u32 s14, s8, s10
	s_mul_i32 s5, s9, s10
	s_add_nc_u64 s[12:13], s[14:15], s[12:13]
	s_mul_hi_u32 s2, s9, s10
	s_mul_hi_u32 s16, s9, s11
	s_add_co_u32 s5, s12, s5
	s_wait_alu 0xfffe
	s_add_co_ci_u32 s14, s13, s2
	s_mul_i32 s10, s9, s11
	s_add_co_ci_u32 s11, s16, 0
	s_delay_alu instid0(SALU_CYCLE_1) | instskip(NEXT) | instid1(SALU_CYCLE_1)
	s_add_nc_u64 s[10:11], s[14:15], s[10:11]
	s_add_co_u32 s2, s8, s10
	s_cselect_b32 s5, -1, 0
	s_wait_alu 0xfffe
	v_mul_hi_u32 v11, v9, s2
	s_cmp_lg_u32 s5, 0
	v_mad_co_u64_u32 v[4:5], null, v10, s2, 0
	s_add_co_ci_u32 s5, s9, s11
	s_delay_alu instid0(SALU_CYCLE_1) | instskip(SKIP_1) | instid1(VALU_DEP_2)
	v_mad_co_u64_u32 v[2:3], null, v9, s5, 0
	v_mad_co_u64_u32 v[6:7], null, v10, s5, 0
	v_add_co_u32 v2, vcc_lo, v11, v2
	s_wait_alu 0xfffd
	s_delay_alu instid0(VALU_DEP_3) | instskip(NEXT) | instid1(VALU_DEP_2)
	v_add_co_ci_u32_e64 v3, null, 0, v3, vcc_lo
	v_add_co_u32 v2, vcc_lo, v2, v4
	s_wait_alu 0xfffd
	s_delay_alu instid0(VALU_DEP_2) | instskip(SKIP_2) | instid1(VALU_DEP_2)
	v_add_co_ci_u32_e32 v2, vcc_lo, v3, v5, vcc_lo
	s_wait_alu 0xfffd
	v_add_co_ci_u32_e32 v3, vcc_lo, 0, v7, vcc_lo
	v_add_co_u32 v4, vcc_lo, v2, v6
	s_wait_alu 0xfffd
	s_delay_alu instid0(VALU_DEP_2) | instskip(NEXT) | instid1(VALU_DEP_2)
	v_add_co_ci_u32_e64 v5, null, 0, v3, vcc_lo
	v_mul_lo_u32 v6, s7, v4
	v_mad_co_u64_u32 v[2:3], null, s6, v4, 0
	s_delay_alu instid0(VALU_DEP_3) | instskip(NEXT) | instid1(VALU_DEP_2)
	v_mul_lo_u32 v7, s6, v5
	v_sub_co_u32 v2, vcc_lo, v9, v2
	s_delay_alu instid0(VALU_DEP_2) | instskip(SKIP_3) | instid1(VALU_DEP_3)
	v_add3_u32 v3, v3, v7, v6
	v_add_co_u32 v7, s2, v4, 2
	s_wait_alu 0xf1ff
	v_add_co_ci_u32_e64 v9, null, 0, v5, s2
	v_sub_nc_u32_e32 v6, v10, v3
	v_sub_co_u32 v11, s2, v2, s6
	s_wait_alu 0xfffd
	v_sub_co_ci_u32_e64 v3, null, v10, v3, vcc_lo
	s_delay_alu instid0(VALU_DEP_3) | instskip(NEXT) | instid1(VALU_DEP_3)
	v_subrev_co_ci_u32_e64 v6, null, s7, v6, vcc_lo
	v_cmp_le_u32_e32 vcc_lo, s6, v11
	s_wait_alu 0xf1ff
	s_delay_alu instid0(VALU_DEP_2) | instskip(SKIP_2) | instid1(VALU_DEP_2)
	v_subrev_co_ci_u32_e64 v6, null, 0, v6, s2
	s_wait_alu 0xfffd
	v_cndmask_b32_e64 v10, 0, -1, vcc_lo
	v_cmp_le_u32_e32 vcc_lo, s7, v6
	s_wait_alu 0xfffd
	v_cndmask_b32_e64 v11, 0, -1, vcc_lo
	v_cmp_le_u32_e32 vcc_lo, s6, v2
	;; [unrolled: 3-line block ×3, first 2 shown]
	s_wait_alu 0xfffd
	v_cndmask_b32_e64 v12, 0, -1, vcc_lo
	v_cmp_eq_u32_e32 vcc_lo, s7, v6
	s_wait_alu 0xfffd
	v_cndmask_b32_e32 v6, v11, v10, vcc_lo
	v_add_co_u32 v10, vcc_lo, v4, 1
	s_wait_alu 0xfffd
	v_add_co_ci_u32_e64 v11, null, 0, v5, vcc_lo
	v_cmp_eq_u32_e32 vcc_lo, s7, v3
	s_wait_alu 0xfffd
	v_cndmask_b32_e32 v2, v12, v2, vcc_lo
	v_cmp_ne_u32_e32 vcc_lo, 0, v6
	v_xor_b32_e32 v6, s4, v8
	s_wait_alu 0xfffd
	v_cndmask_b32_e32 v3, v11, v9, vcc_lo
	v_cmp_ne_u32_e64 s2, 0, v2
	v_cndmask_b32_e32 v2, v10, v7, vcc_lo
	s_wait_alu 0xf1ff
	s_delay_alu instid0(VALU_DEP_2) | instskip(NEXT) | instid1(VALU_DEP_2)
	v_cndmask_b32_e64 v3, v5, v3, s2
	v_cndmask_b32_e64 v2, v4, v2, s2
	s_delay_alu instid0(VALU_DEP_2) | instskip(NEXT) | instid1(VALU_DEP_2)
	v_xor_b32_e32 v3, v3, v6
	v_xor_b32_e32 v2, v2, v6
	s_delay_alu instid0(VALU_DEP_1) | instskip(SKIP_1) | instid1(VALU_DEP_3)
	v_sub_co_u32 v8, vcc_lo, v2, v6
	s_wait_alu 0xfffd
	v_sub_co_ci_u32_e64 v9, null, v3, v6, vcc_lo
.LBB112_2:
	s_wait_alu 0xfffe
	s_or_saveexec_b32 s2, s3
	s_load_b512 s[4:19], s[0:1], 0x0
	s_xor_b32 exec_lo, exec_lo, s2
	s_cbranch_execz .LBB112_4
; %bb.3:
	v_cvt_f32_u32_e32 v2, s20
	s_sub_co_i32 s3, 0, s20
	v_mov_b32_e32 v9, 0
	s_delay_alu instid0(VALU_DEP_2) | instskip(NEXT) | instid1(TRANS32_DEP_1)
	v_rcp_iflag_f32_e32 v2, v2
	v_mul_f32_e32 v2, 0x4f7ffffe, v2
	s_delay_alu instid0(VALU_DEP_1) | instskip(SKIP_1) | instid1(VALU_DEP_1)
	v_cvt_u32_f32_e32 v2, v2
	s_wait_alu 0xfffe
	v_mul_lo_u32 v3, s3, v2
	s_delay_alu instid0(VALU_DEP_1) | instskip(NEXT) | instid1(VALU_DEP_1)
	v_mul_hi_u32 v3, v2, v3
	v_add_nc_u32_e32 v2, v2, v3
	s_delay_alu instid0(VALU_DEP_1) | instskip(NEXT) | instid1(VALU_DEP_1)
	v_mul_hi_u32 v2, v0, v2
	v_mul_lo_u32 v3, v2, s20
	v_add_nc_u32_e32 v4, 1, v2
	s_delay_alu instid0(VALU_DEP_2) | instskip(NEXT) | instid1(VALU_DEP_1)
	v_sub_nc_u32_e32 v3, v0, v3
	v_subrev_nc_u32_e32 v5, s20, v3
	v_cmp_le_u32_e32 vcc_lo, s20, v3
	s_wait_alu 0xfffd
	s_delay_alu instid0(VALU_DEP_2) | instskip(NEXT) | instid1(VALU_DEP_1)
	v_dual_cndmask_b32 v3, v3, v5 :: v_dual_cndmask_b32 v2, v2, v4
	v_cmp_le_u32_e32 vcc_lo, s20, v3
	s_delay_alu instid0(VALU_DEP_2) | instskip(SKIP_1) | instid1(VALU_DEP_1)
	v_add_nc_u32_e32 v4, 1, v2
	s_wait_alu 0xfffd
	v_cndmask_b32_e32 v8, v2, v4, vcc_lo
.LBB112_4:
	s_or_b32 exec_lo, exec_lo, s2
	v_mul_lo_u32 v4, v9, s20
	s_delay_alu instid0(VALU_DEP_2)
	v_mul_lo_u32 v5, v8, s21
	v_mad_co_u64_u32 v[2:3], null, v8, s20, 0
	s_mov_b32 s2, exec_lo
	v_add3_u32 v3, v3, v5, v4
	v_sub_co_u32 v0, vcc_lo, v0, v2
	s_wait_alu 0xfffd
	s_delay_alu instid0(VALU_DEP_2) | instskip(SKIP_1) | instid1(VALU_DEP_1)
	v_sub_co_ci_u32_e64 v1, null, v1, v3, vcc_lo
	s_wait_kmcnt 0x0
	v_cmpx_gt_i64_e64 s[12:13], v[0:1]
	s_cbranch_execz .LBB112_17
; %bb.5:
	s_load_b64 s[2:3], s[16:17], 0x0
	v_ashrrev_i32_e32 v9, 31, v8
	s_wait_kmcnt 0x0
	s_delay_alu instid0(VALU_DEP_1)
	v_cmp_gt_i64_e32 vcc_lo, s[2:3], v[8:9]
	s_and_b32 exec_lo, exec_lo, vcc_lo
	s_cbranch_execz .LBB112_17
; %bb.6:
	v_lshlrev_b64_e32 v[2:3], 3, v[8:9]
	s_load_b256 s[20:27], s[0:1], 0x40
	s_add_nc_u64 s[0:1], s[2:3], -1
	v_dual_mov_b32 v6, s10 :: v_dual_mov_b32 v7, s11
	s_delay_alu instid0(VALU_DEP_2)
	v_add_co_u32 v4, vcc_lo, s14, v2
	s_wait_alu 0xfffd
	v_add_co_ci_u32_e64 v5, null, s15, v3, vcc_lo
	s_wait_alu 0xfffe
	v_cmp_ne_u64_e32 vcc_lo, s[0:1], v[8:9]
	global_load_b64 v[4:5], v[4:5], off
	s_and_saveexec_b32 s0, vcc_lo
	s_cbranch_execz .LBB112_8
; %bb.7:
	v_dual_mov_b32 v6, 0 :: v_dual_add_nc_u32 v7, 1, v8
	s_delay_alu instid0(VALU_DEP_1) | instskip(NEXT) | instid1(VALU_DEP_1)
	v_ashrrev_i64 v[6:7], 29, v[6:7]
	v_add_co_u32 v6, vcc_lo, s14, v6
	s_wait_alu 0xfffd
	s_delay_alu instid0(VALU_DEP_2)
	v_add_co_ci_u32_e64 v7, null, s15, v7, vcc_lo
	global_load_b64 v[6:7], v[6:7], off
.LBB112_8:
	s_wait_alu 0xfffe
	s_or_b32 exec_lo, exec_lo, s0
	v_mov_b32_e32 v14, 0
	s_mov_b32 s1, exec_lo
	s_wait_loadcnt 0x0
	v_cmpx_lt_i64_e64 v[4:5], v[6:7]
	s_cbranch_execz .LBB112_15
; %bb.9:
	v_lshlrev_b64_e32 v[8:9], 1, v[0:1]
	v_lshlrev_b64_e32 v[10:11], 3, v[4:5]
	v_mov_b32_e32 v14, 0
	s_cmp_lg_u64 s[8:9], 0
	s_mov_b32 s3, 0
	s_cselect_b32 s2, -1, 0
	v_add_co_u32 v15, vcc_lo, s6, v8
	s_wait_alu 0xfffd
	v_add_co_ci_u32_e64 v16, null, s7, v9, vcc_lo
	v_add_co_u32 v8, vcc_lo, s8, v10
	s_wait_alu 0xfffd
	v_add_co_ci_u32_e64 v9, null, s9, v11, vcc_lo
	;; [unrolled: 3-line block ×3, first 2 shown]
	s_branch .LBB112_12
.LBB112_10:                             ;   in Loop: Header=BB112_12 Depth=1
	global_load_b64 v[17:18], v[8:9], off
	s_wait_loadcnt 0x0
	v_xor_b32_e32 v19, v17, v18
	v_cls_i32_e32 v20, v18
	s_delay_alu instid0(VALU_DEP_2) | instskip(NEXT) | instid1(VALU_DEP_2)
	v_ashrrev_i32_e32 v19, 31, v19
	v_add_nc_u32_e32 v20, -1, v20
	s_delay_alu instid0(VALU_DEP_2) | instskip(NEXT) | instid1(VALU_DEP_1)
	v_add_nc_u32_e32 v19, 32, v19
	v_min_u32_e32 v19, v20, v19
	s_delay_alu instid0(VALU_DEP_1) | instskip(NEXT) | instid1(VALU_DEP_1)
	v_lshlrev_b64_e32 v[17:18], v19, v[17:18]
	v_min_u32_e32 v17, 1, v17
	s_delay_alu instid0(VALU_DEP_1) | instskip(SKIP_1) | instid1(VALU_DEP_2)
	v_or_b32_e32 v17, v18, v17
	v_sub_nc_u32_e32 v18, 32, v19
	v_cvt_f32_i32_e32 v17, v17
	s_delay_alu instid0(VALU_DEP_1) | instskip(NEXT) | instid1(VALU_DEP_1)
	v_ldexp_f32 v17, v17, v18
	v_div_scale_f32 v18, null, v17, v17, 1.0
	s_delay_alu instid0(VALU_DEP_1) | instskip(NEXT) | instid1(TRANS32_DEP_1)
	v_rcp_f32_e32 v19, v18
	v_fma_f32 v20, -v18, v19, 1.0
	s_delay_alu instid0(VALU_DEP_1) | instskip(SKIP_1) | instid1(VALU_DEP_1)
	v_fmac_f32_e32 v19, v20, v19
	v_div_scale_f32 v20, vcc_lo, 1.0, v17, 1.0
	v_mul_f32_e32 v21, v20, v19
	s_delay_alu instid0(VALU_DEP_1) | instskip(NEXT) | instid1(VALU_DEP_1)
	v_fma_f32 v22, -v18, v21, v20
	v_fmac_f32_e32 v21, v22, v19
	s_delay_alu instid0(VALU_DEP_1) | instskip(SKIP_1) | instid1(VALU_DEP_1)
	v_fma_f32 v18, -v18, v21, v20
	s_wait_alu 0xfffd
	v_div_fmas_f32 v18, v18, v19, v21
	s_delay_alu instid0(VALU_DEP_1)
	v_div_fixup_f32 v17, v18, v17, 1.0
.LBB112_11:                             ;   in Loop: Header=BB112_12 Depth=1
	s_wait_loadcnt 0x0
	v_mul_lo_u32 v18, v13, s12
	v_mul_lo_u32 v19, v12, s13
	v_mad_co_u64_u32 v[12:13], null, v12, s12, 0
	v_add_co_u32 v10, s0, v10, 8
	s_wait_alu 0xf1ff
	v_add_co_ci_u32_e64 v11, null, 0, v11, s0
	s_delay_alu instid0(VALU_DEP_3) | instskip(NEXT) | instid1(VALU_DEP_1)
	v_add3_u32 v13, v13, v19, v18
	v_lshlrev_b64_e32 v[12:13], 1, v[12:13]
	s_delay_alu instid0(VALU_DEP_1) | instskip(SKIP_1) | instid1(VALU_DEP_2)
	v_add_co_u32 v12, vcc_lo, v15, v12
	s_wait_alu 0xfffd
	v_add_co_ci_u32_e64 v13, null, v16, v13, vcc_lo
	v_add_co_u32 v4, vcc_lo, v4, 1
	s_wait_alu 0xfffd
	v_add_co_ci_u32_e64 v5, null, 0, v5, vcc_lo
	global_load_u16 v12, v[12:13], off
	v_add_co_u32 v8, vcc_lo, v8, 8
	s_wait_alu 0xfffd
	v_add_co_ci_u32_e64 v9, null, 0, v9, vcc_lo
	v_cmp_ge_i64_e32 vcc_lo, v[4:5], v[6:7]
	s_or_b32 s3, vcc_lo, s3
	s_wait_loadcnt 0x0
	v_lshlrev_b32_e32 v12, 16, v12
	s_delay_alu instid0(VALU_DEP_1)
	v_fmac_f32_e32 v14, v17, v12
	s_wait_alu 0xfffe
	s_and_not1_b32 exec_lo, exec_lo, s3
	s_cbranch_execz .LBB112_14
.LBB112_12:                             ; =>This Inner Loop Header: Depth=1
	global_load_b64 v[12:13], v[10:11], off
	s_wait_alu 0xfffe
	s_and_not1_b32 vcc_lo, exec_lo, s2
	s_wait_alu 0xfffe
	s_cbranch_vccz .LBB112_10
; %bb.13:                               ;   in Loop: Header=BB112_12 Depth=1
	v_mov_b32_e32 v17, 1.0
	s_branch .LBB112_11
.LBB112_14:
	s_or_b32 exec_lo, exec_lo, s3
.LBB112_15:
	s_wait_alu 0xfffe
	s_or_b32 exec_lo, exec_lo, s1
	s_wait_kmcnt 0x0
	v_add_co_u32 v2, vcc_lo, s20, v2
	s_wait_alu 0xfffd
	v_add_co_ci_u32_e64 v3, null, s21, v3, vcc_lo
	global_load_b64 v[2:3], v[2:3], off
	s_wait_loadcnt 0x0
	v_lshlrev_b64_e32 v[2:3], 3, v[2:3]
	s_delay_alu instid0(VALU_DEP_1) | instskip(SKIP_1) | instid1(VALU_DEP_2)
	v_add_co_u32 v2, vcc_lo, s22, v2
	s_wait_alu 0xfffd
	v_add_co_ci_u32_e64 v3, null, s23, v3, vcc_lo
	global_load_b64 v[2:3], v[2:3], off
	s_wait_loadcnt 0x0
	v_lshlrev_b64_e32 v[2:3], 3, v[2:3]
	s_delay_alu instid0(VALU_DEP_1) | instskip(SKIP_1) | instid1(VALU_DEP_2)
	v_add_co_u32 v2, vcc_lo, s18, v2
	s_wait_alu 0xfffd
	v_add_co_ci_u32_e64 v3, null, s19, v3, vcc_lo
	global_load_b64 v[2:3], v[2:3], off
	s_wait_loadcnt 0x0
	v_cmp_ne_u64_e32 vcc_lo, s[26:27], v[2:3]
	s_and_b32 exec_lo, exec_lo, vcc_lo
	s_cbranch_execz .LBB112_17
; %bb.16:
	v_mul_lo_u32 v4, v3, s12
	v_mul_lo_u32 v5, v2, s13
	v_mad_co_u64_u32 v[2:3], null, v2, s12, 0
	v_lshlrev_b64_e32 v[0:1], 2, v[0:1]
	s_delay_alu instid0(VALU_DEP_2) | instskip(NEXT) | instid1(VALU_DEP_1)
	v_add3_u32 v3, v3, v5, v4
	v_lshlrev_b64_e32 v[2:3], 2, v[2:3]
	s_delay_alu instid0(VALU_DEP_1) | instskip(SKIP_1) | instid1(VALU_DEP_2)
	v_add_co_u32 v2, vcc_lo, s24, v2
	s_wait_alu 0xfffd
	v_add_co_ci_u32_e64 v3, null, s25, v3, vcc_lo
	s_delay_alu instid0(VALU_DEP_2) | instskip(SKIP_1) | instid1(VALU_DEP_2)
	v_add_co_u32 v0, vcc_lo, v2, v0
	s_wait_alu 0xfffd
	v_add_co_ci_u32_e64 v1, null, v3, v1, vcc_lo
	global_atomic_add_f32 v[0:1], v14, off scope:SCOPE_DEV
.LBB112_17:
	s_endpgm
	.section	.rodata,"a",@progbits
	.p2align	6, 0x0
	.amdhsa_kernel _ZN2at6native12_GLOBAL__N_137compute_grad_weight_atomic_accumulateIN3c108BFloat16EflEEvPKT1_PKT_S7_llS7_PKlS7_S7_S7_PT0_ll
		.amdhsa_group_segment_fixed_size 0
		.amdhsa_private_segment_fixed_size 0
		.amdhsa_kernarg_size 360
		.amdhsa_user_sgpr_count 2
		.amdhsa_user_sgpr_dispatch_ptr 0
		.amdhsa_user_sgpr_queue_ptr 0
		.amdhsa_user_sgpr_kernarg_segment_ptr 1
		.amdhsa_user_sgpr_dispatch_id 0
		.amdhsa_user_sgpr_private_segment_size 0
		.amdhsa_wavefront_size32 1
		.amdhsa_uses_dynamic_stack 0
		.amdhsa_enable_private_segment 0
		.amdhsa_system_sgpr_workgroup_id_x 1
		.amdhsa_system_sgpr_workgroup_id_y 0
		.amdhsa_system_sgpr_workgroup_id_z 0
		.amdhsa_system_sgpr_workgroup_info 0
		.amdhsa_system_vgpr_workitem_id 0
		.amdhsa_next_free_vgpr 23
		.amdhsa_next_free_sgpr 28
		.amdhsa_reserve_vcc 1
		.amdhsa_float_round_mode_32 0
		.amdhsa_float_round_mode_16_64 0
		.amdhsa_float_denorm_mode_32 3
		.amdhsa_float_denorm_mode_16_64 3
		.amdhsa_fp16_overflow 0
		.amdhsa_workgroup_processor_mode 1
		.amdhsa_memory_ordered 1
		.amdhsa_forward_progress 1
		.amdhsa_inst_pref_size 16
		.amdhsa_round_robin_scheduling 0
		.amdhsa_exception_fp_ieee_invalid_op 0
		.amdhsa_exception_fp_denorm_src 0
		.amdhsa_exception_fp_ieee_div_zero 0
		.amdhsa_exception_fp_ieee_overflow 0
		.amdhsa_exception_fp_ieee_underflow 0
		.amdhsa_exception_fp_ieee_inexact 0
		.amdhsa_exception_int_div_zero 0
	.end_amdhsa_kernel
	.section	.text._ZN2at6native12_GLOBAL__N_137compute_grad_weight_atomic_accumulateIN3c108BFloat16EflEEvPKT1_PKT_S7_llS7_PKlS7_S7_S7_PT0_ll,"axG",@progbits,_ZN2at6native12_GLOBAL__N_137compute_grad_weight_atomic_accumulateIN3c108BFloat16EflEEvPKT1_PKT_S7_llS7_PKlS7_S7_S7_PT0_ll,comdat
.Lfunc_end112:
	.size	_ZN2at6native12_GLOBAL__N_137compute_grad_weight_atomic_accumulateIN3c108BFloat16EflEEvPKT1_PKT_S7_llS7_PKlS7_S7_S7_PT0_ll, .Lfunc_end112-_ZN2at6native12_GLOBAL__N_137compute_grad_weight_atomic_accumulateIN3c108BFloat16EflEEvPKT1_PKT_S7_llS7_PKlS7_S7_S7_PT0_ll
                                        ; -- End function
	.set _ZN2at6native12_GLOBAL__N_137compute_grad_weight_atomic_accumulateIN3c108BFloat16EflEEvPKT1_PKT_S7_llS7_PKlS7_S7_S7_PT0_ll.num_vgpr, 23
	.set _ZN2at6native12_GLOBAL__N_137compute_grad_weight_atomic_accumulateIN3c108BFloat16EflEEvPKT1_PKT_S7_llS7_PKlS7_S7_S7_PT0_ll.num_agpr, 0
	.set _ZN2at6native12_GLOBAL__N_137compute_grad_weight_atomic_accumulateIN3c108BFloat16EflEEvPKT1_PKT_S7_llS7_PKlS7_S7_S7_PT0_ll.numbered_sgpr, 28
	.set _ZN2at6native12_GLOBAL__N_137compute_grad_weight_atomic_accumulateIN3c108BFloat16EflEEvPKT1_PKT_S7_llS7_PKlS7_S7_S7_PT0_ll.num_named_barrier, 0
	.set _ZN2at6native12_GLOBAL__N_137compute_grad_weight_atomic_accumulateIN3c108BFloat16EflEEvPKT1_PKT_S7_llS7_PKlS7_S7_S7_PT0_ll.private_seg_size, 0
	.set _ZN2at6native12_GLOBAL__N_137compute_grad_weight_atomic_accumulateIN3c108BFloat16EflEEvPKT1_PKT_S7_llS7_PKlS7_S7_S7_PT0_ll.uses_vcc, 1
	.set _ZN2at6native12_GLOBAL__N_137compute_grad_weight_atomic_accumulateIN3c108BFloat16EflEEvPKT1_PKT_S7_llS7_PKlS7_S7_S7_PT0_ll.uses_flat_scratch, 0
	.set _ZN2at6native12_GLOBAL__N_137compute_grad_weight_atomic_accumulateIN3c108BFloat16EflEEvPKT1_PKT_S7_llS7_PKlS7_S7_S7_PT0_ll.has_dyn_sized_stack, 0
	.set _ZN2at6native12_GLOBAL__N_137compute_grad_weight_atomic_accumulateIN3c108BFloat16EflEEvPKT1_PKT_S7_llS7_PKlS7_S7_S7_PT0_ll.has_recursion, 0
	.set _ZN2at6native12_GLOBAL__N_137compute_grad_weight_atomic_accumulateIN3c108BFloat16EflEEvPKT1_PKT_S7_llS7_PKlS7_S7_S7_PT0_ll.has_indirect_call, 0
	.section	.AMDGPU.csdata,"",@progbits
; Kernel info:
; codeLenInByte = 2008
; TotalNumSgprs: 30
; NumVgprs: 23
; ScratchSize: 0
; MemoryBound: 0
; FloatMode: 240
; IeeeMode: 1
; LDSByteSize: 0 bytes/workgroup (compile time only)
; SGPRBlocks: 0
; VGPRBlocks: 2
; NumSGPRsForWavesPerEU: 30
; NumVGPRsForWavesPerEU: 23
; Occupancy: 16
; WaveLimiterHint : 1
; COMPUTE_PGM_RSRC2:SCRATCH_EN: 0
; COMPUTE_PGM_RSRC2:USER_SGPR: 2
; COMPUTE_PGM_RSRC2:TRAP_HANDLER: 0
; COMPUTE_PGM_RSRC2:TGID_X_EN: 1
; COMPUTE_PGM_RSRC2:TGID_Y_EN: 0
; COMPUTE_PGM_RSRC2:TGID_Z_EN: 0
; COMPUTE_PGM_RSRC2:TIDIG_COMP_CNT: 0
	.section	.text._ZN2at6native12_GLOBAL__N_124compute_grad_weight_bagsIN3c108BFloat16ElEEvPKT0_PKT_S7_S7_lliS7_SA_lS7_PKlPNS_14AccumulateTypeIS8_Lb1EE4typeEl,"axG",@progbits,_ZN2at6native12_GLOBAL__N_124compute_grad_weight_bagsIN3c108BFloat16ElEEvPKT0_PKT_S7_S7_lliS7_SA_lS7_PKlPNS_14AccumulateTypeIS8_Lb1EE4typeEl,comdat
	.globl	_ZN2at6native12_GLOBAL__N_124compute_grad_weight_bagsIN3c108BFloat16ElEEvPKT0_PKT_S7_S7_lliS7_SA_lS7_PKlPNS_14AccumulateTypeIS8_Lb1EE4typeEl ; -- Begin function _ZN2at6native12_GLOBAL__N_124compute_grad_weight_bagsIN3c108BFloat16ElEEvPKT0_PKT_S7_S7_lliS7_SA_lS7_PKlPNS_14AccumulateTypeIS8_Lb1EE4typeEl
	.p2align	8
	.type	_ZN2at6native12_GLOBAL__N_124compute_grad_weight_bagsIN3c108BFloat16ElEEvPKT0_PKT_S7_S7_lliS7_SA_lS7_PKlPNS_14AccumulateTypeIS8_Lb1EE4typeEl,@function
_ZN2at6native12_GLOBAL__N_124compute_grad_weight_bagsIN3c108BFloat16ElEEvPKT0_PKT_S7_S7_lliS7_SA_lS7_PKlPNS_14AccumulateTypeIS8_Lb1EE4typeEl: ; @_ZN2at6native12_GLOBAL__N_124compute_grad_weight_bagsIN3c108BFloat16ElEEvPKT0_PKT_S7_S7_lliS7_SA_lS7_PKlPNS_14AccumulateTypeIS8_Lb1EE4typeEl
; %bb.0:
	s_clause 0x2
	s_load_b32 s2, s[0:1], 0x7c
	s_load_b64 s[4:5], s[0:1], 0x68
	s_load_b128 s[20:23], s[0:1], 0x58
	v_mov_b32_e32 v1, 0
	s_delay_alu instid0(VALU_DEP_1) | instskip(SKIP_2) | instid1(SALU_CYCLE_1)
	v_mov_b32_e32 v4, v1
	s_wait_kmcnt 0x0
	s_and_b32 s2, s2, 0xffff
	v_mad_co_u64_u32 v[2:3], null, s2, ttmp9, v[0:1]
                                        ; implicit-def: $vgpr0_vgpr1
	s_mov_b32 s2, exec_lo
	v_or_b32_e32 v5, s5, v3
	s_delay_alu instid0(VALU_DEP_1)
	v_cmpx_ne_u64_e32 0, v[4:5]
	s_wait_alu 0xfffe
	s_xor_b32 s3, exec_lo, s2
	s_cbranch_execz .LBB113_2
; %bb.1:
	s_ashr_i32 s6, s5, 31
	s_mov_b32 s17, 0
	s_mov_b32 s7, s6
	v_ashrrev_i32_e32 v8, 31, v3
	s_add_nc_u64 s[8:9], s[4:5], s[6:7]
	s_delay_alu instid0(SALU_CYCLE_1) | instskip(NEXT) | instid1(VALU_DEP_1)
	s_xor_b64 s[8:9], s[8:9], s[6:7]
	v_add_co_u32 v0, vcc_lo, v2, v8
	s_cvt_f32_u32 s2, s8
	s_cvt_f32_u32 s7, s9
	s_sub_nc_u64 s[12:13], 0, s[8:9]
	v_add_co_ci_u32_e64 v1, null, v3, v8, vcc_lo
	s_wait_alu 0xfffe
	s_fmamk_f32 s2, s7, 0x4f800000, s2
	v_xor_b32_e32 v9, v0, v8
	s_delay_alu instid0(VALU_DEP_2) | instskip(SKIP_2) | instid1(TRANS32_DEP_1)
	v_xor_b32_e32 v10, v1, v8
	s_wait_alu 0xfffe
	v_s_rcp_f32 s2, s2
	s_mul_f32 s2, s2, 0x5f7ffffc
	s_wait_alu 0xfffe
	s_delay_alu instid0(SALU_CYCLE_2) | instskip(NEXT) | instid1(SALU_CYCLE_3)
	s_mul_f32 s7, s2, 0x2f800000
	s_trunc_f32 s7, s7
	s_delay_alu instid0(SALU_CYCLE_3) | instskip(SKIP_2) | instid1(SALU_CYCLE_1)
	s_fmamk_f32 s2, s7, 0xcf800000, s2
	s_cvt_u32_f32 s11, s7
	s_wait_alu 0xfffe
	s_cvt_u32_f32 s10, s2
	s_delay_alu instid0(SALU_CYCLE_3) | instskip(NEXT) | instid1(SALU_CYCLE_1)
	s_mul_u64 s[14:15], s[12:13], s[10:11]
	s_mul_hi_u32 s19, s10, s15
	s_mul_i32 s18, s10, s15
	s_mul_hi_u32 s16, s10, s14
	s_mul_i32 s7, s11, s14
	s_add_nc_u64 s[18:19], s[16:17], s[18:19]
	s_mul_hi_u32 s2, s11, s14
	s_mul_hi_u32 s24, s11, s15
	s_add_co_u32 s7, s18, s7
	s_wait_alu 0xfffe
	s_add_co_ci_u32 s16, s19, s2
	s_mul_i32 s14, s11, s15
	s_add_co_ci_u32 s15, s24, 0
	s_delay_alu instid0(SALU_CYCLE_1) | instskip(NEXT) | instid1(SALU_CYCLE_1)
	s_add_nc_u64 s[14:15], s[16:17], s[14:15]
	s_add_co_u32 s10, s10, s14
	s_cselect_b32 s2, -1, 0
	s_wait_alu 0xfffe
	s_cmp_lg_u32 s2, 0
	s_add_co_ci_u32 s11, s11, s15
	s_delay_alu instid0(SALU_CYCLE_1) | instskip(NEXT) | instid1(SALU_CYCLE_1)
	s_mul_u64 s[12:13], s[12:13], s[10:11]
	s_mul_hi_u32 s15, s10, s13
	s_mul_i32 s14, s10, s13
	s_mul_hi_u32 s16, s10, s12
	s_mul_i32 s7, s11, s12
	s_add_nc_u64 s[14:15], s[16:17], s[14:15]
	s_mul_hi_u32 s2, s11, s12
	s_mul_hi_u32 s18, s11, s13
	s_add_co_u32 s7, s14, s7
	s_wait_alu 0xfffe
	s_add_co_ci_u32 s16, s15, s2
	s_mul_i32 s12, s11, s13
	s_add_co_ci_u32 s13, s18, 0
	s_delay_alu instid0(SALU_CYCLE_1) | instskip(NEXT) | instid1(SALU_CYCLE_1)
	s_add_nc_u64 s[12:13], s[16:17], s[12:13]
	s_add_co_u32 s2, s10, s12
	s_cselect_b32 s7, -1, 0
	s_wait_alu 0xfffe
	v_mul_hi_u32 v11, v9, s2
	s_cmp_lg_u32 s7, 0
	v_mad_co_u64_u32 v[4:5], null, v10, s2, 0
	s_add_co_ci_u32 s7, s11, s13
	s_delay_alu instid0(SALU_CYCLE_1) | instskip(SKIP_1) | instid1(VALU_DEP_2)
	v_mad_co_u64_u32 v[0:1], null, v9, s7, 0
	v_mad_co_u64_u32 v[6:7], null, v10, s7, 0
	v_add_co_u32 v0, vcc_lo, v11, v0
	s_wait_alu 0xfffd
	s_delay_alu instid0(VALU_DEP_3) | instskip(NEXT) | instid1(VALU_DEP_2)
	v_add_co_ci_u32_e64 v1, null, 0, v1, vcc_lo
	v_add_co_u32 v0, vcc_lo, v0, v4
	s_wait_alu 0xfffd
	s_delay_alu instid0(VALU_DEP_2) | instskip(SKIP_2) | instid1(VALU_DEP_2)
	v_add_co_ci_u32_e32 v0, vcc_lo, v1, v5, vcc_lo
	s_wait_alu 0xfffd
	v_add_co_ci_u32_e32 v1, vcc_lo, 0, v7, vcc_lo
	v_add_co_u32 v4, vcc_lo, v0, v6
	s_wait_alu 0xfffd
	s_delay_alu instid0(VALU_DEP_2) | instskip(NEXT) | instid1(VALU_DEP_2)
	v_add_co_ci_u32_e64 v5, null, 0, v1, vcc_lo
	v_mul_lo_u32 v6, s9, v4
	v_mad_co_u64_u32 v[0:1], null, s8, v4, 0
	s_delay_alu instid0(VALU_DEP_3) | instskip(NEXT) | instid1(VALU_DEP_2)
	v_mul_lo_u32 v7, s8, v5
	v_sub_co_u32 v0, vcc_lo, v9, v0
	s_delay_alu instid0(VALU_DEP_2) | instskip(SKIP_3) | instid1(VALU_DEP_3)
	v_add3_u32 v1, v1, v7, v6
	v_add_co_u32 v7, s2, v4, 2
	s_wait_alu 0xf1ff
	v_add_co_ci_u32_e64 v9, null, 0, v5, s2
	v_sub_nc_u32_e32 v6, v10, v1
	v_sub_co_u32 v11, s2, v0, s8
	s_wait_alu 0xfffd
	v_sub_co_ci_u32_e64 v1, null, v10, v1, vcc_lo
	s_delay_alu instid0(VALU_DEP_3) | instskip(NEXT) | instid1(VALU_DEP_3)
	v_subrev_co_ci_u32_e64 v6, null, s9, v6, vcc_lo
	v_cmp_le_u32_e32 vcc_lo, s8, v11
	s_wait_alu 0xf1ff
	s_delay_alu instid0(VALU_DEP_2) | instskip(SKIP_2) | instid1(VALU_DEP_2)
	v_subrev_co_ci_u32_e64 v6, null, 0, v6, s2
	s_wait_alu 0xfffd
	v_cndmask_b32_e64 v10, 0, -1, vcc_lo
	v_cmp_le_u32_e32 vcc_lo, s9, v6
	s_wait_alu 0xfffd
	v_cndmask_b32_e64 v11, 0, -1, vcc_lo
	v_cmp_le_u32_e32 vcc_lo, s8, v0
	;; [unrolled: 3-line block ×3, first 2 shown]
	s_wait_alu 0xfffd
	v_cndmask_b32_e64 v12, 0, -1, vcc_lo
	v_cmp_eq_u32_e32 vcc_lo, s9, v6
	s_wait_alu 0xfffd
	v_cndmask_b32_e32 v6, v11, v10, vcc_lo
	v_add_co_u32 v10, vcc_lo, v4, 1
	s_wait_alu 0xfffd
	v_add_co_ci_u32_e64 v11, null, 0, v5, vcc_lo
	v_cmp_eq_u32_e32 vcc_lo, s9, v1
	s_wait_alu 0xfffd
	v_cndmask_b32_e32 v0, v12, v0, vcc_lo
	v_cmp_ne_u32_e32 vcc_lo, 0, v6
	v_xor_b32_e32 v6, s6, v8
	s_wait_alu 0xfffd
	v_cndmask_b32_e32 v1, v11, v9, vcc_lo
	v_cmp_ne_u32_e64 s2, 0, v0
	v_cndmask_b32_e32 v0, v10, v7, vcc_lo
	s_wait_alu 0xf1ff
	s_delay_alu instid0(VALU_DEP_2) | instskip(NEXT) | instid1(VALU_DEP_2)
	v_cndmask_b32_e64 v1, v5, v1, s2
	v_cndmask_b32_e64 v0, v4, v0, s2
	s_delay_alu instid0(VALU_DEP_2) | instskip(NEXT) | instid1(VALU_DEP_2)
	v_xor_b32_e32 v1, v1, v6
	v_xor_b32_e32 v0, v0, v6
	s_delay_alu instid0(VALU_DEP_1) | instskip(SKIP_1) | instid1(VALU_DEP_3)
	v_sub_co_u32 v0, vcc_lo, v0, v6
	s_wait_alu 0xfffd
	v_sub_co_ci_u32_e64 v1, null, v1, v6, vcc_lo
.LBB113_2:
	s_wait_alu 0xfffe
	s_or_saveexec_b32 s2, s3
	s_load_b64 s[20:21], s[20:21], 0x0
	s_xor_b32 exec_lo, exec_lo, s2
	s_cbranch_execz .LBB113_4
; %bb.3:
	v_cvt_f32_u32_e32 v0, s4
	s_sub_co_i32 s3, 0, s4
	s_delay_alu instid0(VALU_DEP_1) | instskip(NEXT) | instid1(TRANS32_DEP_1)
	v_rcp_iflag_f32_e32 v0, v0
	v_mul_f32_e32 v0, 0x4f7ffffe, v0
	s_delay_alu instid0(VALU_DEP_1) | instskip(SKIP_1) | instid1(VALU_DEP_1)
	v_cvt_u32_f32_e32 v0, v0
	s_wait_alu 0xfffe
	v_mul_lo_u32 v1, s3, v0
	s_delay_alu instid0(VALU_DEP_1) | instskip(NEXT) | instid1(VALU_DEP_1)
	v_mul_hi_u32 v1, v0, v1
	v_add_nc_u32_e32 v0, v0, v1
	s_delay_alu instid0(VALU_DEP_1) | instskip(NEXT) | instid1(VALU_DEP_1)
	v_mul_hi_u32 v0, v2, v0
	v_mul_lo_u32 v1, v0, s4
	v_add_nc_u32_e32 v4, 1, v0
	s_delay_alu instid0(VALU_DEP_2) | instskip(NEXT) | instid1(VALU_DEP_1)
	v_sub_nc_u32_e32 v1, v2, v1
	v_subrev_nc_u32_e32 v5, s4, v1
	v_cmp_le_u32_e32 vcc_lo, s4, v1
	s_wait_alu 0xfffd
	s_delay_alu instid0(VALU_DEP_2) | instskip(NEXT) | instid1(VALU_DEP_1)
	v_dual_cndmask_b32 v1, v1, v5 :: v_dual_cndmask_b32 v0, v0, v4
	v_cmp_le_u32_e32 vcc_lo, s4, v1
	s_delay_alu instid0(VALU_DEP_2) | instskip(SKIP_1) | instid1(VALU_DEP_1)
	v_dual_mov_b32 v1, 0 :: v_dual_add_nc_u32 v4, 1, v0
	s_wait_alu 0xfffd
	v_cndmask_b32_e32 v0, v0, v4, vcc_lo
.LBB113_4:
	s_or_b32 exec_lo, exec_lo, s2
	s_load_b128 s[24:27], s[0:1], 0x20
	v_mul_lo_u32 v6, v1, s4
	s_delay_alu instid0(VALU_DEP_2) | instskip(SKIP_3) | instid1(VALU_DEP_2)
	v_mul_lo_u32 v7, v0, s5
	v_mad_co_u64_u32 v[4:5], null, v0, s4, 0
	s_wait_kmcnt 0x0
	v_cmp_gt_i64_e64 s2, s[20:21], v[0:1]
	v_add3_u32 v5, v5, v7, v6
	s_delay_alu instid0(VALU_DEP_3) | instskip(SKIP_1) | instid1(VALU_DEP_2)
	v_sub_co_u32 v2, vcc_lo, v2, v4
	s_wait_alu 0xfffd
	v_sub_co_ci_u32_e64 v3, null, v3, v5, vcc_lo
	s_delay_alu instid0(VALU_DEP_1)
	v_cmp_gt_i64_e32 vcc_lo, s[26:27], v[2:3]
	s_and_b32 s2, vcc_lo, s2
	s_wait_alu 0xfffe
	s_and_saveexec_b32 s3, s2
	s_cbranch_execz .LBB113_18
; %bb.5:
	s_load_b256 s[4:11], s[0:1], 0x38
	v_lshlrev_b64_e32 v[4:5], 3, v[0:1]
	s_load_b256 s[12:19], s[0:1], 0x0
	s_add_nc_u64 s[2:3], s[20:21], -1
	v_dual_mov_b32 v6, s24 :: v_dual_mov_b32 v7, s25
	s_wait_kmcnt 0x0
	s_delay_alu instid0(VALU_DEP_2)
	v_add_co_u32 v8, vcc_lo, s10, v4
	s_wait_alu 0xfffd
	v_add_co_ci_u32_e64 v9, null, s11, v5, vcc_lo
	s_wait_alu 0xfffe
	v_cmp_ne_u64_e32 vcc_lo, s[2:3], v[0:1]
	global_load_b64 v[4:5], v[8:9], off
	s_and_saveexec_b32 s2, vcc_lo
	s_cbranch_execz .LBB113_7
; %bb.6:
	global_load_b64 v[6:7], v[8:9], off offset:8
.LBB113_7:
	s_wait_alu 0xfffe
	s_or_b32 exec_lo, exec_lo, s2
	s_wait_loadcnt 0x0
	v_mov_b32_e32 v5, 0
	s_mov_b32 s2, exec_lo
	v_cmpx_lt_i32_e64 v4, v6
	s_cbranch_execz .LBB113_17
; %bb.8:
	s_load_b32 s0, s[0:1], 0x30
	v_ashrrev_i32_e32 v5, 31, v4
	v_lshlrev_b64_e32 v[7:8], 1, v[2:3]
	s_cmp_lg_u64 s[18:19], 0
	v_mov_b32_e32 v11, 0
	s_cselect_b32 s1, -1, 0
	v_lshlrev_b64_e32 v[9:10], 3, v[4:5]
	s_cmp_lg_u64 s[6:7], 0
	v_add_co_u32 v16, vcc_lo, s14, v7
	s_wait_alu 0xfffd
	v_add_co_ci_u32_e64 v17, null, s15, v8, vcc_lo
	s_delay_alu instid0(VALU_DEP_3)
	v_add_co_u32 v7, vcc_lo, s12, v9
	s_wait_alu 0xfffd
	v_add_co_ci_u32_e64 v8, null, s13, v10, vcc_lo
	v_add_co_u32 v9, vcc_lo, s18, v9
	s_wait_alu 0xfffd
	v_add_co_ci_u32_e64 v10, null, s19, v10, vcc_lo
	v_mov_b32_e32 v5, 0
	s_cselect_b32 s3, -1, 0
	s_wait_kmcnt 0x0
	s_cmp_lg_u32 s0, 0
	s_mov_b32 s11, 0
	s_cselect_b32 s10, -1, 0
	s_mov_b32 s12, s26
	s_branch .LBB113_10
.LBB113_9:                              ;   in Loop: Header=BB113_10 Depth=1
	s_delay_alu instid0(VALU_DEP_1) | instskip(SKIP_3) | instid1(VALU_DEP_3)
	v_dual_fmac_f32 v5, v15, v13 :: v_dual_add_nc_u32 v4, 1, v4
	v_add_co_u32 v7, vcc_lo, v7, 8
	s_wait_alu 0xfffd
	v_add_co_ci_u32_e64 v8, null, 0, v8, vcc_lo
	v_cmp_ge_i32_e32 vcc_lo, v4, v6
	v_add_co_u32 v9, s0, v9, 8
	s_wait_alu 0xf1ff
	v_add_co_ci_u32_e64 v10, null, 0, v10, s0
	s_or_b32 s11, vcc_lo, s11
	s_wait_alu 0xfffe
	s_and_not1_b32 exec_lo, exec_lo, s11
	s_cbranch_execz .LBB113_16
.LBB113_10:                             ; =>This Inner Loop Header: Depth=1
	global_load_b64 v[14:15], v[7:8], off
	s_wait_loadcnt 0x0
	v_mov_b32_e32 v12, v14
	s_delay_alu instid0(VALU_DEP_1) | instskip(NEXT) | instid1(VALU_DEP_1)
	v_ashrrev_i64 v[12:13], 29, v[11:12]
	v_add_co_u32 v12, vcc_lo, s16, v12
	s_wait_alu 0xfffd
	s_delay_alu instid0(VALU_DEP_2)
	v_add_co_ci_u32_e64 v13, null, s17, v13, vcc_lo
	s_wait_alu 0xfffe
	s_and_not1_b32 vcc_lo, exec_lo, s1
	global_load_b64 v[12:13], v[12:13], off
	s_wait_alu 0xfffe
	s_cbranch_vccnz .LBB113_15
; %bb.11:                               ;   in Loop: Header=BB113_10 Depth=1
	global_load_b64 v[18:19], v[9:10], off
	s_wait_loadcnt 0x0
	v_cvt_f64_i32_e32 v[19:20], v19
	v_cvt_f64_u32_e32 v[21:22], v18
	s_delay_alu instid0(VALU_DEP_2) | instskip(NEXT) | instid1(VALU_DEP_1)
	v_ldexp_f64 v[18:19], v[19:20], 32
	v_add_f64_e32 v[18:19], v[18:19], v[21:22]
	s_delay_alu instid0(VALU_DEP_1) | instskip(NEXT) | instid1(VALU_DEP_1)
	v_div_scale_f64 v[20:21], null, v[18:19], v[18:19], 1.0
	v_rcp_f64_e32 v[22:23], v[20:21]
	s_delay_alu instid0(TRANS32_DEP_1) | instskip(NEXT) | instid1(VALU_DEP_1)
	v_fma_f64 v[24:25], -v[20:21], v[22:23], 1.0
	v_fma_f64 v[22:23], v[22:23], v[24:25], v[22:23]
	s_delay_alu instid0(VALU_DEP_1) | instskip(NEXT) | instid1(VALU_DEP_1)
	v_fma_f64 v[24:25], -v[20:21], v[22:23], 1.0
	v_fma_f64 v[22:23], v[22:23], v[24:25], v[22:23]
	v_div_scale_f64 v[24:25], vcc_lo, 1.0, v[18:19], 1.0
	s_delay_alu instid0(VALU_DEP_1) | instskip(NEXT) | instid1(VALU_DEP_1)
	v_mul_f64_e32 v[26:27], v[24:25], v[22:23]
	v_fma_f64 v[20:21], -v[20:21], v[26:27], v[24:25]
	s_wait_alu 0xfffd
	s_delay_alu instid0(VALU_DEP_1) | instskip(NEXT) | instid1(VALU_DEP_1)
	v_div_fmas_f64 v[20:21], v[20:21], v[22:23], v[26:27]
	v_div_fixup_f64 v[18:19], v[20:21], v[18:19], 1.0
	s_delay_alu instid0(VALU_DEP_1)
	v_cvt_f32_f64_e32 v15, v[18:19]
	s_and_not1_b32 vcc_lo, exec_lo, s3
	s_wait_alu 0xfffe
	s_cbranch_vccnz .LBB113_13
.LBB113_12:                             ;   in Loop: Header=BB113_10 Depth=1
	v_ashrrev_i32_e32 v20, 31, v14
	v_mul_lo_u32 v21, v14, s9
	v_mad_co_u64_u32 v[18:19], null, v14, s8, 0
	s_delay_alu instid0(VALU_DEP_3) | instskip(NEXT) | instid1(VALU_DEP_1)
	v_mul_lo_u32 v14, v20, s8
	v_add3_u32 v19, v19, v21, v14
	s_delay_alu instid0(VALU_DEP_1) | instskip(NEXT) | instid1(VALU_DEP_1)
	v_lshlrev_b64_e32 v[18:19], 1, v[18:19]
	v_add_co_u32 v18, vcc_lo, s6, v18
	s_wait_alu 0xfffd
	s_delay_alu instid0(VALU_DEP_2) | instskip(SKIP_3) | instid1(VALU_DEP_1)
	v_add_co_ci_u32_e64 v19, null, s7, v19, vcc_lo
	global_load_u16 v14, v[18:19], off
	s_wait_loadcnt 0x0
	v_lshlrev_b32_e32 v14, 16, v14
	v_mul_f32_e32 v15, v15, v14
.LBB113_13:                             ;   in Loop: Header=BB113_10 Depth=1
	s_wait_loadcnt 0x0
	v_mul_lo_u32 v18, s12, v12
	v_mul_lo_u32 v19, 0, v13
	v_mad_co_u64_u32 v[13:14], null, 0, v12, 0
	s_delay_alu instid0(VALU_DEP_1) | instskip(NEXT) | instid1(VALU_DEP_1)
	v_add3_u32 v14, v14, v19, v18
	v_ashrrev_i64 v[13:14], 31, v[13:14]
	s_delay_alu instid0(VALU_DEP_1) | instskip(SKIP_1) | instid1(VALU_DEP_2)
	v_add_co_u32 v13, vcc_lo, v16, v13
	s_wait_alu 0xfffd
	v_add_co_ci_u32_e64 v14, null, v17, v14, vcc_lo
	s_and_not1_b32 vcc_lo, exec_lo, s10
	global_load_u16 v13, v[13:14], off
	s_wait_loadcnt 0x0
	v_lshlrev_b32_e32 v13, 16, v13
	s_wait_alu 0xfffe
	s_cbranch_vccnz .LBB113_9
; %bb.14:                               ;   in Loop: Header=BB113_10 Depth=1
	v_ashrrev_i64 v[18:19], 29, v[11:12]
	s_delay_alu instid0(VALU_DEP_1) | instskip(SKIP_1) | instid1(VALU_DEP_2)
	v_add_co_u32 v18, vcc_lo, s4, v18
	s_wait_alu 0xfffd
	v_add_co_ci_u32_e64 v19, null, s5, v19, vcc_lo
	global_load_b64 v[18:19], v[18:19], off
	s_wait_loadcnt 0x0
	v_xor_b32_e32 v12, v18, v19
	v_cls_i32_e32 v14, v19
	s_delay_alu instid0(VALU_DEP_2) | instskip(NEXT) | instid1(VALU_DEP_2)
	v_ashrrev_i32_e32 v12, 31, v12
	v_add_nc_u32_e32 v14, -1, v14
	s_delay_alu instid0(VALU_DEP_2) | instskip(NEXT) | instid1(VALU_DEP_1)
	v_add_nc_u32_e32 v12, 32, v12
	v_min_u32_e32 v12, v14, v12
	s_delay_alu instid0(VALU_DEP_1) | instskip(SKIP_1) | instid1(VALU_DEP_2)
	v_lshlrev_b64_e32 v[18:19], v12, v[18:19]
	v_sub_nc_u32_e32 v12, 32, v12
	v_min_u32_e32 v14, 1, v18
	s_delay_alu instid0(VALU_DEP_1) | instskip(NEXT) | instid1(VALU_DEP_1)
	v_or_b32_e32 v14, v19, v14
	v_cvt_f32_i32_e32 v14, v14
	s_delay_alu instid0(VALU_DEP_1) | instskip(NEXT) | instid1(VALU_DEP_1)
	v_ldexp_f32 v12, v14, v12
	v_div_scale_f32 v14, null, v12, v12, v13
	s_delay_alu instid0(VALU_DEP_1) | instskip(NEXT) | instid1(TRANS32_DEP_1)
	v_rcp_f32_e32 v18, v14
	v_fma_f32 v19, -v14, v18, 1.0
	s_delay_alu instid0(VALU_DEP_1) | instskip(SKIP_1) | instid1(VALU_DEP_1)
	v_fmac_f32_e32 v18, v19, v18
	v_div_scale_f32 v19, vcc_lo, v13, v12, v13
	v_mul_f32_e32 v20, v19, v18
	s_delay_alu instid0(VALU_DEP_1) | instskip(NEXT) | instid1(VALU_DEP_1)
	v_fma_f32 v21, -v14, v20, v19
	v_fmac_f32_e32 v20, v21, v18
	s_delay_alu instid0(VALU_DEP_1) | instskip(SKIP_1) | instid1(VALU_DEP_1)
	v_fma_f32 v14, -v14, v20, v19
	s_wait_alu 0xfffd
	v_div_fmas_f32 v14, v14, v18, v20
	s_delay_alu instid0(VALU_DEP_1)
	v_div_fixup_f32 v13, v14, v12, v13
	s_branch .LBB113_9
.LBB113_15:                             ;   in Loop: Header=BB113_10 Depth=1
	v_mov_b32_e32 v15, 1.0
	s_and_not1_b32 vcc_lo, exec_lo, s3
	s_wait_alu 0xfffe
	s_cbranch_vccz .LBB113_12
	s_branch .LBB113_13
.LBB113_16:
	s_or_b32 exec_lo, exec_lo, s11
.LBB113_17:
	s_wait_alu 0xfffe
	s_or_b32 exec_lo, exec_lo, s2
	v_mul_lo_u32 v4, v1, s26
	v_mul_lo_u32 v6, v0, s27
	v_mad_co_u64_u32 v[0:1], null, v0, s26, 0
	v_lshlrev_b64_e32 v[2:3], 2, v[2:3]
	s_delay_alu instid0(VALU_DEP_2) | instskip(NEXT) | instid1(VALU_DEP_1)
	v_add3_u32 v1, v1, v6, v4
	v_lshlrev_b64_e32 v[0:1], 2, v[0:1]
	s_delay_alu instid0(VALU_DEP_1) | instskip(SKIP_1) | instid1(VALU_DEP_2)
	v_add_co_u32 v0, vcc_lo, s22, v0
	s_wait_alu 0xfffd
	v_add_co_ci_u32_e64 v1, null, s23, v1, vcc_lo
	s_delay_alu instid0(VALU_DEP_2) | instskip(SKIP_1) | instid1(VALU_DEP_2)
	v_add_co_u32 v0, vcc_lo, v0, v2
	s_wait_alu 0xfffd
	v_add_co_ci_u32_e64 v1, null, v1, v3, vcc_lo
	global_store_b32 v[0:1], v5, off
.LBB113_18:
	s_endpgm
	.section	.rodata,"a",@progbits
	.p2align	6, 0x0
	.amdhsa_kernel _ZN2at6native12_GLOBAL__N_124compute_grad_weight_bagsIN3c108BFloat16ElEEvPKT0_PKT_S7_S7_lliS7_SA_lS7_PKlPNS_14AccumulateTypeIS8_Lb1EE4typeEl
		.amdhsa_group_segment_fixed_size 0
		.amdhsa_private_segment_fixed_size 0
		.amdhsa_kernarg_size 368
		.amdhsa_user_sgpr_count 2
		.amdhsa_user_sgpr_dispatch_ptr 0
		.amdhsa_user_sgpr_queue_ptr 0
		.amdhsa_user_sgpr_kernarg_segment_ptr 1
		.amdhsa_user_sgpr_dispatch_id 0
		.amdhsa_user_sgpr_private_segment_size 0
		.amdhsa_wavefront_size32 1
		.amdhsa_uses_dynamic_stack 0
		.amdhsa_enable_private_segment 0
		.amdhsa_system_sgpr_workgroup_id_x 1
		.amdhsa_system_sgpr_workgroup_id_y 0
		.amdhsa_system_sgpr_workgroup_id_z 0
		.amdhsa_system_sgpr_workgroup_info 0
		.amdhsa_system_vgpr_workitem_id 0
		.amdhsa_next_free_vgpr 28
		.amdhsa_next_free_sgpr 28
		.amdhsa_reserve_vcc 1
		.amdhsa_float_round_mode_32 0
		.amdhsa_float_round_mode_16_64 0
		.amdhsa_float_denorm_mode_32 3
		.amdhsa_float_denorm_mode_16_64 3
		.amdhsa_fp16_overflow 0
		.amdhsa_workgroup_processor_mode 1
		.amdhsa_memory_ordered 1
		.amdhsa_forward_progress 1
		.amdhsa_inst_pref_size 18
		.amdhsa_round_robin_scheduling 0
		.amdhsa_exception_fp_ieee_invalid_op 0
		.amdhsa_exception_fp_denorm_src 0
		.amdhsa_exception_fp_ieee_div_zero 0
		.amdhsa_exception_fp_ieee_overflow 0
		.amdhsa_exception_fp_ieee_underflow 0
		.amdhsa_exception_fp_ieee_inexact 0
		.amdhsa_exception_int_div_zero 0
	.end_amdhsa_kernel
	.section	.text._ZN2at6native12_GLOBAL__N_124compute_grad_weight_bagsIN3c108BFloat16ElEEvPKT0_PKT_S7_S7_lliS7_SA_lS7_PKlPNS_14AccumulateTypeIS8_Lb1EE4typeEl,"axG",@progbits,_ZN2at6native12_GLOBAL__N_124compute_grad_weight_bagsIN3c108BFloat16ElEEvPKT0_PKT_S7_S7_lliS7_SA_lS7_PKlPNS_14AccumulateTypeIS8_Lb1EE4typeEl,comdat
.Lfunc_end113:
	.size	_ZN2at6native12_GLOBAL__N_124compute_grad_weight_bagsIN3c108BFloat16ElEEvPKT0_PKT_S7_S7_lliS7_SA_lS7_PKlPNS_14AccumulateTypeIS8_Lb1EE4typeEl, .Lfunc_end113-_ZN2at6native12_GLOBAL__N_124compute_grad_weight_bagsIN3c108BFloat16ElEEvPKT0_PKT_S7_S7_lliS7_SA_lS7_PKlPNS_14AccumulateTypeIS8_Lb1EE4typeEl
                                        ; -- End function
	.set _ZN2at6native12_GLOBAL__N_124compute_grad_weight_bagsIN3c108BFloat16ElEEvPKT0_PKT_S7_S7_lliS7_SA_lS7_PKlPNS_14AccumulateTypeIS8_Lb1EE4typeEl.num_vgpr, 28
	.set _ZN2at6native12_GLOBAL__N_124compute_grad_weight_bagsIN3c108BFloat16ElEEvPKT0_PKT_S7_S7_lliS7_SA_lS7_PKlPNS_14AccumulateTypeIS8_Lb1EE4typeEl.num_agpr, 0
	.set _ZN2at6native12_GLOBAL__N_124compute_grad_weight_bagsIN3c108BFloat16ElEEvPKT0_PKT_S7_S7_lliS7_SA_lS7_PKlPNS_14AccumulateTypeIS8_Lb1EE4typeEl.numbered_sgpr, 28
	.set _ZN2at6native12_GLOBAL__N_124compute_grad_weight_bagsIN3c108BFloat16ElEEvPKT0_PKT_S7_S7_lliS7_SA_lS7_PKlPNS_14AccumulateTypeIS8_Lb1EE4typeEl.num_named_barrier, 0
	.set _ZN2at6native12_GLOBAL__N_124compute_grad_weight_bagsIN3c108BFloat16ElEEvPKT0_PKT_S7_S7_lliS7_SA_lS7_PKlPNS_14AccumulateTypeIS8_Lb1EE4typeEl.private_seg_size, 0
	.set _ZN2at6native12_GLOBAL__N_124compute_grad_weight_bagsIN3c108BFloat16ElEEvPKT0_PKT_S7_S7_lliS7_SA_lS7_PKlPNS_14AccumulateTypeIS8_Lb1EE4typeEl.uses_vcc, 1
	.set _ZN2at6native12_GLOBAL__N_124compute_grad_weight_bagsIN3c108BFloat16ElEEvPKT0_PKT_S7_S7_lliS7_SA_lS7_PKlPNS_14AccumulateTypeIS8_Lb1EE4typeEl.uses_flat_scratch, 0
	.set _ZN2at6native12_GLOBAL__N_124compute_grad_weight_bagsIN3c108BFloat16ElEEvPKT0_PKT_S7_S7_lliS7_SA_lS7_PKlPNS_14AccumulateTypeIS8_Lb1EE4typeEl.has_dyn_sized_stack, 0
	.set _ZN2at6native12_GLOBAL__N_124compute_grad_weight_bagsIN3c108BFloat16ElEEvPKT0_PKT_S7_S7_lliS7_SA_lS7_PKlPNS_14AccumulateTypeIS8_Lb1EE4typeEl.has_recursion, 0
	.set _ZN2at6native12_GLOBAL__N_124compute_grad_weight_bagsIN3c108BFloat16ElEEvPKT0_PKT_S7_S7_lliS7_SA_lS7_PKlPNS_14AccumulateTypeIS8_Lb1EE4typeEl.has_indirect_call, 0
	.section	.AMDGPU.csdata,"",@progbits
; Kernel info:
; codeLenInByte = 2244
; TotalNumSgprs: 30
; NumVgprs: 28
; ScratchSize: 0
; MemoryBound: 0
; FloatMode: 240
; IeeeMode: 1
; LDSByteSize: 0 bytes/workgroup (compile time only)
; SGPRBlocks: 0
; VGPRBlocks: 3
; NumSGPRsForWavesPerEU: 30
; NumVGPRsForWavesPerEU: 28
; Occupancy: 16
; WaveLimiterHint : 1
; COMPUTE_PGM_RSRC2:SCRATCH_EN: 0
; COMPUTE_PGM_RSRC2:USER_SGPR: 2
; COMPUTE_PGM_RSRC2:TRAP_HANDLER: 0
; COMPUTE_PGM_RSRC2:TGID_X_EN: 1
; COMPUTE_PGM_RSRC2:TGID_Y_EN: 0
; COMPUTE_PGM_RSRC2:TGID_Z_EN: 0
; COMPUTE_PGM_RSRC2:TIDIG_COMP_CNT: 0
	.section	.text._ZN2at6native12_GLOBAL__N_119compute_grad_weightIN3c108BFloat16ElEEvPKT0_PKT_S7_llS7_PKlPNS_14AccumulateTypeIS8_Lb1EE4typeEl,"axG",@progbits,_ZN2at6native12_GLOBAL__N_119compute_grad_weightIN3c108BFloat16ElEEvPKT0_PKT_S7_llS7_PKlPNS_14AccumulateTypeIS8_Lb1EE4typeEl,comdat
	.globl	_ZN2at6native12_GLOBAL__N_119compute_grad_weightIN3c108BFloat16ElEEvPKT0_PKT_S7_llS7_PKlPNS_14AccumulateTypeIS8_Lb1EE4typeEl ; -- Begin function _ZN2at6native12_GLOBAL__N_119compute_grad_weightIN3c108BFloat16ElEEvPKT0_PKT_S7_llS7_PKlPNS_14AccumulateTypeIS8_Lb1EE4typeEl
	.p2align	8
	.type	_ZN2at6native12_GLOBAL__N_119compute_grad_weightIN3c108BFloat16ElEEvPKT0_PKT_S7_llS7_PKlPNS_14AccumulateTypeIS8_Lb1EE4typeEl,@function
_ZN2at6native12_GLOBAL__N_119compute_grad_weightIN3c108BFloat16ElEEvPKT0_PKT_S7_llS7_PKlPNS_14AccumulateTypeIS8_Lb1EE4typeEl: ; @_ZN2at6native12_GLOBAL__N_119compute_grad_weightIN3c108BFloat16ElEEvPKT0_PKT_S7_llS7_PKlPNS_14AccumulateTypeIS8_Lb1EE4typeEl
; %bb.0:
	s_clause 0x2
	s_load_b32 s20, s[0:1], 0x54
	s_load_b64 s[2:3], s[0:1], 0x40
	s_load_b512 s[4:19], s[0:1], 0x0
	v_mov_b32_e32 v1, 0
	s_delay_alu instid0(VALU_DEP_1) | instskip(SKIP_2) | instid1(SALU_CYCLE_1)
	v_mov_b32_e32 v4, v1
	s_wait_kmcnt 0x0
	s_and_b32 s0, s20, 0xffff
	v_mad_co_u64_u32 v[2:3], null, s0, ttmp9, v[0:1]
                                        ; implicit-def: $vgpr0_vgpr1
	s_mov_b32 s0, exec_lo
	v_or_b32_e32 v5, s3, v3
	s_delay_alu instid0(VALU_DEP_1)
	v_cmpx_ne_u64_e32 0, v[4:5]
	s_wait_alu 0xfffe
	s_xor_b32 s1, exec_lo, s0
	s_cbranch_execz .LBB114_2
; %bb.1:
	s_ashr_i32 s20, s3, 31
	s_mov_b32 s31, 0
	s_mov_b32 s21, s20
	v_ashrrev_i32_e32 v8, 31, v3
	s_add_nc_u64 s[22:23], s[2:3], s[20:21]
	s_delay_alu instid0(SALU_CYCLE_1) | instskip(NEXT) | instid1(VALU_DEP_1)
	s_xor_b64 s[22:23], s[22:23], s[20:21]
	v_add_co_u32 v0, vcc_lo, v2, v8
	s_cvt_f32_u32 s0, s22
	s_cvt_f32_u32 s21, s23
	s_sub_nc_u64 s[26:27], 0, s[22:23]
	v_add_co_ci_u32_e64 v1, null, v3, v8, vcc_lo
	s_wait_alu 0xfffe
	s_fmamk_f32 s0, s21, 0x4f800000, s0
	v_xor_b32_e32 v9, v0, v8
	s_delay_alu instid0(VALU_DEP_2) | instskip(SKIP_2) | instid1(TRANS32_DEP_1)
	v_xor_b32_e32 v10, v1, v8
	s_wait_alu 0xfffe
	v_s_rcp_f32 s0, s0
	s_mul_f32 s0, s0, 0x5f7ffffc
	s_wait_alu 0xfffe
	s_delay_alu instid0(SALU_CYCLE_2) | instskip(NEXT) | instid1(SALU_CYCLE_3)
	s_mul_f32 s21, s0, 0x2f800000
	s_trunc_f32 s21, s21
	s_delay_alu instid0(SALU_CYCLE_3) | instskip(SKIP_2) | instid1(SALU_CYCLE_1)
	s_fmamk_f32 s0, s21, 0xcf800000, s0
	s_cvt_u32_f32 s25, s21
	s_wait_alu 0xfffe
	s_cvt_u32_f32 s24, s0
	s_delay_alu instid0(SALU_CYCLE_3) | instskip(NEXT) | instid1(SALU_CYCLE_1)
	s_mul_u64 s[28:29], s[26:27], s[24:25]
	s_mul_hi_u32 s35, s24, s29
	s_mul_i32 s34, s24, s29
	s_mul_hi_u32 s30, s24, s28
	s_mul_i32 s21, s25, s28
	s_add_nc_u64 s[34:35], s[30:31], s[34:35]
	s_mul_hi_u32 s0, s25, s28
	s_mul_hi_u32 s33, s25, s29
	s_add_co_u32 s21, s34, s21
	s_wait_alu 0xfffe
	s_add_co_ci_u32 s30, s35, s0
	s_mul_i32 s28, s25, s29
	s_add_co_ci_u32 s29, s33, 0
	s_delay_alu instid0(SALU_CYCLE_1) | instskip(NEXT) | instid1(SALU_CYCLE_1)
	s_add_nc_u64 s[28:29], s[30:31], s[28:29]
	s_add_co_u32 s24, s24, s28
	s_cselect_b32 s0, -1, 0
	s_wait_alu 0xfffe
	s_cmp_lg_u32 s0, 0
	s_add_co_ci_u32 s25, s25, s29
	s_delay_alu instid0(SALU_CYCLE_1) | instskip(NEXT) | instid1(SALU_CYCLE_1)
	s_mul_u64 s[26:27], s[26:27], s[24:25]
	s_mul_hi_u32 s29, s24, s27
	s_mul_i32 s28, s24, s27
	s_mul_hi_u32 s30, s24, s26
	s_mul_i32 s21, s25, s26
	s_add_nc_u64 s[28:29], s[30:31], s[28:29]
	s_mul_hi_u32 s0, s25, s26
	s_mul_hi_u32 s33, s25, s27
	s_add_co_u32 s21, s28, s21
	s_wait_alu 0xfffe
	s_add_co_ci_u32 s30, s29, s0
	s_mul_i32 s26, s25, s27
	s_add_co_ci_u32 s27, s33, 0
	s_delay_alu instid0(SALU_CYCLE_1) | instskip(NEXT) | instid1(SALU_CYCLE_1)
	s_add_nc_u64 s[26:27], s[30:31], s[26:27]
	s_add_co_u32 s0, s24, s26
	s_cselect_b32 s21, -1, 0
	s_wait_alu 0xfffe
	v_mul_hi_u32 v11, v9, s0
	s_cmp_lg_u32 s21, 0
	v_mad_co_u64_u32 v[4:5], null, v10, s0, 0
	s_add_co_ci_u32 s21, s25, s27
	s_delay_alu instid0(SALU_CYCLE_1) | instskip(SKIP_1) | instid1(VALU_DEP_2)
	v_mad_co_u64_u32 v[0:1], null, v9, s21, 0
	v_mad_co_u64_u32 v[6:7], null, v10, s21, 0
	v_add_co_u32 v0, vcc_lo, v11, v0
	s_wait_alu 0xfffd
	s_delay_alu instid0(VALU_DEP_3) | instskip(NEXT) | instid1(VALU_DEP_2)
	v_add_co_ci_u32_e64 v1, null, 0, v1, vcc_lo
	v_add_co_u32 v0, vcc_lo, v0, v4
	s_wait_alu 0xfffd
	s_delay_alu instid0(VALU_DEP_2) | instskip(SKIP_2) | instid1(VALU_DEP_2)
	v_add_co_ci_u32_e32 v0, vcc_lo, v1, v5, vcc_lo
	s_wait_alu 0xfffd
	v_add_co_ci_u32_e32 v1, vcc_lo, 0, v7, vcc_lo
	v_add_co_u32 v4, vcc_lo, v0, v6
	s_wait_alu 0xfffd
	s_delay_alu instid0(VALU_DEP_2) | instskip(NEXT) | instid1(VALU_DEP_2)
	v_add_co_ci_u32_e64 v5, null, 0, v1, vcc_lo
	v_mul_lo_u32 v6, s23, v4
	v_mad_co_u64_u32 v[0:1], null, s22, v4, 0
	s_delay_alu instid0(VALU_DEP_3) | instskip(NEXT) | instid1(VALU_DEP_2)
	v_mul_lo_u32 v7, s22, v5
	v_sub_co_u32 v0, vcc_lo, v9, v0
	s_delay_alu instid0(VALU_DEP_2) | instskip(SKIP_3) | instid1(VALU_DEP_3)
	v_add3_u32 v1, v1, v7, v6
	v_add_co_u32 v7, s0, v4, 2
	s_wait_alu 0xf1ff
	v_add_co_ci_u32_e64 v9, null, 0, v5, s0
	v_sub_nc_u32_e32 v6, v10, v1
	v_sub_co_u32 v11, s0, v0, s22
	s_wait_alu 0xfffd
	v_sub_co_ci_u32_e64 v1, null, v10, v1, vcc_lo
	s_delay_alu instid0(VALU_DEP_3) | instskip(NEXT) | instid1(VALU_DEP_3)
	v_subrev_co_ci_u32_e64 v6, null, s23, v6, vcc_lo
	v_cmp_le_u32_e32 vcc_lo, s22, v11
	s_wait_alu 0xf1ff
	s_delay_alu instid0(VALU_DEP_2) | instskip(SKIP_2) | instid1(VALU_DEP_2)
	v_subrev_co_ci_u32_e64 v6, null, 0, v6, s0
	s_wait_alu 0xfffd
	v_cndmask_b32_e64 v10, 0, -1, vcc_lo
	v_cmp_le_u32_e32 vcc_lo, s23, v6
	s_wait_alu 0xfffd
	v_cndmask_b32_e64 v11, 0, -1, vcc_lo
	v_cmp_le_u32_e32 vcc_lo, s22, v0
	;; [unrolled: 3-line block ×3, first 2 shown]
	s_wait_alu 0xfffd
	v_cndmask_b32_e64 v12, 0, -1, vcc_lo
	v_cmp_eq_u32_e32 vcc_lo, s23, v6
	s_wait_alu 0xfffd
	v_cndmask_b32_e32 v6, v11, v10, vcc_lo
	v_add_co_u32 v10, vcc_lo, v4, 1
	s_wait_alu 0xfffd
	v_add_co_ci_u32_e64 v11, null, 0, v5, vcc_lo
	v_cmp_eq_u32_e32 vcc_lo, s23, v1
	s_wait_alu 0xfffd
	v_cndmask_b32_e32 v0, v12, v0, vcc_lo
	v_cmp_ne_u32_e32 vcc_lo, 0, v6
	v_xor_b32_e32 v6, s20, v8
	s_wait_alu 0xfffd
	v_cndmask_b32_e32 v1, v11, v9, vcc_lo
	v_cmp_ne_u32_e64 s0, 0, v0
	v_cndmask_b32_e32 v0, v10, v7, vcc_lo
	s_wait_alu 0xf1ff
	s_delay_alu instid0(VALU_DEP_2) | instskip(NEXT) | instid1(VALU_DEP_2)
	v_cndmask_b32_e64 v1, v5, v1, s0
	v_cndmask_b32_e64 v0, v4, v0, s0
	s_delay_alu instid0(VALU_DEP_2) | instskip(NEXT) | instid1(VALU_DEP_2)
	v_xor_b32_e32 v1, v1, v6
	v_xor_b32_e32 v0, v0, v6
	s_delay_alu instid0(VALU_DEP_1) | instskip(SKIP_1) | instid1(VALU_DEP_3)
	v_sub_co_u32 v0, vcc_lo, v0, v6
	s_wait_alu 0xfffd
	v_sub_co_ci_u32_e64 v1, null, v1, v6, vcc_lo
.LBB114_2:
	s_wait_alu 0xfffe
	s_or_saveexec_b32 s0, s1
	s_load_b64 s[16:17], s[16:17], 0x0
	s_xor_b32 exec_lo, exec_lo, s0
	s_cbranch_execz .LBB114_4
; %bb.3:
	v_cvt_f32_u32_e32 v0, s2
	s_sub_co_i32 s1, 0, s2
	s_delay_alu instid0(VALU_DEP_1) | instskip(NEXT) | instid1(TRANS32_DEP_1)
	v_rcp_iflag_f32_e32 v0, v0
	v_mul_f32_e32 v0, 0x4f7ffffe, v0
	s_delay_alu instid0(VALU_DEP_1) | instskip(SKIP_1) | instid1(VALU_DEP_1)
	v_cvt_u32_f32_e32 v0, v0
	s_wait_alu 0xfffe
	v_mul_lo_u32 v1, s1, v0
	s_delay_alu instid0(VALU_DEP_1) | instskip(NEXT) | instid1(VALU_DEP_1)
	v_mul_hi_u32 v1, v0, v1
	v_add_nc_u32_e32 v0, v0, v1
	s_delay_alu instid0(VALU_DEP_1) | instskip(NEXT) | instid1(VALU_DEP_1)
	v_mul_hi_u32 v0, v2, v0
	v_mul_lo_u32 v1, v0, s2
	v_add_nc_u32_e32 v4, 1, v0
	s_delay_alu instid0(VALU_DEP_2) | instskip(NEXT) | instid1(VALU_DEP_1)
	v_sub_nc_u32_e32 v1, v2, v1
	v_subrev_nc_u32_e32 v5, s2, v1
	v_cmp_le_u32_e32 vcc_lo, s2, v1
	s_wait_alu 0xfffd
	s_delay_alu instid0(VALU_DEP_2) | instskip(NEXT) | instid1(VALU_DEP_1)
	v_dual_cndmask_b32 v1, v1, v5 :: v_dual_cndmask_b32 v0, v0, v4
	v_cmp_le_u32_e32 vcc_lo, s2, v1
	s_delay_alu instid0(VALU_DEP_2) | instskip(SKIP_1) | instid1(VALU_DEP_1)
	v_dual_mov_b32 v1, 0 :: v_dual_add_nc_u32 v4, 1, v0
	s_wait_alu 0xfffd
	v_cndmask_b32_e32 v0, v0, v4, vcc_lo
.LBB114_4:
	s_or_b32 exec_lo, exec_lo, s0
	s_delay_alu instid0(VALU_DEP_2) | instskip(NEXT) | instid1(VALU_DEP_2)
	v_mul_lo_u32 v6, v1, s2
	v_mul_lo_u32 v7, v0, s3
	v_mad_co_u64_u32 v[4:5], null, v0, s2, 0
	s_wait_kmcnt 0x0
	v_cmp_gt_i64_e64 s0, s[16:17], v[0:1]
	s_delay_alu instid0(VALU_DEP_2) | instskip(NEXT) | instid1(VALU_DEP_3)
	v_add3_u32 v5, v5, v7, v6
	v_sub_co_u32 v2, vcc_lo, v2, v4
	s_wait_alu 0xfffd
	s_delay_alu instid0(VALU_DEP_2) | instskip(NEXT) | instid1(VALU_DEP_1)
	v_sub_co_ci_u32_e64 v3, null, v3, v5, vcc_lo
	v_cmp_gt_i64_e32 vcc_lo, s[12:13], v[2:3]
	s_and_b32 s0, vcc_lo, s0
	s_wait_alu 0xfffe
	s_and_saveexec_b32 s1, s0
	s_cbranch_execz .LBB114_15
; %bb.5:
	v_lshlrev_b64_e32 v[4:5], 3, v[0:1]
	s_add_nc_u64 s[0:1], s[16:17], -1
	v_dual_mov_b32 v6, s10 :: v_dual_mov_b32 v7, s11
	s_delay_alu instid0(VALU_DEP_2) | instskip(SKIP_1) | instid1(VALU_DEP_3)
	v_add_co_u32 v8, vcc_lo, s14, v4
	s_wait_alu 0xfffd
	v_add_co_ci_u32_e64 v9, null, s15, v5, vcc_lo
	s_wait_alu 0xfffe
	v_cmp_ne_u64_e32 vcc_lo, s[0:1], v[0:1]
	global_load_b64 v[4:5], v[8:9], off
	s_and_saveexec_b32 s0, vcc_lo
	s_cbranch_execz .LBB114_7
; %bb.6:
	global_load_b64 v[6:7], v[8:9], off offset:8
.LBB114_7:
	s_wait_alu 0xfffe
	s_or_b32 exec_lo, exec_lo, s0
	s_wait_loadcnt 0x0
	v_mov_b32_e32 v5, 0
	s_mov_b32 s1, exec_lo
	v_cmpx_lt_i32_e64 v4, v6
	s_cbranch_execz .LBB114_14
; %bb.8:
	v_ashrrev_i32_e32 v5, 31, v4
	v_lshlrev_b64_e32 v[7:8], 1, v[2:3]
	s_cmp_lg_u64 s[8:9], 0
	s_mov_b32 s3, 0
	s_cselect_b32 s2, -1, 0
	v_lshlrev_b64_e32 v[9:10], 3, v[4:5]
	v_mov_b32_e32 v5, 0
	v_add_co_u32 v13, vcc_lo, s6, v7
	s_wait_alu 0xfffd
	v_add_co_ci_u32_e64 v14, null, s7, v8, vcc_lo
	s_delay_alu instid0(VALU_DEP_4)
	v_add_co_u32 v7, vcc_lo, s4, v9
	s_wait_alu 0xfffd
	v_add_co_ci_u32_e64 v8, null, s5, v10, vcc_lo
	v_add_co_u32 v9, vcc_lo, s8, v9
	s_wait_alu 0xfffd
	v_add_co_ci_u32_e64 v10, null, s9, v10, vcc_lo
	s_branch .LBB114_11
.LBB114_9:                              ;   in Loop: Header=BB114_11 Depth=1
	global_load_b64 v[15:16], v[9:10], off
	s_wait_loadcnt 0x0
	v_xor_b32_e32 v17, v15, v16
	v_cls_i32_e32 v18, v16
	s_delay_alu instid0(VALU_DEP_2) | instskip(NEXT) | instid1(VALU_DEP_2)
	v_ashrrev_i32_e32 v17, 31, v17
	v_add_nc_u32_e32 v18, -1, v18
	s_delay_alu instid0(VALU_DEP_2) | instskip(NEXT) | instid1(VALU_DEP_1)
	v_add_nc_u32_e32 v17, 32, v17
	v_min_u32_e32 v17, v18, v17
	s_delay_alu instid0(VALU_DEP_1) | instskip(NEXT) | instid1(VALU_DEP_1)
	v_lshlrev_b64_e32 v[15:16], v17, v[15:16]
	v_min_u32_e32 v15, 1, v15
	s_delay_alu instid0(VALU_DEP_1) | instskip(SKIP_1) | instid1(VALU_DEP_2)
	v_or_b32_e32 v15, v16, v15
	v_sub_nc_u32_e32 v16, 32, v17
	v_cvt_f32_i32_e32 v15, v15
	s_delay_alu instid0(VALU_DEP_1) | instskip(NEXT) | instid1(VALU_DEP_1)
	v_ldexp_f32 v15, v15, v16
	v_div_scale_f32 v16, null, v15, v15, 1.0
	s_delay_alu instid0(VALU_DEP_1) | instskip(NEXT) | instid1(TRANS32_DEP_1)
	v_rcp_f32_e32 v17, v16
	v_fma_f32 v18, -v16, v17, 1.0
	s_delay_alu instid0(VALU_DEP_1) | instskip(SKIP_1) | instid1(VALU_DEP_1)
	v_fmac_f32_e32 v17, v18, v17
	v_div_scale_f32 v18, vcc_lo, 1.0, v15, 1.0
	v_mul_f32_e32 v19, v18, v17
	s_delay_alu instid0(VALU_DEP_1) | instskip(NEXT) | instid1(VALU_DEP_1)
	v_fma_f32 v20, -v16, v19, v18
	v_fmac_f32_e32 v19, v20, v17
	s_delay_alu instid0(VALU_DEP_1) | instskip(SKIP_1) | instid1(VALU_DEP_1)
	v_fma_f32 v16, -v16, v19, v18
	s_wait_alu 0xfffd
	v_div_fmas_f32 v16, v16, v17, v19
	s_delay_alu instid0(VALU_DEP_1)
	v_div_fixup_f32 v15, v16, v15, 1.0
.LBB114_10:                             ;   in Loop: Header=BB114_11 Depth=1
	s_wait_loadcnt 0x0
	v_mul_lo_u32 v16, v12, s12
	v_mul_lo_u32 v17, v11, s13
	v_mad_co_u64_u32 v[11:12], null, v11, s12, 0
	v_add_co_u32 v9, s0, v9, 8
	s_wait_alu 0xf1ff
	v_add_co_ci_u32_e64 v10, null, 0, v10, s0
	s_delay_alu instid0(VALU_DEP_3) | instskip(NEXT) | instid1(VALU_DEP_1)
	v_add3_u32 v12, v12, v17, v16
	v_lshlrev_b64_e32 v[11:12], 1, v[11:12]
	s_delay_alu instid0(VALU_DEP_1) | instskip(SKIP_1) | instid1(VALU_DEP_2)
	v_add_co_u32 v11, vcc_lo, v13, v11
	s_wait_alu 0xfffd
	v_add_co_ci_u32_e64 v12, null, v14, v12, vcc_lo
	v_add_co_u32 v7, vcc_lo, v7, 8
	s_wait_alu 0xfffd
	v_add_co_ci_u32_e64 v8, null, 0, v8, vcc_lo
	global_load_u16 v11, v[11:12], off
	s_wait_loadcnt 0x0
	v_lshlrev_b32_e32 v11, 16, v11
	s_delay_alu instid0(VALU_DEP_1) | instskip(NEXT) | instid1(VALU_DEP_1)
	v_dual_fmac_f32 v5, v15, v11 :: v_dual_add_nc_u32 v4, 1, v4
	v_cmp_ge_i32_e32 vcc_lo, v4, v6
	s_or_b32 s3, vcc_lo, s3
	s_wait_alu 0xfffe
	s_and_not1_b32 exec_lo, exec_lo, s3
	s_cbranch_execz .LBB114_13
.LBB114_11:                             ; =>This Inner Loop Header: Depth=1
	global_load_b64 v[11:12], v[7:8], off
	s_wait_alu 0xfffe
	s_and_not1_b32 vcc_lo, exec_lo, s2
	s_wait_alu 0xfffe
	s_cbranch_vccz .LBB114_9
; %bb.12:                               ;   in Loop: Header=BB114_11 Depth=1
	v_mov_b32_e32 v15, 1.0
	s_branch .LBB114_10
.LBB114_13:
	s_or_b32 exec_lo, exec_lo, s3
.LBB114_14:
	s_wait_alu 0xfffe
	s_or_b32 exec_lo, exec_lo, s1
	v_mul_lo_u32 v4, v1, s12
	v_mul_lo_u32 v6, v0, s13
	v_mad_co_u64_u32 v[0:1], null, v0, s12, 0
	v_lshlrev_b64_e32 v[2:3], 2, v[2:3]
	s_delay_alu instid0(VALU_DEP_2) | instskip(NEXT) | instid1(VALU_DEP_1)
	v_add3_u32 v1, v1, v6, v4
	v_lshlrev_b64_e32 v[0:1], 2, v[0:1]
	s_delay_alu instid0(VALU_DEP_1) | instskip(SKIP_1) | instid1(VALU_DEP_2)
	v_add_co_u32 v0, vcc_lo, s18, v0
	s_wait_alu 0xfffd
	v_add_co_ci_u32_e64 v1, null, s19, v1, vcc_lo
	s_delay_alu instid0(VALU_DEP_2) | instskip(SKIP_1) | instid1(VALU_DEP_2)
	v_add_co_u32 v0, vcc_lo, v0, v2
	s_wait_alu 0xfffd
	v_add_co_ci_u32_e64 v1, null, v1, v3, vcc_lo
	global_store_b32 v[0:1], v5, off
.LBB114_15:
	s_endpgm
	.section	.rodata,"a",@progbits
	.p2align	6, 0x0
	.amdhsa_kernel _ZN2at6native12_GLOBAL__N_119compute_grad_weightIN3c108BFloat16ElEEvPKT0_PKT_S7_llS7_PKlPNS_14AccumulateTypeIS8_Lb1EE4typeEl
		.amdhsa_group_segment_fixed_size 0
		.amdhsa_private_segment_fixed_size 0
		.amdhsa_kernarg_size 328
		.amdhsa_user_sgpr_count 2
		.amdhsa_user_sgpr_dispatch_ptr 0
		.amdhsa_user_sgpr_queue_ptr 0
		.amdhsa_user_sgpr_kernarg_segment_ptr 1
		.amdhsa_user_sgpr_dispatch_id 0
		.amdhsa_user_sgpr_private_segment_size 0
		.amdhsa_wavefront_size32 1
		.amdhsa_uses_dynamic_stack 0
		.amdhsa_enable_private_segment 0
		.amdhsa_system_sgpr_workgroup_id_x 1
		.amdhsa_system_sgpr_workgroup_id_y 0
		.amdhsa_system_sgpr_workgroup_id_z 0
		.amdhsa_system_sgpr_workgroup_info 0
		.amdhsa_system_vgpr_workitem_id 0
		.amdhsa_next_free_vgpr 21
		.amdhsa_next_free_sgpr 36
		.amdhsa_reserve_vcc 1
		.amdhsa_float_round_mode_32 0
		.amdhsa_float_round_mode_16_64 0
		.amdhsa_float_denorm_mode_32 3
		.amdhsa_float_denorm_mode_16_64 3
		.amdhsa_fp16_overflow 0
		.amdhsa_workgroup_processor_mode 1
		.amdhsa_memory_ordered 1
		.amdhsa_forward_progress 1
		.amdhsa_inst_pref_size 15
		.amdhsa_round_robin_scheduling 0
		.amdhsa_exception_fp_ieee_invalid_op 0
		.amdhsa_exception_fp_denorm_src 0
		.amdhsa_exception_fp_ieee_div_zero 0
		.amdhsa_exception_fp_ieee_overflow 0
		.amdhsa_exception_fp_ieee_underflow 0
		.amdhsa_exception_fp_ieee_inexact 0
		.amdhsa_exception_int_div_zero 0
	.end_amdhsa_kernel
	.section	.text._ZN2at6native12_GLOBAL__N_119compute_grad_weightIN3c108BFloat16ElEEvPKT0_PKT_S7_llS7_PKlPNS_14AccumulateTypeIS8_Lb1EE4typeEl,"axG",@progbits,_ZN2at6native12_GLOBAL__N_119compute_grad_weightIN3c108BFloat16ElEEvPKT0_PKT_S7_llS7_PKlPNS_14AccumulateTypeIS8_Lb1EE4typeEl,comdat
.Lfunc_end114:
	.size	_ZN2at6native12_GLOBAL__N_119compute_grad_weightIN3c108BFloat16ElEEvPKT0_PKT_S7_llS7_PKlPNS_14AccumulateTypeIS8_Lb1EE4typeEl, .Lfunc_end114-_ZN2at6native12_GLOBAL__N_119compute_grad_weightIN3c108BFloat16ElEEvPKT0_PKT_S7_llS7_PKlPNS_14AccumulateTypeIS8_Lb1EE4typeEl
                                        ; -- End function
	.set _ZN2at6native12_GLOBAL__N_119compute_grad_weightIN3c108BFloat16ElEEvPKT0_PKT_S7_llS7_PKlPNS_14AccumulateTypeIS8_Lb1EE4typeEl.num_vgpr, 21
	.set _ZN2at6native12_GLOBAL__N_119compute_grad_weightIN3c108BFloat16ElEEvPKT0_PKT_S7_llS7_PKlPNS_14AccumulateTypeIS8_Lb1EE4typeEl.num_agpr, 0
	.set _ZN2at6native12_GLOBAL__N_119compute_grad_weightIN3c108BFloat16ElEEvPKT0_PKT_S7_llS7_PKlPNS_14AccumulateTypeIS8_Lb1EE4typeEl.numbered_sgpr, 36
	.set _ZN2at6native12_GLOBAL__N_119compute_grad_weightIN3c108BFloat16ElEEvPKT0_PKT_S7_llS7_PKlPNS_14AccumulateTypeIS8_Lb1EE4typeEl.num_named_barrier, 0
	.set _ZN2at6native12_GLOBAL__N_119compute_grad_weightIN3c108BFloat16ElEEvPKT0_PKT_S7_llS7_PKlPNS_14AccumulateTypeIS8_Lb1EE4typeEl.private_seg_size, 0
	.set _ZN2at6native12_GLOBAL__N_119compute_grad_weightIN3c108BFloat16ElEEvPKT0_PKT_S7_llS7_PKlPNS_14AccumulateTypeIS8_Lb1EE4typeEl.uses_vcc, 1
	.set _ZN2at6native12_GLOBAL__N_119compute_grad_weightIN3c108BFloat16ElEEvPKT0_PKT_S7_llS7_PKlPNS_14AccumulateTypeIS8_Lb1EE4typeEl.uses_flat_scratch, 0
	.set _ZN2at6native12_GLOBAL__N_119compute_grad_weightIN3c108BFloat16ElEEvPKT0_PKT_S7_llS7_PKlPNS_14AccumulateTypeIS8_Lb1EE4typeEl.has_dyn_sized_stack, 0
	.set _ZN2at6native12_GLOBAL__N_119compute_grad_weightIN3c108BFloat16ElEEvPKT0_PKT_S7_llS7_PKlPNS_14AccumulateTypeIS8_Lb1EE4typeEl.has_recursion, 0
	.set _ZN2at6native12_GLOBAL__N_119compute_grad_weightIN3c108BFloat16ElEEvPKT0_PKT_S7_llS7_PKlPNS_14AccumulateTypeIS8_Lb1EE4typeEl.has_indirect_call, 0
	.section	.AMDGPU.csdata,"",@progbits
; Kernel info:
; codeLenInByte = 1800
; TotalNumSgprs: 38
; NumVgprs: 21
; ScratchSize: 0
; MemoryBound: 0
; FloatMode: 240
; IeeeMode: 1
; LDSByteSize: 0 bytes/workgroup (compile time only)
; SGPRBlocks: 0
; VGPRBlocks: 2
; NumSGPRsForWavesPerEU: 38
; NumVGPRsForWavesPerEU: 21
; Occupancy: 16
; WaveLimiterHint : 1
; COMPUTE_PGM_RSRC2:SCRATCH_EN: 0
; COMPUTE_PGM_RSRC2:USER_SGPR: 2
; COMPUTE_PGM_RSRC2:TRAP_HANDLER: 0
; COMPUTE_PGM_RSRC2:TGID_X_EN: 1
; COMPUTE_PGM_RSRC2:TGID_Y_EN: 0
; COMPUTE_PGM_RSRC2:TGID_Z_EN: 0
; COMPUTE_PGM_RSRC2:TIDIG_COMP_CNT: 0
	.section	.text._ZN2at6native12_GLOBAL__N_115sum_and_scatterIN3c108BFloat16ElEEvPKT0_PT_lS7_PKlPKNS_14AccumulateTypeIS8_Lb1EE4typeES7_SB_ll,"axG",@progbits,_ZN2at6native12_GLOBAL__N_115sum_and_scatterIN3c108BFloat16ElEEvPKT0_PT_lS7_PKlPKNS_14AccumulateTypeIS8_Lb1EE4typeES7_SB_ll,comdat
	.globl	_ZN2at6native12_GLOBAL__N_115sum_and_scatterIN3c108BFloat16ElEEvPKT0_PT_lS7_PKlPKNS_14AccumulateTypeIS8_Lb1EE4typeES7_SB_ll ; -- Begin function _ZN2at6native12_GLOBAL__N_115sum_and_scatterIN3c108BFloat16ElEEvPKT0_PT_lS7_PKlPKNS_14AccumulateTypeIS8_Lb1EE4typeES7_SB_ll
	.p2align	8
	.type	_ZN2at6native12_GLOBAL__N_115sum_and_scatterIN3c108BFloat16ElEEvPKT0_PT_lS7_PKlPKNS_14AccumulateTypeIS8_Lb1EE4typeES7_SB_ll,@function
_ZN2at6native12_GLOBAL__N_115sum_and_scatterIN3c108BFloat16ElEEvPKT0_PT_lS7_PKlPKNS_14AccumulateTypeIS8_Lb1EE4typeES7_SB_ll: ; @_ZN2at6native12_GLOBAL__N_115sum_and_scatterIN3c108BFloat16ElEEvPKT0_PT_lS7_PKlPKNS_14AccumulateTypeIS8_Lb1EE4typeES7_SB_ll
; %bb.0:
	s_clause 0x2
	s_load_b32 s2, s[0:1], 0x5c
	s_load_b128 s[20:23], s[0:1], 0x40
	s_load_b512 s[4:19], s[0:1], 0x0
	v_mov_b32_e32 v1, 0
                                        ; implicit-def: $vgpr6_vgpr7
	s_delay_alu instid0(VALU_DEP_1) | instskip(SKIP_2) | instid1(SALU_CYCLE_1)
	v_mov_b32_e32 v4, v1
	s_wait_kmcnt 0x0
	s_and_b32 s0, s2, 0xffff
	v_mad_co_u64_u32 v[2:3], null, s0, ttmp9, v[0:1]
	s_mov_b32 s0, exec_lo
	v_or_b32_e32 v5, s23, v3
	s_delay_alu instid0(VALU_DEP_1)
	v_cmpx_ne_u64_e32 0, v[4:5]
	s_wait_alu 0xfffe
	s_xor_b32 s1, exec_lo, s0
	s_cbranch_execz .LBB115_2
; %bb.1:
	s_ashr_i32 s2, s23, 31
	s_mov_b32 s35, 0
	s_mov_b32 s3, s2
	v_ashrrev_i32_e32 v8, 31, v3
	s_add_nc_u64 s[24:25], s[22:23], s[2:3]
	s_delay_alu instid0(SALU_CYCLE_1) | instskip(NEXT) | instid1(VALU_DEP_1)
	s_xor_b64 s[24:25], s[24:25], s[2:3]
	v_add_co_u32 v0, vcc_lo, v2, v8
	s_cvt_f32_u32 s0, s24
	s_cvt_f32_u32 s3, s25
	s_sub_nc_u64 s[28:29], 0, s[24:25]
	v_add_co_ci_u32_e64 v1, null, v3, v8, vcc_lo
	s_wait_alu 0xfffe
	s_fmamk_f32 s0, s3, 0x4f800000, s0
	v_xor_b32_e32 v9, v0, v8
	s_delay_alu instid0(VALU_DEP_2) | instskip(SKIP_2) | instid1(TRANS32_DEP_1)
	v_xor_b32_e32 v10, v1, v8
	s_wait_alu 0xfffe
	v_s_rcp_f32 s0, s0
	s_mul_f32 s0, s0, 0x5f7ffffc
	s_wait_alu 0xfffe
	s_delay_alu instid0(SALU_CYCLE_2) | instskip(NEXT) | instid1(SALU_CYCLE_3)
	s_mul_f32 s3, s0, 0x2f800000
	s_trunc_f32 s3, s3
	s_delay_alu instid0(SALU_CYCLE_3) | instskip(SKIP_2) | instid1(SALU_CYCLE_1)
	s_fmamk_f32 s0, s3, 0xcf800000, s0
	s_cvt_u32_f32 s27, s3
	s_wait_alu 0xfffe
	s_cvt_u32_f32 s26, s0
	s_delay_alu instid0(SALU_CYCLE_3) | instskip(NEXT) | instid1(SALU_CYCLE_1)
	s_mul_u64 s[30:31], s[28:29], s[26:27]
	s_mul_hi_u32 s37, s26, s31
	s_mul_i32 s36, s26, s31
	s_mul_hi_u32 s34, s26, s30
	s_mul_i32 s3, s27, s30
	s_add_nc_u64 s[36:37], s[34:35], s[36:37]
	s_mul_hi_u32 s0, s27, s30
	s_mul_hi_u32 s33, s27, s31
	s_add_co_u32 s3, s36, s3
	s_wait_alu 0xfffe
	s_add_co_ci_u32 s34, s37, s0
	s_mul_i32 s30, s27, s31
	s_add_co_ci_u32 s31, s33, 0
	s_delay_alu instid0(SALU_CYCLE_1) | instskip(NEXT) | instid1(SALU_CYCLE_1)
	s_add_nc_u64 s[30:31], s[34:35], s[30:31]
	s_add_co_u32 s26, s26, s30
	s_cselect_b32 s0, -1, 0
	s_wait_alu 0xfffe
	s_cmp_lg_u32 s0, 0
	s_add_co_ci_u32 s27, s27, s31
	s_delay_alu instid0(SALU_CYCLE_1) | instskip(NEXT) | instid1(SALU_CYCLE_1)
	s_mul_u64 s[28:29], s[28:29], s[26:27]
	s_mul_hi_u32 s31, s26, s29
	s_mul_i32 s30, s26, s29
	s_mul_hi_u32 s34, s26, s28
	s_mul_i32 s3, s27, s28
	s_add_nc_u64 s[30:31], s[34:35], s[30:31]
	s_mul_hi_u32 s0, s27, s28
	s_mul_hi_u32 s33, s27, s29
	s_add_co_u32 s3, s30, s3
	s_wait_alu 0xfffe
	s_add_co_ci_u32 s34, s31, s0
	s_mul_i32 s28, s27, s29
	s_add_co_ci_u32 s29, s33, 0
	s_delay_alu instid0(SALU_CYCLE_1) | instskip(NEXT) | instid1(SALU_CYCLE_1)
	s_add_nc_u64 s[28:29], s[34:35], s[28:29]
	s_add_co_u32 s0, s26, s28
	s_cselect_b32 s3, -1, 0
	s_wait_alu 0xfffe
	v_mul_hi_u32 v11, v9, s0
	s_cmp_lg_u32 s3, 0
	v_mad_co_u64_u32 v[4:5], null, v10, s0, 0
	s_add_co_ci_u32 s3, s27, s29
	s_delay_alu instid0(SALU_CYCLE_1) | instskip(SKIP_1) | instid1(VALU_DEP_2)
	v_mad_co_u64_u32 v[0:1], null, v9, s3, 0
	v_mad_co_u64_u32 v[6:7], null, v10, s3, 0
	v_add_co_u32 v0, vcc_lo, v11, v0
	s_wait_alu 0xfffd
	s_delay_alu instid0(VALU_DEP_3) | instskip(NEXT) | instid1(VALU_DEP_2)
	v_add_co_ci_u32_e64 v1, null, 0, v1, vcc_lo
	v_add_co_u32 v0, vcc_lo, v0, v4
	s_wait_alu 0xfffd
	s_delay_alu instid0(VALU_DEP_2) | instskip(SKIP_2) | instid1(VALU_DEP_2)
	v_add_co_ci_u32_e32 v0, vcc_lo, v1, v5, vcc_lo
	s_wait_alu 0xfffd
	v_add_co_ci_u32_e32 v1, vcc_lo, 0, v7, vcc_lo
	v_add_co_u32 v4, vcc_lo, v0, v6
	s_wait_alu 0xfffd
	s_delay_alu instid0(VALU_DEP_2) | instskip(NEXT) | instid1(VALU_DEP_2)
	v_add_co_ci_u32_e64 v5, null, 0, v1, vcc_lo
	v_mul_lo_u32 v6, s25, v4
	v_mad_co_u64_u32 v[0:1], null, s24, v4, 0
	s_delay_alu instid0(VALU_DEP_3) | instskip(NEXT) | instid1(VALU_DEP_2)
	v_mul_lo_u32 v7, s24, v5
	v_sub_co_u32 v0, vcc_lo, v9, v0
	s_delay_alu instid0(VALU_DEP_2) | instskip(SKIP_3) | instid1(VALU_DEP_3)
	v_add3_u32 v1, v1, v7, v6
	v_add_co_u32 v7, s0, v4, 2
	s_wait_alu 0xf1ff
	v_add_co_ci_u32_e64 v9, null, 0, v5, s0
	v_sub_nc_u32_e32 v6, v10, v1
	v_sub_co_u32 v11, s0, v0, s24
	s_wait_alu 0xfffd
	v_sub_co_ci_u32_e64 v1, null, v10, v1, vcc_lo
	s_delay_alu instid0(VALU_DEP_3) | instskip(NEXT) | instid1(VALU_DEP_3)
	v_subrev_co_ci_u32_e64 v6, null, s25, v6, vcc_lo
	v_cmp_le_u32_e32 vcc_lo, s24, v11
	s_wait_alu 0xf1ff
	s_delay_alu instid0(VALU_DEP_2) | instskip(SKIP_2) | instid1(VALU_DEP_2)
	v_subrev_co_ci_u32_e64 v6, null, 0, v6, s0
	s_wait_alu 0xfffd
	v_cndmask_b32_e64 v10, 0, -1, vcc_lo
	v_cmp_le_u32_e32 vcc_lo, s25, v6
	s_wait_alu 0xfffd
	v_cndmask_b32_e64 v11, 0, -1, vcc_lo
	v_cmp_le_u32_e32 vcc_lo, s24, v0
	;; [unrolled: 3-line block ×3, first 2 shown]
	s_wait_alu 0xfffd
	v_cndmask_b32_e64 v12, 0, -1, vcc_lo
	v_cmp_eq_u32_e32 vcc_lo, s25, v6
	s_wait_alu 0xfffd
	v_cndmask_b32_e32 v6, v11, v10, vcc_lo
	v_add_co_u32 v10, vcc_lo, v4, 1
	s_wait_alu 0xfffd
	v_add_co_ci_u32_e64 v11, null, 0, v5, vcc_lo
	v_cmp_eq_u32_e32 vcc_lo, s25, v1
	s_wait_alu 0xfffd
	v_cndmask_b32_e32 v0, v12, v0, vcc_lo
	v_cmp_ne_u32_e32 vcc_lo, 0, v6
	s_wait_alu 0xfffd
	v_cndmask_b32_e32 v1, v11, v9, vcc_lo
	s_delay_alu instid0(VALU_DEP_3) | instskip(SKIP_3) | instid1(VALU_DEP_3)
	v_cmp_ne_u32_e64 s0, 0, v0
	v_cndmask_b32_e32 v0, v10, v7, vcc_lo
	v_xor_b32_e32 v7, s2, v8
	s_wait_alu 0xf1ff
	v_cndmask_b32_e64 v1, v5, v1, s0
	s_delay_alu instid0(VALU_DEP_3) | instskip(NEXT) | instid1(VALU_DEP_2)
	v_cndmask_b32_e64 v0, v4, v0, s0
	v_xor_b32_e32 v1, v1, v7
	s_delay_alu instid0(VALU_DEP_2) | instskip(NEXT) | instid1(VALU_DEP_1)
	v_xor_b32_e32 v0, v0, v7
	v_sub_co_u32 v6, vcc_lo, v0, v7
	s_wait_alu 0xfffd
	s_delay_alu instid0(VALU_DEP_3)
	v_sub_co_ci_u32_e64 v7, null, v1, v7, vcc_lo
.LBB115_2:
	s_wait_alu 0xfffe
	s_or_saveexec_b32 s0, s1
	s_load_b64 s[2:3], s[12:13], 0x0
	s_xor_b32 exec_lo, exec_lo, s0
	s_cbranch_execz .LBB115_4
; %bb.3:
	v_cvt_f32_u32_e32 v0, s22
	s_sub_co_i32 s1, 0, s22
	v_mov_b32_e32 v7, 0
	s_delay_alu instid0(VALU_DEP_2) | instskip(NEXT) | instid1(TRANS32_DEP_1)
	v_rcp_iflag_f32_e32 v0, v0
	v_mul_f32_e32 v0, 0x4f7ffffe, v0
	s_delay_alu instid0(VALU_DEP_1) | instskip(SKIP_1) | instid1(VALU_DEP_1)
	v_cvt_u32_f32_e32 v0, v0
	s_wait_alu 0xfffe
	v_mul_lo_u32 v1, s1, v0
	s_delay_alu instid0(VALU_DEP_1) | instskip(NEXT) | instid1(VALU_DEP_1)
	v_mul_hi_u32 v1, v0, v1
	v_add_nc_u32_e32 v0, v0, v1
	s_delay_alu instid0(VALU_DEP_1) | instskip(NEXT) | instid1(VALU_DEP_1)
	v_mul_hi_u32 v0, v2, v0
	v_mul_lo_u32 v1, v0, s22
	v_add_nc_u32_e32 v4, 1, v0
	s_delay_alu instid0(VALU_DEP_2) | instskip(NEXT) | instid1(VALU_DEP_1)
	v_sub_nc_u32_e32 v1, v2, v1
	v_subrev_nc_u32_e32 v5, s22, v1
	v_cmp_le_u32_e32 vcc_lo, s22, v1
	s_wait_alu 0xfffd
	s_delay_alu instid0(VALU_DEP_2) | instskip(NEXT) | instid1(VALU_DEP_1)
	v_dual_cndmask_b32 v1, v1, v5 :: v_dual_cndmask_b32 v0, v0, v4
	v_cmp_le_u32_e32 vcc_lo, s22, v1
	s_delay_alu instid0(VALU_DEP_2) | instskip(SKIP_1) | instid1(VALU_DEP_1)
	v_add_nc_u32_e32 v4, 1, v0
	s_wait_alu 0xfffd
	v_cndmask_b32_e32 v6, v0, v4, vcc_lo
.LBB115_4:
	s_or_b32 exec_lo, exec_lo, s0
	v_mul_lo_u32 v0, v7, s22
	s_delay_alu instid0(VALU_DEP_2) | instskip(SKIP_3) | instid1(VALU_DEP_2)
	v_mul_lo_u32 v1, v6, s23
	v_mad_co_u64_u32 v[8:9], null, v6, s22, 0
	s_wait_kmcnt 0x0
	v_cmp_gt_i64_e64 s0, s[2:3], v[6:7]
	v_add3_u32 v9, v9, v1, v0
	s_delay_alu instid0(VALU_DEP_3) | instskip(SKIP_1) | instid1(VALU_DEP_2)
	v_sub_co_u32 v0, vcc_lo, v2, v8
	s_wait_alu 0xfffd
	v_sub_co_ci_u32_e64 v1, null, v3, v9, vcc_lo
	s_delay_alu instid0(VALU_DEP_1)
	v_cmp_gt_i64_e32 vcc_lo, s[8:9], v[0:1]
	s_and_b32 s0, vcc_lo, s0
	s_wait_alu 0xfffe
	s_and_saveexec_b32 s1, s0
	s_cbranch_execz .LBB115_11
; %bb.5:
	v_lshlrev_b64_e32 v[4:5], 3, v[6:7]
	s_add_nc_u64 s[0:1], s[2:3], -1
	s_delay_alu instid0(VALU_DEP_1) | instskip(SKIP_1) | instid1(VALU_DEP_2)
	v_add_co_u32 v10, vcc_lo, s16, v4
	s_wait_alu 0xfffd
	v_add_co_ci_u32_e64 v11, null, s17, v5, vcc_lo
	s_delay_alu instid0(VALU_DEP_2) | instskip(SKIP_1) | instid1(VALU_DEP_2)
	v_add_co_u32 v12, vcc_lo, v10, 8
	s_wait_alu 0xfffd
	v_add_co_ci_u32_e64 v13, null, 0, v11, vcc_lo
	s_wait_alu 0xfffe
	v_cmp_eq_u64_e32 vcc_lo, s[0:1], v[6:7]
	v_mov_b32_e32 v6, 0
	s_mov_b32 s1, exec_lo
	s_wait_alu 0xfffd
	v_cndmask_b32_e64 v13, v13, s19, vcc_lo
	v_cndmask_b32_e64 v12, v12, s18, vcc_lo
	global_load_b32 v7, v[10:11], off
	global_load_b32 v10, v[12:13], off
	s_wait_loadcnt 0x0
	v_cmpx_lt_i32_e64 v7, v10
	s_cbranch_execz .LBB115_9
; %bb.6:
	v_ashrrev_i32_e32 v6, 31, v7
	v_mul_lo_u32 v13, s9, v7
	v_mad_co_u64_u32 v[11:12], null, s8, v7, 0
	v_lshlrev_b64_e32 v[2:3], 2, v[2:3]
	s_delay_alu instid0(VALU_DEP_4) | instskip(SKIP_3) | instid1(VALU_DEP_2)
	v_mul_lo_u32 v6, s8, v6
	v_lshlrev_b64_e32 v[8:9], 2, v[8:9]
	s_lshl_b64 s[2:3], s[8:9], 2
	s_mov_b32 s12, 0
	v_add3_u32 v12, v12, v6, v13
	v_mov_b32_e32 v6, 0
	s_delay_alu instid0(VALU_DEP_2) | instskip(NEXT) | instid1(VALU_DEP_1)
	v_lshlrev_b64_e32 v[11:12], 2, v[11:12]
	v_add_co_u32 v2, vcc_lo, v11, v2
	s_wait_alu 0xfffd
	s_delay_alu instid0(VALU_DEP_2) | instskip(NEXT) | instid1(VALU_DEP_2)
	v_add_co_ci_u32_e64 v3, null, v12, v3, vcc_lo
	v_sub_co_u32 v2, vcc_lo, v2, v8
	s_wait_alu 0xfffd
	s_delay_alu instid0(VALU_DEP_2) | instskip(NEXT) | instid1(VALU_DEP_2)
	v_sub_co_ci_u32_e64 v3, null, v3, v9, vcc_lo
	v_add_co_u32 v2, vcc_lo, s14, v2
	s_wait_alu 0xfffd
	s_delay_alu instid0(VALU_DEP_2)
	v_add_co_ci_u32_e64 v3, null, s15, v3, vcc_lo
.LBB115_7:                              ; =>This Inner Loop Header: Depth=1
	global_load_b32 v8, v[2:3], off
	v_add_nc_u32_e32 v7, 1, v7
	s_wait_alu 0xfffe
	v_add_co_u32 v2, vcc_lo, v2, s2
	s_wait_alu 0xfffd
	v_add_co_ci_u32_e64 v3, null, s3, v3, vcc_lo
	s_wait_loadcnt 0x0
	v_add_f32_e32 v6, v6, v8
	v_cmp_ge_i32_e64 s0, v7, v10
	s_or_b32 s12, s0, s12
	s_delay_alu instid0(SALU_CYCLE_1)
	s_and_not1_b32 exec_lo, exec_lo, s12
	s_cbranch_execnz .LBB115_7
; %bb.8:
	s_or_b32 exec_lo, exec_lo, s12
.LBB115_9:
	s_wait_alu 0xfffe
	s_or_b32 exec_lo, exec_lo, s1
	v_add_co_u32 v2, vcc_lo, s10, v4
	s_wait_alu 0xfffd
	v_add_co_ci_u32_e64 v3, null, s11, v5, vcc_lo
	global_load_b64 v[2:3], v[2:3], off
	s_wait_loadcnt 0x0
	v_lshlrev_b64_e32 v[2:3], 3, v[2:3]
	s_delay_alu instid0(VALU_DEP_1) | instskip(SKIP_1) | instid1(VALU_DEP_2)
	v_add_co_u32 v2, vcc_lo, s4, v2
	s_wait_alu 0xfffd
	v_add_co_ci_u32_e64 v3, null, s5, v3, vcc_lo
	global_load_b64 v[2:3], v[2:3], off
	s_wait_loadcnt 0x0
	v_cmp_ne_u64_e32 vcc_lo, s[20:21], v[2:3]
	s_and_b32 exec_lo, exec_lo, vcc_lo
	s_cbranch_execz .LBB115_11
; %bb.10:
	v_mul_lo_u32 v4, v3, s8
	v_mul_lo_u32 v5, v2, s9
	v_mad_co_u64_u32 v[2:3], null, v2, s8, 0
	v_bfe_u32 v7, v6, 16, 1
	v_lshlrev_b64_e32 v[0:1], 1, v[0:1]
	s_delay_alu instid0(VALU_DEP_3) | instskip(NEXT) | instid1(VALU_DEP_3)
	v_add3_u32 v3, v3, v5, v4
	v_add3_u32 v4, v6, v7, 0x7fff
	s_delay_alu instid0(VALU_DEP_2) | instskip(NEXT) | instid1(VALU_DEP_2)
	v_lshlrev_b64_e32 v[2:3], 1, v[2:3]
	v_lshrrev_b32_e32 v4, 16, v4
	s_delay_alu instid0(VALU_DEP_2) | instskip(SKIP_1) | instid1(VALU_DEP_3)
	v_add_co_u32 v2, vcc_lo, s6, v2
	s_wait_alu 0xfffd
	v_add_co_ci_u32_e64 v3, null, s7, v3, vcc_lo
	v_cmp_o_f32_e32 vcc_lo, v6, v6
	s_wait_alu 0xfffd
	v_cndmask_b32_e32 v4, 0x7fc0, v4, vcc_lo
	v_add_co_u32 v0, vcc_lo, v2, v0
	s_wait_alu 0xfffd
	v_add_co_ci_u32_e64 v1, null, v3, v1, vcc_lo
	global_store_b16 v[0:1], v4, off
.LBB115_11:
	s_endpgm
	.section	.rodata,"a",@progbits
	.p2align	6, 0x0
	.amdhsa_kernel _ZN2at6native12_GLOBAL__N_115sum_and_scatterIN3c108BFloat16ElEEvPKT0_PT_lS7_PKlPKNS_14AccumulateTypeIS8_Lb1EE4typeES7_SB_ll
		.amdhsa_group_segment_fixed_size 0
		.amdhsa_private_segment_fixed_size 0
		.amdhsa_kernarg_size 336
		.amdhsa_user_sgpr_count 2
		.amdhsa_user_sgpr_dispatch_ptr 0
		.amdhsa_user_sgpr_queue_ptr 0
		.amdhsa_user_sgpr_kernarg_segment_ptr 1
		.amdhsa_user_sgpr_dispatch_id 0
		.amdhsa_user_sgpr_private_segment_size 0
		.amdhsa_wavefront_size32 1
		.amdhsa_uses_dynamic_stack 0
		.amdhsa_enable_private_segment 0
		.amdhsa_system_sgpr_workgroup_id_x 1
		.amdhsa_system_sgpr_workgroup_id_y 0
		.amdhsa_system_sgpr_workgroup_id_z 0
		.amdhsa_system_sgpr_workgroup_info 0
		.amdhsa_system_vgpr_workitem_id 0
		.amdhsa_next_free_vgpr 14
		.amdhsa_next_free_sgpr 38
		.amdhsa_reserve_vcc 1
		.amdhsa_float_round_mode_32 0
		.amdhsa_float_round_mode_16_64 0
		.amdhsa_float_denorm_mode_32 3
		.amdhsa_float_denorm_mode_16_64 3
		.amdhsa_fp16_overflow 0
		.amdhsa_workgroup_processor_mode 1
		.amdhsa_memory_ordered 1
		.amdhsa_forward_progress 1
		.amdhsa_inst_pref_size 14
		.amdhsa_round_robin_scheduling 0
		.amdhsa_exception_fp_ieee_invalid_op 0
		.amdhsa_exception_fp_denorm_src 0
		.amdhsa_exception_fp_ieee_div_zero 0
		.amdhsa_exception_fp_ieee_overflow 0
		.amdhsa_exception_fp_ieee_underflow 0
		.amdhsa_exception_fp_ieee_inexact 0
		.amdhsa_exception_int_div_zero 0
	.end_amdhsa_kernel
	.section	.text._ZN2at6native12_GLOBAL__N_115sum_and_scatterIN3c108BFloat16ElEEvPKT0_PT_lS7_PKlPKNS_14AccumulateTypeIS8_Lb1EE4typeES7_SB_ll,"axG",@progbits,_ZN2at6native12_GLOBAL__N_115sum_and_scatterIN3c108BFloat16ElEEvPKT0_PT_lS7_PKlPKNS_14AccumulateTypeIS8_Lb1EE4typeES7_SB_ll,comdat
.Lfunc_end115:
	.size	_ZN2at6native12_GLOBAL__N_115sum_and_scatterIN3c108BFloat16ElEEvPKT0_PT_lS7_PKlPKNS_14AccumulateTypeIS8_Lb1EE4typeES7_SB_ll, .Lfunc_end115-_ZN2at6native12_GLOBAL__N_115sum_and_scatterIN3c108BFloat16ElEEvPKT0_PT_lS7_PKlPKNS_14AccumulateTypeIS8_Lb1EE4typeES7_SB_ll
                                        ; -- End function
	.set _ZN2at6native12_GLOBAL__N_115sum_and_scatterIN3c108BFloat16ElEEvPKT0_PT_lS7_PKlPKNS_14AccumulateTypeIS8_Lb1EE4typeES7_SB_ll.num_vgpr, 14
	.set _ZN2at6native12_GLOBAL__N_115sum_and_scatterIN3c108BFloat16ElEEvPKT0_PT_lS7_PKlPKNS_14AccumulateTypeIS8_Lb1EE4typeES7_SB_ll.num_agpr, 0
	.set _ZN2at6native12_GLOBAL__N_115sum_and_scatterIN3c108BFloat16ElEEvPKT0_PT_lS7_PKlPKNS_14AccumulateTypeIS8_Lb1EE4typeES7_SB_ll.numbered_sgpr, 38
	.set _ZN2at6native12_GLOBAL__N_115sum_and_scatterIN3c108BFloat16ElEEvPKT0_PT_lS7_PKlPKNS_14AccumulateTypeIS8_Lb1EE4typeES7_SB_ll.num_named_barrier, 0
	.set _ZN2at6native12_GLOBAL__N_115sum_and_scatterIN3c108BFloat16ElEEvPKT0_PT_lS7_PKlPKNS_14AccumulateTypeIS8_Lb1EE4typeES7_SB_ll.private_seg_size, 0
	.set _ZN2at6native12_GLOBAL__N_115sum_and_scatterIN3c108BFloat16ElEEvPKT0_PT_lS7_PKlPKNS_14AccumulateTypeIS8_Lb1EE4typeES7_SB_ll.uses_vcc, 1
	.set _ZN2at6native12_GLOBAL__N_115sum_and_scatterIN3c108BFloat16ElEEvPKT0_PT_lS7_PKlPKNS_14AccumulateTypeIS8_Lb1EE4typeES7_SB_ll.uses_flat_scratch, 0
	.set _ZN2at6native12_GLOBAL__N_115sum_and_scatterIN3c108BFloat16ElEEvPKT0_PT_lS7_PKlPKNS_14AccumulateTypeIS8_Lb1EE4typeES7_SB_ll.has_dyn_sized_stack, 0
	.set _ZN2at6native12_GLOBAL__N_115sum_and_scatterIN3c108BFloat16ElEEvPKT0_PT_lS7_PKlPKNS_14AccumulateTypeIS8_Lb1EE4typeES7_SB_ll.has_recursion, 0
	.set _ZN2at6native12_GLOBAL__N_115sum_and_scatterIN3c108BFloat16ElEEvPKT0_PT_lS7_PKlPKNS_14AccumulateTypeIS8_Lb1EE4typeES7_SB_ll.has_indirect_call, 0
	.section	.AMDGPU.csdata,"",@progbits
; Kernel info:
; codeLenInByte = 1692
; TotalNumSgprs: 40
; NumVgprs: 14
; ScratchSize: 0
; MemoryBound: 0
; FloatMode: 240
; IeeeMode: 1
; LDSByteSize: 0 bytes/workgroup (compile time only)
; SGPRBlocks: 0
; VGPRBlocks: 1
; NumSGPRsForWavesPerEU: 40
; NumVGPRsForWavesPerEU: 14
; Occupancy: 16
; WaveLimiterHint : 1
; COMPUTE_PGM_RSRC2:SCRATCH_EN: 0
; COMPUTE_PGM_RSRC2:USER_SGPR: 2
; COMPUTE_PGM_RSRC2:TRAP_HANDLER: 0
; COMPUTE_PGM_RSRC2:TGID_X_EN: 1
; COMPUTE_PGM_RSRC2:TGID_Y_EN: 0
; COMPUTE_PGM_RSRC2:TGID_Z_EN: 0
; COMPUTE_PGM_RSRC2:TIDIG_COMP_CNT: 0
	.section	.AMDGPU.gpr_maximums,"",@progbits
	.set amdgpu.max_num_vgpr, 0
	.set amdgpu.max_num_agpr, 0
	.set amdgpu.max_num_sgpr, 0
	.section	.AMDGPU.csdata,"",@progbits
	.type	__hip_cuid_52dca8b0c2a9e992,@object ; @__hip_cuid_52dca8b0c2a9e992
	.section	.bss,"aw",@nobits
	.globl	__hip_cuid_52dca8b0c2a9e992
__hip_cuid_52dca8b0c2a9e992:
	.byte	0                               ; 0x0
	.size	__hip_cuid_52dca8b0c2a9e992, 1

	.ident	"AMD clang version 22.0.0git (https://github.com/RadeonOpenCompute/llvm-project roc-7.2.4 26084 f58b06dce1f9c15707c5f808fd002e18c2accf7e)"
	.section	".note.GNU-stack","",@progbits
	.addrsig
	.addrsig_sym __hip_cuid_52dca8b0c2a9e992
	.amdgpu_metadata
---
amdhsa.kernels:
  - .args:
      - .address_space:  global
        .offset:         0
        .size:           8
        .value_kind:     global_buffer
      - .offset:         8
        .size:           4
        .value_kind:     by_value
      - .offset:         12
        .size:           1
        .value_kind:     by_value
      - .offset:         16
        .size:           4
        .value_kind:     by_value
      - .address_space:  global
        .offset:         24
        .size:           8
        .value_kind:     global_buffer
      - .offset:         32
        .size:           4
        .value_kind:     hidden_block_count_x
      - .offset:         36
        .size:           4
        .value_kind:     hidden_block_count_y
      - .offset:         40
        .size:           4
        .value_kind:     hidden_block_count_z
      - .offset:         44
        .size:           2
        .value_kind:     hidden_group_size_x
      - .offset:         46
        .size:           2
        .value_kind:     hidden_group_size_y
      - .offset:         48
        .size:           2
        .value_kind:     hidden_group_size_z
      - .offset:         50
        .size:           2
        .value_kind:     hidden_remainder_x
      - .offset:         52
        .size:           2
        .value_kind:     hidden_remainder_y
      - .offset:         54
        .size:           2
        .value_kind:     hidden_remainder_z
      - .offset:         72
        .size:           8
        .value_kind:     hidden_global_offset_x
      - .offset:         80
        .size:           8
        .value_kind:     hidden_global_offset_y
      - .offset:         88
        .size:           8
        .value_kind:     hidden_global_offset_z
      - .offset:         96
        .size:           2
        .value_kind:     hidden_grid_dims
    .group_segment_fixed_size: 0
    .kernarg_segment_align: 8
    .kernarg_segment_size: 288
    .language:       OpenCL C
    .language_version:
      - 2
      - 0
    .max_flat_workgroup_size: 256
    .name:           _ZN7rocprim17ROCPRIM_400000_NS6detail31init_lookback_scan_state_kernelINS1_19lookback_scan_stateIjLb0ELb1EEENS1_16block_id_wrapperIjLb0EEEEEvT_jT0_jPNS7_10value_typeE
    .private_segment_fixed_size: 0
    .sgpr_count:     10
    .sgpr_spill_count: 0
    .symbol:         _ZN7rocprim17ROCPRIM_400000_NS6detail31init_lookback_scan_state_kernelINS1_19lookback_scan_stateIjLb0ELb1EEENS1_16block_id_wrapperIjLb0EEEEEvT_jT0_jPNS7_10value_typeE.kd
    .uniform_work_group_size: 1
    .uses_dynamic_stack: false
    .vgpr_count:     7
    .vgpr_spill_count: 0
    .wavefront_size: 32
    .workgroup_processor_mode: 1
  - .args:
      - .offset:         0
        .size:           112
        .value_kind:     by_value
    .group_segment_fixed_size: 0
    .kernarg_segment_align: 8
    .kernarg_segment_size: 112
    .language:       OpenCL C
    .language_version:
      - 2
      - 0
    .max_flat_workgroup_size: 256
    .name:           _ZN7rocprim17ROCPRIM_400000_NS6detail17trampoline_kernelINS0_14default_configENS1_25partition_config_selectorILNS1_17partition_subalgoE9EiibEEZZNS1_14partition_implILS5_9ELb0ES3_jPKiN6thrust23THRUST_200600_302600_NS17counting_iteratorIiNSB_11use_defaultESD_SD_EEPNS0_10empty_typeENS0_5tupleIJPiSF_EEENSH_IJSI_SG_EEENS0_18inequality_wrapperIN6hipcub16HIPCUB_304000_NS8EqualityEEEPlJSF_EEE10hipError_tPvRmT3_T4_T5_T6_T7_T9_mT8_P12ihipStream_tbDpT10_ENKUlT_T0_E_clISt17integral_constantIbLb0EES1A_EEDaS15_S16_EUlS15_E_NS1_11comp_targetILNS1_3genE0ELNS1_11target_archE4294967295ELNS1_3gpuE0ELNS1_3repE0EEENS1_30default_config_static_selectorELNS0_4arch9wavefront6targetE0EEEvT1_
    .private_segment_fixed_size: 0
    .sgpr_count:     0
    .sgpr_spill_count: 0
    .symbol:         _ZN7rocprim17ROCPRIM_400000_NS6detail17trampoline_kernelINS0_14default_configENS1_25partition_config_selectorILNS1_17partition_subalgoE9EiibEEZZNS1_14partition_implILS5_9ELb0ES3_jPKiN6thrust23THRUST_200600_302600_NS17counting_iteratorIiNSB_11use_defaultESD_SD_EEPNS0_10empty_typeENS0_5tupleIJPiSF_EEENSH_IJSI_SG_EEENS0_18inequality_wrapperIN6hipcub16HIPCUB_304000_NS8EqualityEEEPlJSF_EEE10hipError_tPvRmT3_T4_T5_T6_T7_T9_mT8_P12ihipStream_tbDpT10_ENKUlT_T0_E_clISt17integral_constantIbLb0EES1A_EEDaS15_S16_EUlS15_E_NS1_11comp_targetILNS1_3genE0ELNS1_11target_archE4294967295ELNS1_3gpuE0ELNS1_3repE0EEENS1_30default_config_static_selectorELNS0_4arch9wavefront6targetE0EEEvT1_.kd
    .uniform_work_group_size: 1
    .uses_dynamic_stack: false
    .vgpr_count:     0
    .vgpr_spill_count: 0
    .wavefront_size: 32
    .workgroup_processor_mode: 1
  - .args:
      - .offset:         0
        .size:           112
        .value_kind:     by_value
    .group_segment_fixed_size: 0
    .kernarg_segment_align: 8
    .kernarg_segment_size: 112
    .language:       OpenCL C
    .language_version:
      - 2
      - 0
    .max_flat_workgroup_size: 512
    .name:           _ZN7rocprim17ROCPRIM_400000_NS6detail17trampoline_kernelINS0_14default_configENS1_25partition_config_selectorILNS1_17partition_subalgoE9EiibEEZZNS1_14partition_implILS5_9ELb0ES3_jPKiN6thrust23THRUST_200600_302600_NS17counting_iteratorIiNSB_11use_defaultESD_SD_EEPNS0_10empty_typeENS0_5tupleIJPiSF_EEENSH_IJSI_SG_EEENS0_18inequality_wrapperIN6hipcub16HIPCUB_304000_NS8EqualityEEEPlJSF_EEE10hipError_tPvRmT3_T4_T5_T6_T7_T9_mT8_P12ihipStream_tbDpT10_ENKUlT_T0_E_clISt17integral_constantIbLb0EES1A_EEDaS15_S16_EUlS15_E_NS1_11comp_targetILNS1_3genE5ELNS1_11target_archE942ELNS1_3gpuE9ELNS1_3repE0EEENS1_30default_config_static_selectorELNS0_4arch9wavefront6targetE0EEEvT1_
    .private_segment_fixed_size: 0
    .sgpr_count:     0
    .sgpr_spill_count: 0
    .symbol:         _ZN7rocprim17ROCPRIM_400000_NS6detail17trampoline_kernelINS0_14default_configENS1_25partition_config_selectorILNS1_17partition_subalgoE9EiibEEZZNS1_14partition_implILS5_9ELb0ES3_jPKiN6thrust23THRUST_200600_302600_NS17counting_iteratorIiNSB_11use_defaultESD_SD_EEPNS0_10empty_typeENS0_5tupleIJPiSF_EEENSH_IJSI_SG_EEENS0_18inequality_wrapperIN6hipcub16HIPCUB_304000_NS8EqualityEEEPlJSF_EEE10hipError_tPvRmT3_T4_T5_T6_T7_T9_mT8_P12ihipStream_tbDpT10_ENKUlT_T0_E_clISt17integral_constantIbLb0EES1A_EEDaS15_S16_EUlS15_E_NS1_11comp_targetILNS1_3genE5ELNS1_11target_archE942ELNS1_3gpuE9ELNS1_3repE0EEENS1_30default_config_static_selectorELNS0_4arch9wavefront6targetE0EEEvT1_.kd
    .uniform_work_group_size: 1
    .uses_dynamic_stack: false
    .vgpr_count:     0
    .vgpr_spill_count: 0
    .wavefront_size: 32
    .workgroup_processor_mode: 1
  - .args:
      - .offset:         0
        .size:           112
        .value_kind:     by_value
    .group_segment_fixed_size: 0
    .kernarg_segment_align: 8
    .kernarg_segment_size: 112
    .language:       OpenCL C
    .language_version:
      - 2
      - 0
    .max_flat_workgroup_size: 192
    .name:           _ZN7rocprim17ROCPRIM_400000_NS6detail17trampoline_kernelINS0_14default_configENS1_25partition_config_selectorILNS1_17partition_subalgoE9EiibEEZZNS1_14partition_implILS5_9ELb0ES3_jPKiN6thrust23THRUST_200600_302600_NS17counting_iteratorIiNSB_11use_defaultESD_SD_EEPNS0_10empty_typeENS0_5tupleIJPiSF_EEENSH_IJSI_SG_EEENS0_18inequality_wrapperIN6hipcub16HIPCUB_304000_NS8EqualityEEEPlJSF_EEE10hipError_tPvRmT3_T4_T5_T6_T7_T9_mT8_P12ihipStream_tbDpT10_ENKUlT_T0_E_clISt17integral_constantIbLb0EES1A_EEDaS15_S16_EUlS15_E_NS1_11comp_targetILNS1_3genE4ELNS1_11target_archE910ELNS1_3gpuE8ELNS1_3repE0EEENS1_30default_config_static_selectorELNS0_4arch9wavefront6targetE0EEEvT1_
    .private_segment_fixed_size: 0
    .sgpr_count:     0
    .sgpr_spill_count: 0
    .symbol:         _ZN7rocprim17ROCPRIM_400000_NS6detail17trampoline_kernelINS0_14default_configENS1_25partition_config_selectorILNS1_17partition_subalgoE9EiibEEZZNS1_14partition_implILS5_9ELb0ES3_jPKiN6thrust23THRUST_200600_302600_NS17counting_iteratorIiNSB_11use_defaultESD_SD_EEPNS0_10empty_typeENS0_5tupleIJPiSF_EEENSH_IJSI_SG_EEENS0_18inequality_wrapperIN6hipcub16HIPCUB_304000_NS8EqualityEEEPlJSF_EEE10hipError_tPvRmT3_T4_T5_T6_T7_T9_mT8_P12ihipStream_tbDpT10_ENKUlT_T0_E_clISt17integral_constantIbLb0EES1A_EEDaS15_S16_EUlS15_E_NS1_11comp_targetILNS1_3genE4ELNS1_11target_archE910ELNS1_3gpuE8ELNS1_3repE0EEENS1_30default_config_static_selectorELNS0_4arch9wavefront6targetE0EEEvT1_.kd
    .uniform_work_group_size: 1
    .uses_dynamic_stack: false
    .vgpr_count:     0
    .vgpr_spill_count: 0
    .wavefront_size: 32
    .workgroup_processor_mode: 1
  - .args:
      - .offset:         0
        .size:           112
        .value_kind:     by_value
    .group_segment_fixed_size: 0
    .kernarg_segment_align: 8
    .kernarg_segment_size: 112
    .language:       OpenCL C
    .language_version:
      - 2
      - 0
    .max_flat_workgroup_size: 256
    .name:           _ZN7rocprim17ROCPRIM_400000_NS6detail17trampoline_kernelINS0_14default_configENS1_25partition_config_selectorILNS1_17partition_subalgoE9EiibEEZZNS1_14partition_implILS5_9ELb0ES3_jPKiN6thrust23THRUST_200600_302600_NS17counting_iteratorIiNSB_11use_defaultESD_SD_EEPNS0_10empty_typeENS0_5tupleIJPiSF_EEENSH_IJSI_SG_EEENS0_18inequality_wrapperIN6hipcub16HIPCUB_304000_NS8EqualityEEEPlJSF_EEE10hipError_tPvRmT3_T4_T5_T6_T7_T9_mT8_P12ihipStream_tbDpT10_ENKUlT_T0_E_clISt17integral_constantIbLb0EES1A_EEDaS15_S16_EUlS15_E_NS1_11comp_targetILNS1_3genE3ELNS1_11target_archE908ELNS1_3gpuE7ELNS1_3repE0EEENS1_30default_config_static_selectorELNS0_4arch9wavefront6targetE0EEEvT1_
    .private_segment_fixed_size: 0
    .sgpr_count:     0
    .sgpr_spill_count: 0
    .symbol:         _ZN7rocprim17ROCPRIM_400000_NS6detail17trampoline_kernelINS0_14default_configENS1_25partition_config_selectorILNS1_17partition_subalgoE9EiibEEZZNS1_14partition_implILS5_9ELb0ES3_jPKiN6thrust23THRUST_200600_302600_NS17counting_iteratorIiNSB_11use_defaultESD_SD_EEPNS0_10empty_typeENS0_5tupleIJPiSF_EEENSH_IJSI_SG_EEENS0_18inequality_wrapperIN6hipcub16HIPCUB_304000_NS8EqualityEEEPlJSF_EEE10hipError_tPvRmT3_T4_T5_T6_T7_T9_mT8_P12ihipStream_tbDpT10_ENKUlT_T0_E_clISt17integral_constantIbLb0EES1A_EEDaS15_S16_EUlS15_E_NS1_11comp_targetILNS1_3genE3ELNS1_11target_archE908ELNS1_3gpuE7ELNS1_3repE0EEENS1_30default_config_static_selectorELNS0_4arch9wavefront6targetE0EEEvT1_.kd
    .uniform_work_group_size: 1
    .uses_dynamic_stack: false
    .vgpr_count:     0
    .vgpr_spill_count: 0
    .wavefront_size: 32
    .workgroup_processor_mode: 1
  - .args:
      - .offset:         0
        .size:           112
        .value_kind:     by_value
    .group_segment_fixed_size: 0
    .kernarg_segment_align: 8
    .kernarg_segment_size: 112
    .language:       OpenCL C
    .language_version:
      - 2
      - 0
    .max_flat_workgroup_size: 256
    .name:           _ZN7rocprim17ROCPRIM_400000_NS6detail17trampoline_kernelINS0_14default_configENS1_25partition_config_selectorILNS1_17partition_subalgoE9EiibEEZZNS1_14partition_implILS5_9ELb0ES3_jPKiN6thrust23THRUST_200600_302600_NS17counting_iteratorIiNSB_11use_defaultESD_SD_EEPNS0_10empty_typeENS0_5tupleIJPiSF_EEENSH_IJSI_SG_EEENS0_18inequality_wrapperIN6hipcub16HIPCUB_304000_NS8EqualityEEEPlJSF_EEE10hipError_tPvRmT3_T4_T5_T6_T7_T9_mT8_P12ihipStream_tbDpT10_ENKUlT_T0_E_clISt17integral_constantIbLb0EES1A_EEDaS15_S16_EUlS15_E_NS1_11comp_targetILNS1_3genE2ELNS1_11target_archE906ELNS1_3gpuE6ELNS1_3repE0EEENS1_30default_config_static_selectorELNS0_4arch9wavefront6targetE0EEEvT1_
    .private_segment_fixed_size: 0
    .sgpr_count:     0
    .sgpr_spill_count: 0
    .symbol:         _ZN7rocprim17ROCPRIM_400000_NS6detail17trampoline_kernelINS0_14default_configENS1_25partition_config_selectorILNS1_17partition_subalgoE9EiibEEZZNS1_14partition_implILS5_9ELb0ES3_jPKiN6thrust23THRUST_200600_302600_NS17counting_iteratorIiNSB_11use_defaultESD_SD_EEPNS0_10empty_typeENS0_5tupleIJPiSF_EEENSH_IJSI_SG_EEENS0_18inequality_wrapperIN6hipcub16HIPCUB_304000_NS8EqualityEEEPlJSF_EEE10hipError_tPvRmT3_T4_T5_T6_T7_T9_mT8_P12ihipStream_tbDpT10_ENKUlT_T0_E_clISt17integral_constantIbLb0EES1A_EEDaS15_S16_EUlS15_E_NS1_11comp_targetILNS1_3genE2ELNS1_11target_archE906ELNS1_3gpuE6ELNS1_3repE0EEENS1_30default_config_static_selectorELNS0_4arch9wavefront6targetE0EEEvT1_.kd
    .uniform_work_group_size: 1
    .uses_dynamic_stack: false
    .vgpr_count:     0
    .vgpr_spill_count: 0
    .wavefront_size: 32
    .workgroup_processor_mode: 1
  - .args:
      - .offset:         0
        .size:           112
        .value_kind:     by_value
    .group_segment_fixed_size: 10760
    .kernarg_segment_align: 8
    .kernarg_segment_size: 112
    .language:       OpenCL C
    .language_version:
      - 2
      - 0
    .max_flat_workgroup_size: 384
    .name:           _ZN7rocprim17ROCPRIM_400000_NS6detail17trampoline_kernelINS0_14default_configENS1_25partition_config_selectorILNS1_17partition_subalgoE9EiibEEZZNS1_14partition_implILS5_9ELb0ES3_jPKiN6thrust23THRUST_200600_302600_NS17counting_iteratorIiNSB_11use_defaultESD_SD_EEPNS0_10empty_typeENS0_5tupleIJPiSF_EEENSH_IJSI_SG_EEENS0_18inequality_wrapperIN6hipcub16HIPCUB_304000_NS8EqualityEEEPlJSF_EEE10hipError_tPvRmT3_T4_T5_T6_T7_T9_mT8_P12ihipStream_tbDpT10_ENKUlT_T0_E_clISt17integral_constantIbLb0EES1A_EEDaS15_S16_EUlS15_E_NS1_11comp_targetILNS1_3genE10ELNS1_11target_archE1200ELNS1_3gpuE4ELNS1_3repE0EEENS1_30default_config_static_selectorELNS0_4arch9wavefront6targetE0EEEvT1_
    .private_segment_fixed_size: 0
    .sgpr_count:     24
    .sgpr_spill_count: 0
    .symbol:         _ZN7rocprim17ROCPRIM_400000_NS6detail17trampoline_kernelINS0_14default_configENS1_25partition_config_selectorILNS1_17partition_subalgoE9EiibEEZZNS1_14partition_implILS5_9ELb0ES3_jPKiN6thrust23THRUST_200600_302600_NS17counting_iteratorIiNSB_11use_defaultESD_SD_EEPNS0_10empty_typeENS0_5tupleIJPiSF_EEENSH_IJSI_SG_EEENS0_18inequality_wrapperIN6hipcub16HIPCUB_304000_NS8EqualityEEEPlJSF_EEE10hipError_tPvRmT3_T4_T5_T6_T7_T9_mT8_P12ihipStream_tbDpT10_ENKUlT_T0_E_clISt17integral_constantIbLb0EES1A_EEDaS15_S16_EUlS15_E_NS1_11comp_targetILNS1_3genE10ELNS1_11target_archE1200ELNS1_3gpuE4ELNS1_3repE0EEENS1_30default_config_static_selectorELNS0_4arch9wavefront6targetE0EEEvT1_.kd
    .uniform_work_group_size: 1
    .uses_dynamic_stack: false
    .vgpr_count:     53
    .vgpr_spill_count: 0
    .wavefront_size: 32
    .workgroup_processor_mode: 1
  - .args:
      - .offset:         0
        .size:           112
        .value_kind:     by_value
    .group_segment_fixed_size: 0
    .kernarg_segment_align: 8
    .kernarg_segment_size: 112
    .language:       OpenCL C
    .language_version:
      - 2
      - 0
    .max_flat_workgroup_size: 384
    .name:           _ZN7rocprim17ROCPRIM_400000_NS6detail17trampoline_kernelINS0_14default_configENS1_25partition_config_selectorILNS1_17partition_subalgoE9EiibEEZZNS1_14partition_implILS5_9ELb0ES3_jPKiN6thrust23THRUST_200600_302600_NS17counting_iteratorIiNSB_11use_defaultESD_SD_EEPNS0_10empty_typeENS0_5tupleIJPiSF_EEENSH_IJSI_SG_EEENS0_18inequality_wrapperIN6hipcub16HIPCUB_304000_NS8EqualityEEEPlJSF_EEE10hipError_tPvRmT3_T4_T5_T6_T7_T9_mT8_P12ihipStream_tbDpT10_ENKUlT_T0_E_clISt17integral_constantIbLb0EES1A_EEDaS15_S16_EUlS15_E_NS1_11comp_targetILNS1_3genE9ELNS1_11target_archE1100ELNS1_3gpuE3ELNS1_3repE0EEENS1_30default_config_static_selectorELNS0_4arch9wavefront6targetE0EEEvT1_
    .private_segment_fixed_size: 0
    .sgpr_count:     0
    .sgpr_spill_count: 0
    .symbol:         _ZN7rocprim17ROCPRIM_400000_NS6detail17trampoline_kernelINS0_14default_configENS1_25partition_config_selectorILNS1_17partition_subalgoE9EiibEEZZNS1_14partition_implILS5_9ELb0ES3_jPKiN6thrust23THRUST_200600_302600_NS17counting_iteratorIiNSB_11use_defaultESD_SD_EEPNS0_10empty_typeENS0_5tupleIJPiSF_EEENSH_IJSI_SG_EEENS0_18inequality_wrapperIN6hipcub16HIPCUB_304000_NS8EqualityEEEPlJSF_EEE10hipError_tPvRmT3_T4_T5_T6_T7_T9_mT8_P12ihipStream_tbDpT10_ENKUlT_T0_E_clISt17integral_constantIbLb0EES1A_EEDaS15_S16_EUlS15_E_NS1_11comp_targetILNS1_3genE9ELNS1_11target_archE1100ELNS1_3gpuE3ELNS1_3repE0EEENS1_30default_config_static_selectorELNS0_4arch9wavefront6targetE0EEEvT1_.kd
    .uniform_work_group_size: 1
    .uses_dynamic_stack: false
    .vgpr_count:     0
    .vgpr_spill_count: 0
    .wavefront_size: 32
    .workgroup_processor_mode: 1
  - .args:
      - .offset:         0
        .size:           112
        .value_kind:     by_value
    .group_segment_fixed_size: 0
    .kernarg_segment_align: 8
    .kernarg_segment_size: 112
    .language:       OpenCL C
    .language_version:
      - 2
      - 0
    .max_flat_workgroup_size: 512
    .name:           _ZN7rocprim17ROCPRIM_400000_NS6detail17trampoline_kernelINS0_14default_configENS1_25partition_config_selectorILNS1_17partition_subalgoE9EiibEEZZNS1_14partition_implILS5_9ELb0ES3_jPKiN6thrust23THRUST_200600_302600_NS17counting_iteratorIiNSB_11use_defaultESD_SD_EEPNS0_10empty_typeENS0_5tupleIJPiSF_EEENSH_IJSI_SG_EEENS0_18inequality_wrapperIN6hipcub16HIPCUB_304000_NS8EqualityEEEPlJSF_EEE10hipError_tPvRmT3_T4_T5_T6_T7_T9_mT8_P12ihipStream_tbDpT10_ENKUlT_T0_E_clISt17integral_constantIbLb0EES1A_EEDaS15_S16_EUlS15_E_NS1_11comp_targetILNS1_3genE8ELNS1_11target_archE1030ELNS1_3gpuE2ELNS1_3repE0EEENS1_30default_config_static_selectorELNS0_4arch9wavefront6targetE0EEEvT1_
    .private_segment_fixed_size: 0
    .sgpr_count:     0
    .sgpr_spill_count: 0
    .symbol:         _ZN7rocprim17ROCPRIM_400000_NS6detail17trampoline_kernelINS0_14default_configENS1_25partition_config_selectorILNS1_17partition_subalgoE9EiibEEZZNS1_14partition_implILS5_9ELb0ES3_jPKiN6thrust23THRUST_200600_302600_NS17counting_iteratorIiNSB_11use_defaultESD_SD_EEPNS0_10empty_typeENS0_5tupleIJPiSF_EEENSH_IJSI_SG_EEENS0_18inequality_wrapperIN6hipcub16HIPCUB_304000_NS8EqualityEEEPlJSF_EEE10hipError_tPvRmT3_T4_T5_T6_T7_T9_mT8_P12ihipStream_tbDpT10_ENKUlT_T0_E_clISt17integral_constantIbLb0EES1A_EEDaS15_S16_EUlS15_E_NS1_11comp_targetILNS1_3genE8ELNS1_11target_archE1030ELNS1_3gpuE2ELNS1_3repE0EEENS1_30default_config_static_selectorELNS0_4arch9wavefront6targetE0EEEvT1_.kd
    .uniform_work_group_size: 1
    .uses_dynamic_stack: false
    .vgpr_count:     0
    .vgpr_spill_count: 0
    .wavefront_size: 32
    .workgroup_processor_mode: 1
  - .args:
      - .offset:         0
        .size:           40
        .value_kind:     by_value
    .group_segment_fixed_size: 0
    .kernarg_segment_align: 8
    .kernarg_segment_size: 40
    .language:       OpenCL C
    .language_version:
      - 2
      - 0
    .max_flat_workgroup_size: 128
    .name:           _ZN7rocprim17ROCPRIM_400000_NS6detail17trampoline_kernelINS0_14default_configENS1_25transform_config_selectorImLb1EEEZNS1_14transform_implILb1ES3_S5_PmPlNS0_8identityIvEEEE10hipError_tT2_T3_mT4_P12ihipStream_tbEUlT_E_NS1_11comp_targetILNS1_3genE0ELNS1_11target_archE4294967295ELNS1_3gpuE0ELNS1_3repE0EEENS1_30default_config_static_selectorELNS0_4arch9wavefront6targetE0EEEvT1_
    .private_segment_fixed_size: 0
    .sgpr_count:     0
    .sgpr_spill_count: 0
    .symbol:         _ZN7rocprim17ROCPRIM_400000_NS6detail17trampoline_kernelINS0_14default_configENS1_25transform_config_selectorImLb1EEEZNS1_14transform_implILb1ES3_S5_PmPlNS0_8identityIvEEEE10hipError_tT2_T3_mT4_P12ihipStream_tbEUlT_E_NS1_11comp_targetILNS1_3genE0ELNS1_11target_archE4294967295ELNS1_3gpuE0ELNS1_3repE0EEENS1_30default_config_static_selectorELNS0_4arch9wavefront6targetE0EEEvT1_.kd
    .uniform_work_group_size: 1
    .uses_dynamic_stack: false
    .vgpr_count:     0
    .vgpr_spill_count: 0
    .wavefront_size: 32
    .workgroup_processor_mode: 1
  - .args:
      - .offset:         0
        .size:           40
        .value_kind:     by_value
      - .offset:         40
        .size:           4
        .value_kind:     hidden_block_count_x
      - .offset:         44
        .size:           4
        .value_kind:     hidden_block_count_y
      - .offset:         48
        .size:           4
        .value_kind:     hidden_block_count_z
      - .offset:         52
        .size:           2
        .value_kind:     hidden_group_size_x
      - .offset:         54
        .size:           2
        .value_kind:     hidden_group_size_y
      - .offset:         56
        .size:           2
        .value_kind:     hidden_group_size_z
      - .offset:         58
        .size:           2
        .value_kind:     hidden_remainder_x
      - .offset:         60
        .size:           2
        .value_kind:     hidden_remainder_y
      - .offset:         62
        .size:           2
        .value_kind:     hidden_remainder_z
      - .offset:         80
        .size:           8
        .value_kind:     hidden_global_offset_x
      - .offset:         88
        .size:           8
        .value_kind:     hidden_global_offset_y
      - .offset:         96
        .size:           8
        .value_kind:     hidden_global_offset_z
      - .offset:         104
        .size:           2
        .value_kind:     hidden_grid_dims
    .group_segment_fixed_size: 0
    .kernarg_segment_align: 8
    .kernarg_segment_size: 296
    .language:       OpenCL C
    .language_version:
      - 2
      - 0
    .max_flat_workgroup_size: 1024
    .name:           _ZN7rocprim17ROCPRIM_400000_NS6detail17trampoline_kernelINS0_14default_configENS1_25transform_config_selectorImLb1EEEZNS1_14transform_implILb1ES3_S5_PmPlNS0_8identityIvEEEE10hipError_tT2_T3_mT4_P12ihipStream_tbEUlT_E_NS1_11comp_targetILNS1_3genE10ELNS1_11target_archE1201ELNS1_3gpuE5ELNS1_3repE0EEENS1_30default_config_static_selectorELNS0_4arch9wavefront6targetE0EEEvT1_
    .private_segment_fixed_size: 0
    .sgpr_count:     15
    .sgpr_spill_count: 0
    .symbol:         _ZN7rocprim17ROCPRIM_400000_NS6detail17trampoline_kernelINS0_14default_configENS1_25transform_config_selectorImLb1EEEZNS1_14transform_implILb1ES3_S5_PmPlNS0_8identityIvEEEE10hipError_tT2_T3_mT4_P12ihipStream_tbEUlT_E_NS1_11comp_targetILNS1_3genE10ELNS1_11target_archE1201ELNS1_3gpuE5ELNS1_3repE0EEENS1_30default_config_static_selectorELNS0_4arch9wavefront6targetE0EEEvT1_.kd
    .uniform_work_group_size: 1
    .uses_dynamic_stack: false
    .vgpr_count:     7
    .vgpr_spill_count: 0
    .wavefront_size: 32
    .workgroup_processor_mode: 1
  - .args:
      - .offset:         0
        .size:           40
        .value_kind:     by_value
    .group_segment_fixed_size: 0
    .kernarg_segment_align: 8
    .kernarg_segment_size: 40
    .language:       OpenCL C
    .language_version:
      - 2
      - 0
    .max_flat_workgroup_size: 512
    .name:           _ZN7rocprim17ROCPRIM_400000_NS6detail17trampoline_kernelINS0_14default_configENS1_25transform_config_selectorImLb1EEEZNS1_14transform_implILb1ES3_S5_PmPlNS0_8identityIvEEEE10hipError_tT2_T3_mT4_P12ihipStream_tbEUlT_E_NS1_11comp_targetILNS1_3genE5ELNS1_11target_archE942ELNS1_3gpuE9ELNS1_3repE0EEENS1_30default_config_static_selectorELNS0_4arch9wavefront6targetE0EEEvT1_
    .private_segment_fixed_size: 0
    .sgpr_count:     0
    .sgpr_spill_count: 0
    .symbol:         _ZN7rocprim17ROCPRIM_400000_NS6detail17trampoline_kernelINS0_14default_configENS1_25transform_config_selectorImLb1EEEZNS1_14transform_implILb1ES3_S5_PmPlNS0_8identityIvEEEE10hipError_tT2_T3_mT4_P12ihipStream_tbEUlT_E_NS1_11comp_targetILNS1_3genE5ELNS1_11target_archE942ELNS1_3gpuE9ELNS1_3repE0EEENS1_30default_config_static_selectorELNS0_4arch9wavefront6targetE0EEEvT1_.kd
    .uniform_work_group_size: 1
    .uses_dynamic_stack: false
    .vgpr_count:     0
    .vgpr_spill_count: 0
    .wavefront_size: 32
    .workgroup_processor_mode: 1
  - .args:
      - .offset:         0
        .size:           40
        .value_kind:     by_value
    .group_segment_fixed_size: 0
    .kernarg_segment_align: 8
    .kernarg_segment_size: 40
    .language:       OpenCL C
    .language_version:
      - 2
      - 0
    .max_flat_workgroup_size: 1024
    .name:           _ZN7rocprim17ROCPRIM_400000_NS6detail17trampoline_kernelINS0_14default_configENS1_25transform_config_selectorImLb1EEEZNS1_14transform_implILb1ES3_S5_PmPlNS0_8identityIvEEEE10hipError_tT2_T3_mT4_P12ihipStream_tbEUlT_E_NS1_11comp_targetILNS1_3genE4ELNS1_11target_archE910ELNS1_3gpuE8ELNS1_3repE0EEENS1_30default_config_static_selectorELNS0_4arch9wavefront6targetE0EEEvT1_
    .private_segment_fixed_size: 0
    .sgpr_count:     0
    .sgpr_spill_count: 0
    .symbol:         _ZN7rocprim17ROCPRIM_400000_NS6detail17trampoline_kernelINS0_14default_configENS1_25transform_config_selectorImLb1EEEZNS1_14transform_implILb1ES3_S5_PmPlNS0_8identityIvEEEE10hipError_tT2_T3_mT4_P12ihipStream_tbEUlT_E_NS1_11comp_targetILNS1_3genE4ELNS1_11target_archE910ELNS1_3gpuE8ELNS1_3repE0EEENS1_30default_config_static_selectorELNS0_4arch9wavefront6targetE0EEEvT1_.kd
    .uniform_work_group_size: 1
    .uses_dynamic_stack: false
    .vgpr_count:     0
    .vgpr_spill_count: 0
    .wavefront_size: 32
    .workgroup_processor_mode: 1
  - .args:
      - .offset:         0
        .size:           40
        .value_kind:     by_value
    .group_segment_fixed_size: 0
    .kernarg_segment_align: 8
    .kernarg_segment_size: 40
    .language:       OpenCL C
    .language_version:
      - 2
      - 0
    .max_flat_workgroup_size: 128
    .name:           _ZN7rocprim17ROCPRIM_400000_NS6detail17trampoline_kernelINS0_14default_configENS1_25transform_config_selectorImLb1EEEZNS1_14transform_implILb1ES3_S5_PmPlNS0_8identityIvEEEE10hipError_tT2_T3_mT4_P12ihipStream_tbEUlT_E_NS1_11comp_targetILNS1_3genE3ELNS1_11target_archE908ELNS1_3gpuE7ELNS1_3repE0EEENS1_30default_config_static_selectorELNS0_4arch9wavefront6targetE0EEEvT1_
    .private_segment_fixed_size: 0
    .sgpr_count:     0
    .sgpr_spill_count: 0
    .symbol:         _ZN7rocprim17ROCPRIM_400000_NS6detail17trampoline_kernelINS0_14default_configENS1_25transform_config_selectorImLb1EEEZNS1_14transform_implILb1ES3_S5_PmPlNS0_8identityIvEEEE10hipError_tT2_T3_mT4_P12ihipStream_tbEUlT_E_NS1_11comp_targetILNS1_3genE3ELNS1_11target_archE908ELNS1_3gpuE7ELNS1_3repE0EEENS1_30default_config_static_selectorELNS0_4arch9wavefront6targetE0EEEvT1_.kd
    .uniform_work_group_size: 1
    .uses_dynamic_stack: false
    .vgpr_count:     0
    .vgpr_spill_count: 0
    .wavefront_size: 32
    .workgroup_processor_mode: 1
  - .args:
      - .offset:         0
        .size:           40
        .value_kind:     by_value
    .group_segment_fixed_size: 0
    .kernarg_segment_align: 8
    .kernarg_segment_size: 40
    .language:       OpenCL C
    .language_version:
      - 2
      - 0
    .max_flat_workgroup_size: 512
    .name:           _ZN7rocprim17ROCPRIM_400000_NS6detail17trampoline_kernelINS0_14default_configENS1_25transform_config_selectorImLb1EEEZNS1_14transform_implILb1ES3_S5_PmPlNS0_8identityIvEEEE10hipError_tT2_T3_mT4_P12ihipStream_tbEUlT_E_NS1_11comp_targetILNS1_3genE2ELNS1_11target_archE906ELNS1_3gpuE6ELNS1_3repE0EEENS1_30default_config_static_selectorELNS0_4arch9wavefront6targetE0EEEvT1_
    .private_segment_fixed_size: 0
    .sgpr_count:     0
    .sgpr_spill_count: 0
    .symbol:         _ZN7rocprim17ROCPRIM_400000_NS6detail17trampoline_kernelINS0_14default_configENS1_25transform_config_selectorImLb1EEEZNS1_14transform_implILb1ES3_S5_PmPlNS0_8identityIvEEEE10hipError_tT2_T3_mT4_P12ihipStream_tbEUlT_E_NS1_11comp_targetILNS1_3genE2ELNS1_11target_archE906ELNS1_3gpuE6ELNS1_3repE0EEENS1_30default_config_static_selectorELNS0_4arch9wavefront6targetE0EEEvT1_.kd
    .uniform_work_group_size: 1
    .uses_dynamic_stack: false
    .vgpr_count:     0
    .vgpr_spill_count: 0
    .wavefront_size: 32
    .workgroup_processor_mode: 1
  - .args:
      - .offset:         0
        .size:           40
        .value_kind:     by_value
    .group_segment_fixed_size: 0
    .kernarg_segment_align: 8
    .kernarg_segment_size: 40
    .language:       OpenCL C
    .language_version:
      - 2
      - 0
    .max_flat_workgroup_size: 1024
    .name:           _ZN7rocprim17ROCPRIM_400000_NS6detail17trampoline_kernelINS0_14default_configENS1_25transform_config_selectorImLb1EEEZNS1_14transform_implILb1ES3_S5_PmPlNS0_8identityIvEEEE10hipError_tT2_T3_mT4_P12ihipStream_tbEUlT_E_NS1_11comp_targetILNS1_3genE9ELNS1_11target_archE1100ELNS1_3gpuE3ELNS1_3repE0EEENS1_30default_config_static_selectorELNS0_4arch9wavefront6targetE0EEEvT1_
    .private_segment_fixed_size: 0
    .sgpr_count:     0
    .sgpr_spill_count: 0
    .symbol:         _ZN7rocprim17ROCPRIM_400000_NS6detail17trampoline_kernelINS0_14default_configENS1_25transform_config_selectorImLb1EEEZNS1_14transform_implILb1ES3_S5_PmPlNS0_8identityIvEEEE10hipError_tT2_T3_mT4_P12ihipStream_tbEUlT_E_NS1_11comp_targetILNS1_3genE9ELNS1_11target_archE1100ELNS1_3gpuE3ELNS1_3repE0EEENS1_30default_config_static_selectorELNS0_4arch9wavefront6targetE0EEEvT1_.kd
    .uniform_work_group_size: 1
    .uses_dynamic_stack: false
    .vgpr_count:     0
    .vgpr_spill_count: 0
    .wavefront_size: 32
    .workgroup_processor_mode: 1
  - .args:
      - .offset:         0
        .size:           40
        .value_kind:     by_value
    .group_segment_fixed_size: 0
    .kernarg_segment_align: 8
    .kernarg_segment_size: 40
    .language:       OpenCL C
    .language_version:
      - 2
      - 0
    .max_flat_workgroup_size: 1024
    .name:           _ZN7rocprim17ROCPRIM_400000_NS6detail17trampoline_kernelINS0_14default_configENS1_25transform_config_selectorImLb1EEEZNS1_14transform_implILb1ES3_S5_PmPlNS0_8identityIvEEEE10hipError_tT2_T3_mT4_P12ihipStream_tbEUlT_E_NS1_11comp_targetILNS1_3genE8ELNS1_11target_archE1030ELNS1_3gpuE2ELNS1_3repE0EEENS1_30default_config_static_selectorELNS0_4arch9wavefront6targetE0EEEvT1_
    .private_segment_fixed_size: 0
    .sgpr_count:     0
    .sgpr_spill_count: 0
    .symbol:         _ZN7rocprim17ROCPRIM_400000_NS6detail17trampoline_kernelINS0_14default_configENS1_25transform_config_selectorImLb1EEEZNS1_14transform_implILb1ES3_S5_PmPlNS0_8identityIvEEEE10hipError_tT2_T3_mT4_P12ihipStream_tbEUlT_E_NS1_11comp_targetILNS1_3genE8ELNS1_11target_archE1030ELNS1_3gpuE2ELNS1_3repE0EEENS1_30default_config_static_selectorELNS0_4arch9wavefront6targetE0EEEvT1_.kd
    .uniform_work_group_size: 1
    .uses_dynamic_stack: false
    .vgpr_count:     0
    .vgpr_spill_count: 0
    .wavefront_size: 32
    .workgroup_processor_mode: 1
  - .args:
      - .address_space:  global
        .offset:         0
        .size:           8
        .value_kind:     global_buffer
      - .offset:         8
        .size:           4
        .value_kind:     by_value
      - .address_space:  global
        .offset:         16
        .size:           8
        .value_kind:     global_buffer
      - .offset:         24
        .size:           4
        .value_kind:     by_value
      - .address_space:  global
        .offset:         32
        .size:           8
        .value_kind:     global_buffer
      - .offset:         40
        .size:           4
        .value_kind:     hidden_block_count_x
      - .offset:         44
        .size:           4
        .value_kind:     hidden_block_count_y
      - .offset:         48
        .size:           4
        .value_kind:     hidden_block_count_z
      - .offset:         52
        .size:           2
        .value_kind:     hidden_group_size_x
      - .offset:         54
        .size:           2
        .value_kind:     hidden_group_size_y
      - .offset:         56
        .size:           2
        .value_kind:     hidden_group_size_z
      - .offset:         58
        .size:           2
        .value_kind:     hidden_remainder_x
      - .offset:         60
        .size:           2
        .value_kind:     hidden_remainder_y
      - .offset:         62
        .size:           2
        .value_kind:     hidden_remainder_z
      - .offset:         80
        .size:           8
        .value_kind:     hidden_global_offset_x
      - .offset:         88
        .size:           8
        .value_kind:     hidden_global_offset_y
      - .offset:         96
        .size:           8
        .value_kind:     hidden_global_offset_z
      - .offset:         104
        .size:           2
        .value_kind:     hidden_grid_dims
    .group_segment_fixed_size: 0
    .kernarg_segment_align: 8
    .kernarg_segment_size: 296
    .language:       OpenCL C
    .language_version:
      - 2
      - 0
    .max_flat_workgroup_size: 256
    .name:           _ZN7rocprim17ROCPRIM_400000_NS6detail31init_lookback_scan_state_kernelINS1_19lookback_scan_stateIjLb1ELb1EEENS1_16block_id_wrapperIjLb1EEEEEvT_jT0_jPNS7_10value_typeE
    .private_segment_fixed_size: 0
    .sgpr_count:     14
    .sgpr_spill_count: 0
    .symbol:         _ZN7rocprim17ROCPRIM_400000_NS6detail31init_lookback_scan_state_kernelINS1_19lookback_scan_stateIjLb1ELb1EEENS1_16block_id_wrapperIjLb1EEEEEvT_jT0_jPNS7_10value_typeE.kd
    .uniform_work_group_size: 1
    .uses_dynamic_stack: false
    .vgpr_count:     7
    .vgpr_spill_count: 0
    .wavefront_size: 32
    .workgroup_processor_mode: 1
  - .args:
      - .offset:         0
        .size:           128
        .value_kind:     by_value
    .group_segment_fixed_size: 0
    .kernarg_segment_align: 8
    .kernarg_segment_size: 128
    .language:       OpenCL C
    .language_version:
      - 2
      - 0
    .max_flat_workgroup_size: 256
    .name:           _ZN7rocprim17ROCPRIM_400000_NS6detail17trampoline_kernelINS0_14default_configENS1_25partition_config_selectorILNS1_17partition_subalgoE9EiibEEZZNS1_14partition_implILS5_9ELb0ES3_jPKiN6thrust23THRUST_200600_302600_NS17counting_iteratorIiNSB_11use_defaultESD_SD_EEPNS0_10empty_typeENS0_5tupleIJPiSF_EEENSH_IJSI_SG_EEENS0_18inequality_wrapperIN6hipcub16HIPCUB_304000_NS8EqualityEEEPlJSF_EEE10hipError_tPvRmT3_T4_T5_T6_T7_T9_mT8_P12ihipStream_tbDpT10_ENKUlT_T0_E_clISt17integral_constantIbLb1EES1A_EEDaS15_S16_EUlS15_E_NS1_11comp_targetILNS1_3genE0ELNS1_11target_archE4294967295ELNS1_3gpuE0ELNS1_3repE0EEENS1_30default_config_static_selectorELNS0_4arch9wavefront6targetE0EEEvT1_
    .private_segment_fixed_size: 0
    .sgpr_count:     0
    .sgpr_spill_count: 0
    .symbol:         _ZN7rocprim17ROCPRIM_400000_NS6detail17trampoline_kernelINS0_14default_configENS1_25partition_config_selectorILNS1_17partition_subalgoE9EiibEEZZNS1_14partition_implILS5_9ELb0ES3_jPKiN6thrust23THRUST_200600_302600_NS17counting_iteratorIiNSB_11use_defaultESD_SD_EEPNS0_10empty_typeENS0_5tupleIJPiSF_EEENSH_IJSI_SG_EEENS0_18inequality_wrapperIN6hipcub16HIPCUB_304000_NS8EqualityEEEPlJSF_EEE10hipError_tPvRmT3_T4_T5_T6_T7_T9_mT8_P12ihipStream_tbDpT10_ENKUlT_T0_E_clISt17integral_constantIbLb1EES1A_EEDaS15_S16_EUlS15_E_NS1_11comp_targetILNS1_3genE0ELNS1_11target_archE4294967295ELNS1_3gpuE0ELNS1_3repE0EEENS1_30default_config_static_selectorELNS0_4arch9wavefront6targetE0EEEvT1_.kd
    .uniform_work_group_size: 1
    .uses_dynamic_stack: false
    .vgpr_count:     0
    .vgpr_spill_count: 0
    .wavefront_size: 32
    .workgroup_processor_mode: 1
  - .args:
      - .offset:         0
        .size:           128
        .value_kind:     by_value
    .group_segment_fixed_size: 0
    .kernarg_segment_align: 8
    .kernarg_segment_size: 128
    .language:       OpenCL C
    .language_version:
      - 2
      - 0
    .max_flat_workgroup_size: 512
    .name:           _ZN7rocprim17ROCPRIM_400000_NS6detail17trampoline_kernelINS0_14default_configENS1_25partition_config_selectorILNS1_17partition_subalgoE9EiibEEZZNS1_14partition_implILS5_9ELb0ES3_jPKiN6thrust23THRUST_200600_302600_NS17counting_iteratorIiNSB_11use_defaultESD_SD_EEPNS0_10empty_typeENS0_5tupleIJPiSF_EEENSH_IJSI_SG_EEENS0_18inequality_wrapperIN6hipcub16HIPCUB_304000_NS8EqualityEEEPlJSF_EEE10hipError_tPvRmT3_T4_T5_T6_T7_T9_mT8_P12ihipStream_tbDpT10_ENKUlT_T0_E_clISt17integral_constantIbLb1EES1A_EEDaS15_S16_EUlS15_E_NS1_11comp_targetILNS1_3genE5ELNS1_11target_archE942ELNS1_3gpuE9ELNS1_3repE0EEENS1_30default_config_static_selectorELNS0_4arch9wavefront6targetE0EEEvT1_
    .private_segment_fixed_size: 0
    .sgpr_count:     0
    .sgpr_spill_count: 0
    .symbol:         _ZN7rocprim17ROCPRIM_400000_NS6detail17trampoline_kernelINS0_14default_configENS1_25partition_config_selectorILNS1_17partition_subalgoE9EiibEEZZNS1_14partition_implILS5_9ELb0ES3_jPKiN6thrust23THRUST_200600_302600_NS17counting_iteratorIiNSB_11use_defaultESD_SD_EEPNS0_10empty_typeENS0_5tupleIJPiSF_EEENSH_IJSI_SG_EEENS0_18inequality_wrapperIN6hipcub16HIPCUB_304000_NS8EqualityEEEPlJSF_EEE10hipError_tPvRmT3_T4_T5_T6_T7_T9_mT8_P12ihipStream_tbDpT10_ENKUlT_T0_E_clISt17integral_constantIbLb1EES1A_EEDaS15_S16_EUlS15_E_NS1_11comp_targetILNS1_3genE5ELNS1_11target_archE942ELNS1_3gpuE9ELNS1_3repE0EEENS1_30default_config_static_selectorELNS0_4arch9wavefront6targetE0EEEvT1_.kd
    .uniform_work_group_size: 1
    .uses_dynamic_stack: false
    .vgpr_count:     0
    .vgpr_spill_count: 0
    .wavefront_size: 32
    .workgroup_processor_mode: 1
  - .args:
      - .offset:         0
        .size:           128
        .value_kind:     by_value
    .group_segment_fixed_size: 0
    .kernarg_segment_align: 8
    .kernarg_segment_size: 128
    .language:       OpenCL C
    .language_version:
      - 2
      - 0
    .max_flat_workgroup_size: 192
    .name:           _ZN7rocprim17ROCPRIM_400000_NS6detail17trampoline_kernelINS0_14default_configENS1_25partition_config_selectorILNS1_17partition_subalgoE9EiibEEZZNS1_14partition_implILS5_9ELb0ES3_jPKiN6thrust23THRUST_200600_302600_NS17counting_iteratorIiNSB_11use_defaultESD_SD_EEPNS0_10empty_typeENS0_5tupleIJPiSF_EEENSH_IJSI_SG_EEENS0_18inequality_wrapperIN6hipcub16HIPCUB_304000_NS8EqualityEEEPlJSF_EEE10hipError_tPvRmT3_T4_T5_T6_T7_T9_mT8_P12ihipStream_tbDpT10_ENKUlT_T0_E_clISt17integral_constantIbLb1EES1A_EEDaS15_S16_EUlS15_E_NS1_11comp_targetILNS1_3genE4ELNS1_11target_archE910ELNS1_3gpuE8ELNS1_3repE0EEENS1_30default_config_static_selectorELNS0_4arch9wavefront6targetE0EEEvT1_
    .private_segment_fixed_size: 0
    .sgpr_count:     0
    .sgpr_spill_count: 0
    .symbol:         _ZN7rocprim17ROCPRIM_400000_NS6detail17trampoline_kernelINS0_14default_configENS1_25partition_config_selectorILNS1_17partition_subalgoE9EiibEEZZNS1_14partition_implILS5_9ELb0ES3_jPKiN6thrust23THRUST_200600_302600_NS17counting_iteratorIiNSB_11use_defaultESD_SD_EEPNS0_10empty_typeENS0_5tupleIJPiSF_EEENSH_IJSI_SG_EEENS0_18inequality_wrapperIN6hipcub16HIPCUB_304000_NS8EqualityEEEPlJSF_EEE10hipError_tPvRmT3_T4_T5_T6_T7_T9_mT8_P12ihipStream_tbDpT10_ENKUlT_T0_E_clISt17integral_constantIbLb1EES1A_EEDaS15_S16_EUlS15_E_NS1_11comp_targetILNS1_3genE4ELNS1_11target_archE910ELNS1_3gpuE8ELNS1_3repE0EEENS1_30default_config_static_selectorELNS0_4arch9wavefront6targetE0EEEvT1_.kd
    .uniform_work_group_size: 1
    .uses_dynamic_stack: false
    .vgpr_count:     0
    .vgpr_spill_count: 0
    .wavefront_size: 32
    .workgroup_processor_mode: 1
  - .args:
      - .offset:         0
        .size:           128
        .value_kind:     by_value
    .group_segment_fixed_size: 0
    .kernarg_segment_align: 8
    .kernarg_segment_size: 128
    .language:       OpenCL C
    .language_version:
      - 2
      - 0
    .max_flat_workgroup_size: 256
    .name:           _ZN7rocprim17ROCPRIM_400000_NS6detail17trampoline_kernelINS0_14default_configENS1_25partition_config_selectorILNS1_17partition_subalgoE9EiibEEZZNS1_14partition_implILS5_9ELb0ES3_jPKiN6thrust23THRUST_200600_302600_NS17counting_iteratorIiNSB_11use_defaultESD_SD_EEPNS0_10empty_typeENS0_5tupleIJPiSF_EEENSH_IJSI_SG_EEENS0_18inequality_wrapperIN6hipcub16HIPCUB_304000_NS8EqualityEEEPlJSF_EEE10hipError_tPvRmT3_T4_T5_T6_T7_T9_mT8_P12ihipStream_tbDpT10_ENKUlT_T0_E_clISt17integral_constantIbLb1EES1A_EEDaS15_S16_EUlS15_E_NS1_11comp_targetILNS1_3genE3ELNS1_11target_archE908ELNS1_3gpuE7ELNS1_3repE0EEENS1_30default_config_static_selectorELNS0_4arch9wavefront6targetE0EEEvT1_
    .private_segment_fixed_size: 0
    .sgpr_count:     0
    .sgpr_spill_count: 0
    .symbol:         _ZN7rocprim17ROCPRIM_400000_NS6detail17trampoline_kernelINS0_14default_configENS1_25partition_config_selectorILNS1_17partition_subalgoE9EiibEEZZNS1_14partition_implILS5_9ELb0ES3_jPKiN6thrust23THRUST_200600_302600_NS17counting_iteratorIiNSB_11use_defaultESD_SD_EEPNS0_10empty_typeENS0_5tupleIJPiSF_EEENSH_IJSI_SG_EEENS0_18inequality_wrapperIN6hipcub16HIPCUB_304000_NS8EqualityEEEPlJSF_EEE10hipError_tPvRmT3_T4_T5_T6_T7_T9_mT8_P12ihipStream_tbDpT10_ENKUlT_T0_E_clISt17integral_constantIbLb1EES1A_EEDaS15_S16_EUlS15_E_NS1_11comp_targetILNS1_3genE3ELNS1_11target_archE908ELNS1_3gpuE7ELNS1_3repE0EEENS1_30default_config_static_selectorELNS0_4arch9wavefront6targetE0EEEvT1_.kd
    .uniform_work_group_size: 1
    .uses_dynamic_stack: false
    .vgpr_count:     0
    .vgpr_spill_count: 0
    .wavefront_size: 32
    .workgroup_processor_mode: 1
  - .args:
      - .offset:         0
        .size:           128
        .value_kind:     by_value
    .group_segment_fixed_size: 0
    .kernarg_segment_align: 8
    .kernarg_segment_size: 128
    .language:       OpenCL C
    .language_version:
      - 2
      - 0
    .max_flat_workgroup_size: 256
    .name:           _ZN7rocprim17ROCPRIM_400000_NS6detail17trampoline_kernelINS0_14default_configENS1_25partition_config_selectorILNS1_17partition_subalgoE9EiibEEZZNS1_14partition_implILS5_9ELb0ES3_jPKiN6thrust23THRUST_200600_302600_NS17counting_iteratorIiNSB_11use_defaultESD_SD_EEPNS0_10empty_typeENS0_5tupleIJPiSF_EEENSH_IJSI_SG_EEENS0_18inequality_wrapperIN6hipcub16HIPCUB_304000_NS8EqualityEEEPlJSF_EEE10hipError_tPvRmT3_T4_T5_T6_T7_T9_mT8_P12ihipStream_tbDpT10_ENKUlT_T0_E_clISt17integral_constantIbLb1EES1A_EEDaS15_S16_EUlS15_E_NS1_11comp_targetILNS1_3genE2ELNS1_11target_archE906ELNS1_3gpuE6ELNS1_3repE0EEENS1_30default_config_static_selectorELNS0_4arch9wavefront6targetE0EEEvT1_
    .private_segment_fixed_size: 0
    .sgpr_count:     0
    .sgpr_spill_count: 0
    .symbol:         _ZN7rocprim17ROCPRIM_400000_NS6detail17trampoline_kernelINS0_14default_configENS1_25partition_config_selectorILNS1_17partition_subalgoE9EiibEEZZNS1_14partition_implILS5_9ELb0ES3_jPKiN6thrust23THRUST_200600_302600_NS17counting_iteratorIiNSB_11use_defaultESD_SD_EEPNS0_10empty_typeENS0_5tupleIJPiSF_EEENSH_IJSI_SG_EEENS0_18inequality_wrapperIN6hipcub16HIPCUB_304000_NS8EqualityEEEPlJSF_EEE10hipError_tPvRmT3_T4_T5_T6_T7_T9_mT8_P12ihipStream_tbDpT10_ENKUlT_T0_E_clISt17integral_constantIbLb1EES1A_EEDaS15_S16_EUlS15_E_NS1_11comp_targetILNS1_3genE2ELNS1_11target_archE906ELNS1_3gpuE6ELNS1_3repE0EEENS1_30default_config_static_selectorELNS0_4arch9wavefront6targetE0EEEvT1_.kd
    .uniform_work_group_size: 1
    .uses_dynamic_stack: false
    .vgpr_count:     0
    .vgpr_spill_count: 0
    .wavefront_size: 32
    .workgroup_processor_mode: 1
  - .args:
      - .offset:         0
        .size:           128
        .value_kind:     by_value
    .group_segment_fixed_size: 0
    .kernarg_segment_align: 8
    .kernarg_segment_size: 128
    .language:       OpenCL C
    .language_version:
      - 2
      - 0
    .max_flat_workgroup_size: 384
    .name:           _ZN7rocprim17ROCPRIM_400000_NS6detail17trampoline_kernelINS0_14default_configENS1_25partition_config_selectorILNS1_17partition_subalgoE9EiibEEZZNS1_14partition_implILS5_9ELb0ES3_jPKiN6thrust23THRUST_200600_302600_NS17counting_iteratorIiNSB_11use_defaultESD_SD_EEPNS0_10empty_typeENS0_5tupleIJPiSF_EEENSH_IJSI_SG_EEENS0_18inequality_wrapperIN6hipcub16HIPCUB_304000_NS8EqualityEEEPlJSF_EEE10hipError_tPvRmT3_T4_T5_T6_T7_T9_mT8_P12ihipStream_tbDpT10_ENKUlT_T0_E_clISt17integral_constantIbLb1EES1A_EEDaS15_S16_EUlS15_E_NS1_11comp_targetILNS1_3genE10ELNS1_11target_archE1200ELNS1_3gpuE4ELNS1_3repE0EEENS1_30default_config_static_selectorELNS0_4arch9wavefront6targetE0EEEvT1_
    .private_segment_fixed_size: 0
    .sgpr_count:     0
    .sgpr_spill_count: 0
    .symbol:         _ZN7rocprim17ROCPRIM_400000_NS6detail17trampoline_kernelINS0_14default_configENS1_25partition_config_selectorILNS1_17partition_subalgoE9EiibEEZZNS1_14partition_implILS5_9ELb0ES3_jPKiN6thrust23THRUST_200600_302600_NS17counting_iteratorIiNSB_11use_defaultESD_SD_EEPNS0_10empty_typeENS0_5tupleIJPiSF_EEENSH_IJSI_SG_EEENS0_18inequality_wrapperIN6hipcub16HIPCUB_304000_NS8EqualityEEEPlJSF_EEE10hipError_tPvRmT3_T4_T5_T6_T7_T9_mT8_P12ihipStream_tbDpT10_ENKUlT_T0_E_clISt17integral_constantIbLb1EES1A_EEDaS15_S16_EUlS15_E_NS1_11comp_targetILNS1_3genE10ELNS1_11target_archE1200ELNS1_3gpuE4ELNS1_3repE0EEENS1_30default_config_static_selectorELNS0_4arch9wavefront6targetE0EEEvT1_.kd
    .uniform_work_group_size: 1
    .uses_dynamic_stack: false
    .vgpr_count:     0
    .vgpr_spill_count: 0
    .wavefront_size: 32
    .workgroup_processor_mode: 1
  - .args:
      - .offset:         0
        .size:           128
        .value_kind:     by_value
    .group_segment_fixed_size: 0
    .kernarg_segment_align: 8
    .kernarg_segment_size: 128
    .language:       OpenCL C
    .language_version:
      - 2
      - 0
    .max_flat_workgroup_size: 384
    .name:           _ZN7rocprim17ROCPRIM_400000_NS6detail17trampoline_kernelINS0_14default_configENS1_25partition_config_selectorILNS1_17partition_subalgoE9EiibEEZZNS1_14partition_implILS5_9ELb0ES3_jPKiN6thrust23THRUST_200600_302600_NS17counting_iteratorIiNSB_11use_defaultESD_SD_EEPNS0_10empty_typeENS0_5tupleIJPiSF_EEENSH_IJSI_SG_EEENS0_18inequality_wrapperIN6hipcub16HIPCUB_304000_NS8EqualityEEEPlJSF_EEE10hipError_tPvRmT3_T4_T5_T6_T7_T9_mT8_P12ihipStream_tbDpT10_ENKUlT_T0_E_clISt17integral_constantIbLb1EES1A_EEDaS15_S16_EUlS15_E_NS1_11comp_targetILNS1_3genE9ELNS1_11target_archE1100ELNS1_3gpuE3ELNS1_3repE0EEENS1_30default_config_static_selectorELNS0_4arch9wavefront6targetE0EEEvT1_
    .private_segment_fixed_size: 0
    .sgpr_count:     0
    .sgpr_spill_count: 0
    .symbol:         _ZN7rocprim17ROCPRIM_400000_NS6detail17trampoline_kernelINS0_14default_configENS1_25partition_config_selectorILNS1_17partition_subalgoE9EiibEEZZNS1_14partition_implILS5_9ELb0ES3_jPKiN6thrust23THRUST_200600_302600_NS17counting_iteratorIiNSB_11use_defaultESD_SD_EEPNS0_10empty_typeENS0_5tupleIJPiSF_EEENSH_IJSI_SG_EEENS0_18inequality_wrapperIN6hipcub16HIPCUB_304000_NS8EqualityEEEPlJSF_EEE10hipError_tPvRmT3_T4_T5_T6_T7_T9_mT8_P12ihipStream_tbDpT10_ENKUlT_T0_E_clISt17integral_constantIbLb1EES1A_EEDaS15_S16_EUlS15_E_NS1_11comp_targetILNS1_3genE9ELNS1_11target_archE1100ELNS1_3gpuE3ELNS1_3repE0EEENS1_30default_config_static_selectorELNS0_4arch9wavefront6targetE0EEEvT1_.kd
    .uniform_work_group_size: 1
    .uses_dynamic_stack: false
    .vgpr_count:     0
    .vgpr_spill_count: 0
    .wavefront_size: 32
    .workgroup_processor_mode: 1
  - .args:
      - .offset:         0
        .size:           128
        .value_kind:     by_value
    .group_segment_fixed_size: 0
    .kernarg_segment_align: 8
    .kernarg_segment_size: 128
    .language:       OpenCL C
    .language_version:
      - 2
      - 0
    .max_flat_workgroup_size: 512
    .name:           _ZN7rocprim17ROCPRIM_400000_NS6detail17trampoline_kernelINS0_14default_configENS1_25partition_config_selectorILNS1_17partition_subalgoE9EiibEEZZNS1_14partition_implILS5_9ELb0ES3_jPKiN6thrust23THRUST_200600_302600_NS17counting_iteratorIiNSB_11use_defaultESD_SD_EEPNS0_10empty_typeENS0_5tupleIJPiSF_EEENSH_IJSI_SG_EEENS0_18inequality_wrapperIN6hipcub16HIPCUB_304000_NS8EqualityEEEPlJSF_EEE10hipError_tPvRmT3_T4_T5_T6_T7_T9_mT8_P12ihipStream_tbDpT10_ENKUlT_T0_E_clISt17integral_constantIbLb1EES1A_EEDaS15_S16_EUlS15_E_NS1_11comp_targetILNS1_3genE8ELNS1_11target_archE1030ELNS1_3gpuE2ELNS1_3repE0EEENS1_30default_config_static_selectorELNS0_4arch9wavefront6targetE0EEEvT1_
    .private_segment_fixed_size: 0
    .sgpr_count:     0
    .sgpr_spill_count: 0
    .symbol:         _ZN7rocprim17ROCPRIM_400000_NS6detail17trampoline_kernelINS0_14default_configENS1_25partition_config_selectorILNS1_17partition_subalgoE9EiibEEZZNS1_14partition_implILS5_9ELb0ES3_jPKiN6thrust23THRUST_200600_302600_NS17counting_iteratorIiNSB_11use_defaultESD_SD_EEPNS0_10empty_typeENS0_5tupleIJPiSF_EEENSH_IJSI_SG_EEENS0_18inequality_wrapperIN6hipcub16HIPCUB_304000_NS8EqualityEEEPlJSF_EEE10hipError_tPvRmT3_T4_T5_T6_T7_T9_mT8_P12ihipStream_tbDpT10_ENKUlT_T0_E_clISt17integral_constantIbLb1EES1A_EEDaS15_S16_EUlS15_E_NS1_11comp_targetILNS1_3genE8ELNS1_11target_archE1030ELNS1_3gpuE2ELNS1_3repE0EEENS1_30default_config_static_selectorELNS0_4arch9wavefront6targetE0EEEvT1_.kd
    .uniform_work_group_size: 1
    .uses_dynamic_stack: false
    .vgpr_count:     0
    .vgpr_spill_count: 0
    .wavefront_size: 32
    .workgroup_processor_mode: 1
  - .args:
      - .address_space:  global
        .offset:         0
        .size:           8
        .value_kind:     global_buffer
      - .offset:         8
        .size:           4
        .value_kind:     by_value
      - .offset:         12
        .size:           1
        .value_kind:     by_value
      - .offset:         16
        .size:           4
        .value_kind:     by_value
      - .address_space:  global
        .offset:         24
        .size:           8
        .value_kind:     global_buffer
      - .offset:         32
        .size:           4
        .value_kind:     hidden_block_count_x
      - .offset:         36
        .size:           4
        .value_kind:     hidden_block_count_y
      - .offset:         40
        .size:           4
        .value_kind:     hidden_block_count_z
      - .offset:         44
        .size:           2
        .value_kind:     hidden_group_size_x
      - .offset:         46
        .size:           2
        .value_kind:     hidden_group_size_y
      - .offset:         48
        .size:           2
        .value_kind:     hidden_group_size_z
      - .offset:         50
        .size:           2
        .value_kind:     hidden_remainder_x
      - .offset:         52
        .size:           2
        .value_kind:     hidden_remainder_y
      - .offset:         54
        .size:           2
        .value_kind:     hidden_remainder_z
      - .offset:         72
        .size:           8
        .value_kind:     hidden_global_offset_x
      - .offset:         80
        .size:           8
        .value_kind:     hidden_global_offset_y
      - .offset:         88
        .size:           8
        .value_kind:     hidden_global_offset_z
      - .offset:         96
        .size:           2
        .value_kind:     hidden_grid_dims
    .group_segment_fixed_size: 0
    .kernarg_segment_align: 8
    .kernarg_segment_size: 288
    .language:       OpenCL C
    .language_version:
      - 2
      - 0
    .max_flat_workgroup_size: 256
    .name:           _ZN7rocprim17ROCPRIM_400000_NS6detail31init_lookback_scan_state_kernelINS1_19lookback_scan_stateIjLb1ELb1EEENS1_16block_id_wrapperIjLb0EEEEEvT_jT0_jPNS7_10value_typeE
    .private_segment_fixed_size: 0
    .sgpr_count:     12
    .sgpr_spill_count: 0
    .symbol:         _ZN7rocprim17ROCPRIM_400000_NS6detail31init_lookback_scan_state_kernelINS1_19lookback_scan_stateIjLb1ELb1EEENS1_16block_id_wrapperIjLb0EEEEEvT_jT0_jPNS7_10value_typeE.kd
    .uniform_work_group_size: 1
    .uses_dynamic_stack: false
    .vgpr_count:     7
    .vgpr_spill_count: 0
    .wavefront_size: 32
    .workgroup_processor_mode: 1
  - .args:
      - .offset:         0
        .size:           112
        .value_kind:     by_value
    .group_segment_fixed_size: 0
    .kernarg_segment_align: 8
    .kernarg_segment_size: 112
    .language:       OpenCL C
    .language_version:
      - 2
      - 0
    .max_flat_workgroup_size: 256
    .name:           _ZN7rocprim17ROCPRIM_400000_NS6detail17trampoline_kernelINS0_14default_configENS1_25partition_config_selectorILNS1_17partition_subalgoE9EiibEEZZNS1_14partition_implILS5_9ELb0ES3_jPKiN6thrust23THRUST_200600_302600_NS17counting_iteratorIiNSB_11use_defaultESD_SD_EEPNS0_10empty_typeENS0_5tupleIJPiSF_EEENSH_IJSI_SG_EEENS0_18inequality_wrapperIN6hipcub16HIPCUB_304000_NS8EqualityEEEPlJSF_EEE10hipError_tPvRmT3_T4_T5_T6_T7_T9_mT8_P12ihipStream_tbDpT10_ENKUlT_T0_E_clISt17integral_constantIbLb1EES19_IbLb0EEEEDaS15_S16_EUlS15_E_NS1_11comp_targetILNS1_3genE0ELNS1_11target_archE4294967295ELNS1_3gpuE0ELNS1_3repE0EEENS1_30default_config_static_selectorELNS0_4arch9wavefront6targetE0EEEvT1_
    .private_segment_fixed_size: 0
    .sgpr_count:     0
    .sgpr_spill_count: 0
    .symbol:         _ZN7rocprim17ROCPRIM_400000_NS6detail17trampoline_kernelINS0_14default_configENS1_25partition_config_selectorILNS1_17partition_subalgoE9EiibEEZZNS1_14partition_implILS5_9ELb0ES3_jPKiN6thrust23THRUST_200600_302600_NS17counting_iteratorIiNSB_11use_defaultESD_SD_EEPNS0_10empty_typeENS0_5tupleIJPiSF_EEENSH_IJSI_SG_EEENS0_18inequality_wrapperIN6hipcub16HIPCUB_304000_NS8EqualityEEEPlJSF_EEE10hipError_tPvRmT3_T4_T5_T6_T7_T9_mT8_P12ihipStream_tbDpT10_ENKUlT_T0_E_clISt17integral_constantIbLb1EES19_IbLb0EEEEDaS15_S16_EUlS15_E_NS1_11comp_targetILNS1_3genE0ELNS1_11target_archE4294967295ELNS1_3gpuE0ELNS1_3repE0EEENS1_30default_config_static_selectorELNS0_4arch9wavefront6targetE0EEEvT1_.kd
    .uniform_work_group_size: 1
    .uses_dynamic_stack: false
    .vgpr_count:     0
    .vgpr_spill_count: 0
    .wavefront_size: 32
    .workgroup_processor_mode: 1
  - .args:
      - .offset:         0
        .size:           112
        .value_kind:     by_value
    .group_segment_fixed_size: 0
    .kernarg_segment_align: 8
    .kernarg_segment_size: 112
    .language:       OpenCL C
    .language_version:
      - 2
      - 0
    .max_flat_workgroup_size: 512
    .name:           _ZN7rocprim17ROCPRIM_400000_NS6detail17trampoline_kernelINS0_14default_configENS1_25partition_config_selectorILNS1_17partition_subalgoE9EiibEEZZNS1_14partition_implILS5_9ELb0ES3_jPKiN6thrust23THRUST_200600_302600_NS17counting_iteratorIiNSB_11use_defaultESD_SD_EEPNS0_10empty_typeENS0_5tupleIJPiSF_EEENSH_IJSI_SG_EEENS0_18inequality_wrapperIN6hipcub16HIPCUB_304000_NS8EqualityEEEPlJSF_EEE10hipError_tPvRmT3_T4_T5_T6_T7_T9_mT8_P12ihipStream_tbDpT10_ENKUlT_T0_E_clISt17integral_constantIbLb1EES19_IbLb0EEEEDaS15_S16_EUlS15_E_NS1_11comp_targetILNS1_3genE5ELNS1_11target_archE942ELNS1_3gpuE9ELNS1_3repE0EEENS1_30default_config_static_selectorELNS0_4arch9wavefront6targetE0EEEvT1_
    .private_segment_fixed_size: 0
    .sgpr_count:     0
    .sgpr_spill_count: 0
    .symbol:         _ZN7rocprim17ROCPRIM_400000_NS6detail17trampoline_kernelINS0_14default_configENS1_25partition_config_selectorILNS1_17partition_subalgoE9EiibEEZZNS1_14partition_implILS5_9ELb0ES3_jPKiN6thrust23THRUST_200600_302600_NS17counting_iteratorIiNSB_11use_defaultESD_SD_EEPNS0_10empty_typeENS0_5tupleIJPiSF_EEENSH_IJSI_SG_EEENS0_18inequality_wrapperIN6hipcub16HIPCUB_304000_NS8EqualityEEEPlJSF_EEE10hipError_tPvRmT3_T4_T5_T6_T7_T9_mT8_P12ihipStream_tbDpT10_ENKUlT_T0_E_clISt17integral_constantIbLb1EES19_IbLb0EEEEDaS15_S16_EUlS15_E_NS1_11comp_targetILNS1_3genE5ELNS1_11target_archE942ELNS1_3gpuE9ELNS1_3repE0EEENS1_30default_config_static_selectorELNS0_4arch9wavefront6targetE0EEEvT1_.kd
    .uniform_work_group_size: 1
    .uses_dynamic_stack: false
    .vgpr_count:     0
    .vgpr_spill_count: 0
    .wavefront_size: 32
    .workgroup_processor_mode: 1
  - .args:
      - .offset:         0
        .size:           112
        .value_kind:     by_value
    .group_segment_fixed_size: 0
    .kernarg_segment_align: 8
    .kernarg_segment_size: 112
    .language:       OpenCL C
    .language_version:
      - 2
      - 0
    .max_flat_workgroup_size: 192
    .name:           _ZN7rocprim17ROCPRIM_400000_NS6detail17trampoline_kernelINS0_14default_configENS1_25partition_config_selectorILNS1_17partition_subalgoE9EiibEEZZNS1_14partition_implILS5_9ELb0ES3_jPKiN6thrust23THRUST_200600_302600_NS17counting_iteratorIiNSB_11use_defaultESD_SD_EEPNS0_10empty_typeENS0_5tupleIJPiSF_EEENSH_IJSI_SG_EEENS0_18inequality_wrapperIN6hipcub16HIPCUB_304000_NS8EqualityEEEPlJSF_EEE10hipError_tPvRmT3_T4_T5_T6_T7_T9_mT8_P12ihipStream_tbDpT10_ENKUlT_T0_E_clISt17integral_constantIbLb1EES19_IbLb0EEEEDaS15_S16_EUlS15_E_NS1_11comp_targetILNS1_3genE4ELNS1_11target_archE910ELNS1_3gpuE8ELNS1_3repE0EEENS1_30default_config_static_selectorELNS0_4arch9wavefront6targetE0EEEvT1_
    .private_segment_fixed_size: 0
    .sgpr_count:     0
    .sgpr_spill_count: 0
    .symbol:         _ZN7rocprim17ROCPRIM_400000_NS6detail17trampoline_kernelINS0_14default_configENS1_25partition_config_selectorILNS1_17partition_subalgoE9EiibEEZZNS1_14partition_implILS5_9ELb0ES3_jPKiN6thrust23THRUST_200600_302600_NS17counting_iteratorIiNSB_11use_defaultESD_SD_EEPNS0_10empty_typeENS0_5tupleIJPiSF_EEENSH_IJSI_SG_EEENS0_18inequality_wrapperIN6hipcub16HIPCUB_304000_NS8EqualityEEEPlJSF_EEE10hipError_tPvRmT3_T4_T5_T6_T7_T9_mT8_P12ihipStream_tbDpT10_ENKUlT_T0_E_clISt17integral_constantIbLb1EES19_IbLb0EEEEDaS15_S16_EUlS15_E_NS1_11comp_targetILNS1_3genE4ELNS1_11target_archE910ELNS1_3gpuE8ELNS1_3repE0EEENS1_30default_config_static_selectorELNS0_4arch9wavefront6targetE0EEEvT1_.kd
    .uniform_work_group_size: 1
    .uses_dynamic_stack: false
    .vgpr_count:     0
    .vgpr_spill_count: 0
    .wavefront_size: 32
    .workgroup_processor_mode: 1
  - .args:
      - .offset:         0
        .size:           112
        .value_kind:     by_value
    .group_segment_fixed_size: 0
    .kernarg_segment_align: 8
    .kernarg_segment_size: 112
    .language:       OpenCL C
    .language_version:
      - 2
      - 0
    .max_flat_workgroup_size: 256
    .name:           _ZN7rocprim17ROCPRIM_400000_NS6detail17trampoline_kernelINS0_14default_configENS1_25partition_config_selectorILNS1_17partition_subalgoE9EiibEEZZNS1_14partition_implILS5_9ELb0ES3_jPKiN6thrust23THRUST_200600_302600_NS17counting_iteratorIiNSB_11use_defaultESD_SD_EEPNS0_10empty_typeENS0_5tupleIJPiSF_EEENSH_IJSI_SG_EEENS0_18inequality_wrapperIN6hipcub16HIPCUB_304000_NS8EqualityEEEPlJSF_EEE10hipError_tPvRmT3_T4_T5_T6_T7_T9_mT8_P12ihipStream_tbDpT10_ENKUlT_T0_E_clISt17integral_constantIbLb1EES19_IbLb0EEEEDaS15_S16_EUlS15_E_NS1_11comp_targetILNS1_3genE3ELNS1_11target_archE908ELNS1_3gpuE7ELNS1_3repE0EEENS1_30default_config_static_selectorELNS0_4arch9wavefront6targetE0EEEvT1_
    .private_segment_fixed_size: 0
    .sgpr_count:     0
    .sgpr_spill_count: 0
    .symbol:         _ZN7rocprim17ROCPRIM_400000_NS6detail17trampoline_kernelINS0_14default_configENS1_25partition_config_selectorILNS1_17partition_subalgoE9EiibEEZZNS1_14partition_implILS5_9ELb0ES3_jPKiN6thrust23THRUST_200600_302600_NS17counting_iteratorIiNSB_11use_defaultESD_SD_EEPNS0_10empty_typeENS0_5tupleIJPiSF_EEENSH_IJSI_SG_EEENS0_18inequality_wrapperIN6hipcub16HIPCUB_304000_NS8EqualityEEEPlJSF_EEE10hipError_tPvRmT3_T4_T5_T6_T7_T9_mT8_P12ihipStream_tbDpT10_ENKUlT_T0_E_clISt17integral_constantIbLb1EES19_IbLb0EEEEDaS15_S16_EUlS15_E_NS1_11comp_targetILNS1_3genE3ELNS1_11target_archE908ELNS1_3gpuE7ELNS1_3repE0EEENS1_30default_config_static_selectorELNS0_4arch9wavefront6targetE0EEEvT1_.kd
    .uniform_work_group_size: 1
    .uses_dynamic_stack: false
    .vgpr_count:     0
    .vgpr_spill_count: 0
    .wavefront_size: 32
    .workgroup_processor_mode: 1
  - .args:
      - .offset:         0
        .size:           112
        .value_kind:     by_value
    .group_segment_fixed_size: 0
    .kernarg_segment_align: 8
    .kernarg_segment_size: 112
    .language:       OpenCL C
    .language_version:
      - 2
      - 0
    .max_flat_workgroup_size: 256
    .name:           _ZN7rocprim17ROCPRIM_400000_NS6detail17trampoline_kernelINS0_14default_configENS1_25partition_config_selectorILNS1_17partition_subalgoE9EiibEEZZNS1_14partition_implILS5_9ELb0ES3_jPKiN6thrust23THRUST_200600_302600_NS17counting_iteratorIiNSB_11use_defaultESD_SD_EEPNS0_10empty_typeENS0_5tupleIJPiSF_EEENSH_IJSI_SG_EEENS0_18inequality_wrapperIN6hipcub16HIPCUB_304000_NS8EqualityEEEPlJSF_EEE10hipError_tPvRmT3_T4_T5_T6_T7_T9_mT8_P12ihipStream_tbDpT10_ENKUlT_T0_E_clISt17integral_constantIbLb1EES19_IbLb0EEEEDaS15_S16_EUlS15_E_NS1_11comp_targetILNS1_3genE2ELNS1_11target_archE906ELNS1_3gpuE6ELNS1_3repE0EEENS1_30default_config_static_selectorELNS0_4arch9wavefront6targetE0EEEvT1_
    .private_segment_fixed_size: 0
    .sgpr_count:     0
    .sgpr_spill_count: 0
    .symbol:         _ZN7rocprim17ROCPRIM_400000_NS6detail17trampoline_kernelINS0_14default_configENS1_25partition_config_selectorILNS1_17partition_subalgoE9EiibEEZZNS1_14partition_implILS5_9ELb0ES3_jPKiN6thrust23THRUST_200600_302600_NS17counting_iteratorIiNSB_11use_defaultESD_SD_EEPNS0_10empty_typeENS0_5tupleIJPiSF_EEENSH_IJSI_SG_EEENS0_18inequality_wrapperIN6hipcub16HIPCUB_304000_NS8EqualityEEEPlJSF_EEE10hipError_tPvRmT3_T4_T5_T6_T7_T9_mT8_P12ihipStream_tbDpT10_ENKUlT_T0_E_clISt17integral_constantIbLb1EES19_IbLb0EEEEDaS15_S16_EUlS15_E_NS1_11comp_targetILNS1_3genE2ELNS1_11target_archE906ELNS1_3gpuE6ELNS1_3repE0EEENS1_30default_config_static_selectorELNS0_4arch9wavefront6targetE0EEEvT1_.kd
    .uniform_work_group_size: 1
    .uses_dynamic_stack: false
    .vgpr_count:     0
    .vgpr_spill_count: 0
    .wavefront_size: 32
    .workgroup_processor_mode: 1
  - .args:
      - .offset:         0
        .size:           112
        .value_kind:     by_value
    .group_segment_fixed_size: 0
    .kernarg_segment_align: 8
    .kernarg_segment_size: 112
    .language:       OpenCL C
    .language_version:
      - 2
      - 0
    .max_flat_workgroup_size: 384
    .name:           _ZN7rocprim17ROCPRIM_400000_NS6detail17trampoline_kernelINS0_14default_configENS1_25partition_config_selectorILNS1_17partition_subalgoE9EiibEEZZNS1_14partition_implILS5_9ELb0ES3_jPKiN6thrust23THRUST_200600_302600_NS17counting_iteratorIiNSB_11use_defaultESD_SD_EEPNS0_10empty_typeENS0_5tupleIJPiSF_EEENSH_IJSI_SG_EEENS0_18inequality_wrapperIN6hipcub16HIPCUB_304000_NS8EqualityEEEPlJSF_EEE10hipError_tPvRmT3_T4_T5_T6_T7_T9_mT8_P12ihipStream_tbDpT10_ENKUlT_T0_E_clISt17integral_constantIbLb1EES19_IbLb0EEEEDaS15_S16_EUlS15_E_NS1_11comp_targetILNS1_3genE10ELNS1_11target_archE1200ELNS1_3gpuE4ELNS1_3repE0EEENS1_30default_config_static_selectorELNS0_4arch9wavefront6targetE0EEEvT1_
    .private_segment_fixed_size: 0
    .sgpr_count:     0
    .sgpr_spill_count: 0
    .symbol:         _ZN7rocprim17ROCPRIM_400000_NS6detail17trampoline_kernelINS0_14default_configENS1_25partition_config_selectorILNS1_17partition_subalgoE9EiibEEZZNS1_14partition_implILS5_9ELb0ES3_jPKiN6thrust23THRUST_200600_302600_NS17counting_iteratorIiNSB_11use_defaultESD_SD_EEPNS0_10empty_typeENS0_5tupleIJPiSF_EEENSH_IJSI_SG_EEENS0_18inequality_wrapperIN6hipcub16HIPCUB_304000_NS8EqualityEEEPlJSF_EEE10hipError_tPvRmT3_T4_T5_T6_T7_T9_mT8_P12ihipStream_tbDpT10_ENKUlT_T0_E_clISt17integral_constantIbLb1EES19_IbLb0EEEEDaS15_S16_EUlS15_E_NS1_11comp_targetILNS1_3genE10ELNS1_11target_archE1200ELNS1_3gpuE4ELNS1_3repE0EEENS1_30default_config_static_selectorELNS0_4arch9wavefront6targetE0EEEvT1_.kd
    .uniform_work_group_size: 1
    .uses_dynamic_stack: false
    .vgpr_count:     0
    .vgpr_spill_count: 0
    .wavefront_size: 32
    .workgroup_processor_mode: 1
  - .args:
      - .offset:         0
        .size:           112
        .value_kind:     by_value
    .group_segment_fixed_size: 0
    .kernarg_segment_align: 8
    .kernarg_segment_size: 112
    .language:       OpenCL C
    .language_version:
      - 2
      - 0
    .max_flat_workgroup_size: 384
    .name:           _ZN7rocprim17ROCPRIM_400000_NS6detail17trampoline_kernelINS0_14default_configENS1_25partition_config_selectorILNS1_17partition_subalgoE9EiibEEZZNS1_14partition_implILS5_9ELb0ES3_jPKiN6thrust23THRUST_200600_302600_NS17counting_iteratorIiNSB_11use_defaultESD_SD_EEPNS0_10empty_typeENS0_5tupleIJPiSF_EEENSH_IJSI_SG_EEENS0_18inequality_wrapperIN6hipcub16HIPCUB_304000_NS8EqualityEEEPlJSF_EEE10hipError_tPvRmT3_T4_T5_T6_T7_T9_mT8_P12ihipStream_tbDpT10_ENKUlT_T0_E_clISt17integral_constantIbLb1EES19_IbLb0EEEEDaS15_S16_EUlS15_E_NS1_11comp_targetILNS1_3genE9ELNS1_11target_archE1100ELNS1_3gpuE3ELNS1_3repE0EEENS1_30default_config_static_selectorELNS0_4arch9wavefront6targetE0EEEvT1_
    .private_segment_fixed_size: 0
    .sgpr_count:     0
    .sgpr_spill_count: 0
    .symbol:         _ZN7rocprim17ROCPRIM_400000_NS6detail17trampoline_kernelINS0_14default_configENS1_25partition_config_selectorILNS1_17partition_subalgoE9EiibEEZZNS1_14partition_implILS5_9ELb0ES3_jPKiN6thrust23THRUST_200600_302600_NS17counting_iteratorIiNSB_11use_defaultESD_SD_EEPNS0_10empty_typeENS0_5tupleIJPiSF_EEENSH_IJSI_SG_EEENS0_18inequality_wrapperIN6hipcub16HIPCUB_304000_NS8EqualityEEEPlJSF_EEE10hipError_tPvRmT3_T4_T5_T6_T7_T9_mT8_P12ihipStream_tbDpT10_ENKUlT_T0_E_clISt17integral_constantIbLb1EES19_IbLb0EEEEDaS15_S16_EUlS15_E_NS1_11comp_targetILNS1_3genE9ELNS1_11target_archE1100ELNS1_3gpuE3ELNS1_3repE0EEENS1_30default_config_static_selectorELNS0_4arch9wavefront6targetE0EEEvT1_.kd
    .uniform_work_group_size: 1
    .uses_dynamic_stack: false
    .vgpr_count:     0
    .vgpr_spill_count: 0
    .wavefront_size: 32
    .workgroup_processor_mode: 1
  - .args:
      - .offset:         0
        .size:           112
        .value_kind:     by_value
    .group_segment_fixed_size: 0
    .kernarg_segment_align: 8
    .kernarg_segment_size: 112
    .language:       OpenCL C
    .language_version:
      - 2
      - 0
    .max_flat_workgroup_size: 512
    .name:           _ZN7rocprim17ROCPRIM_400000_NS6detail17trampoline_kernelINS0_14default_configENS1_25partition_config_selectorILNS1_17partition_subalgoE9EiibEEZZNS1_14partition_implILS5_9ELb0ES3_jPKiN6thrust23THRUST_200600_302600_NS17counting_iteratorIiNSB_11use_defaultESD_SD_EEPNS0_10empty_typeENS0_5tupleIJPiSF_EEENSH_IJSI_SG_EEENS0_18inequality_wrapperIN6hipcub16HIPCUB_304000_NS8EqualityEEEPlJSF_EEE10hipError_tPvRmT3_T4_T5_T6_T7_T9_mT8_P12ihipStream_tbDpT10_ENKUlT_T0_E_clISt17integral_constantIbLb1EES19_IbLb0EEEEDaS15_S16_EUlS15_E_NS1_11comp_targetILNS1_3genE8ELNS1_11target_archE1030ELNS1_3gpuE2ELNS1_3repE0EEENS1_30default_config_static_selectorELNS0_4arch9wavefront6targetE0EEEvT1_
    .private_segment_fixed_size: 0
    .sgpr_count:     0
    .sgpr_spill_count: 0
    .symbol:         _ZN7rocprim17ROCPRIM_400000_NS6detail17trampoline_kernelINS0_14default_configENS1_25partition_config_selectorILNS1_17partition_subalgoE9EiibEEZZNS1_14partition_implILS5_9ELb0ES3_jPKiN6thrust23THRUST_200600_302600_NS17counting_iteratorIiNSB_11use_defaultESD_SD_EEPNS0_10empty_typeENS0_5tupleIJPiSF_EEENSH_IJSI_SG_EEENS0_18inequality_wrapperIN6hipcub16HIPCUB_304000_NS8EqualityEEEPlJSF_EEE10hipError_tPvRmT3_T4_T5_T6_T7_T9_mT8_P12ihipStream_tbDpT10_ENKUlT_T0_E_clISt17integral_constantIbLb1EES19_IbLb0EEEEDaS15_S16_EUlS15_E_NS1_11comp_targetILNS1_3genE8ELNS1_11target_archE1030ELNS1_3gpuE2ELNS1_3repE0EEENS1_30default_config_static_selectorELNS0_4arch9wavefront6targetE0EEEvT1_.kd
    .uniform_work_group_size: 1
    .uses_dynamic_stack: false
    .vgpr_count:     0
    .vgpr_spill_count: 0
    .wavefront_size: 32
    .workgroup_processor_mode: 1
  - .args:
      - .address_space:  global
        .offset:         0
        .size:           8
        .value_kind:     global_buffer
      - .offset:         8
        .size:           4
        .value_kind:     by_value
      - .address_space:  global
        .offset:         16
        .size:           8
        .value_kind:     global_buffer
      - .offset:         24
        .size:           4
        .value_kind:     by_value
      - .address_space:  global
        .offset:         32
        .size:           8
        .value_kind:     global_buffer
      - .offset:         40
        .size:           4
        .value_kind:     hidden_block_count_x
      - .offset:         44
        .size:           4
        .value_kind:     hidden_block_count_y
      - .offset:         48
        .size:           4
        .value_kind:     hidden_block_count_z
      - .offset:         52
        .size:           2
        .value_kind:     hidden_group_size_x
      - .offset:         54
        .size:           2
        .value_kind:     hidden_group_size_y
      - .offset:         56
        .size:           2
        .value_kind:     hidden_group_size_z
      - .offset:         58
        .size:           2
        .value_kind:     hidden_remainder_x
      - .offset:         60
        .size:           2
        .value_kind:     hidden_remainder_y
      - .offset:         62
        .size:           2
        .value_kind:     hidden_remainder_z
      - .offset:         80
        .size:           8
        .value_kind:     hidden_global_offset_x
      - .offset:         88
        .size:           8
        .value_kind:     hidden_global_offset_y
      - .offset:         96
        .size:           8
        .value_kind:     hidden_global_offset_z
      - .offset:         104
        .size:           2
        .value_kind:     hidden_grid_dims
    .group_segment_fixed_size: 0
    .kernarg_segment_align: 8
    .kernarg_segment_size: 296
    .language:       OpenCL C
    .language_version:
      - 2
      - 0
    .max_flat_workgroup_size: 256
    .name:           _ZN7rocprim17ROCPRIM_400000_NS6detail31init_lookback_scan_state_kernelINS1_19lookback_scan_stateIjLb0ELb1EEENS1_16block_id_wrapperIjLb1EEEEEvT_jT0_jPNS7_10value_typeE
    .private_segment_fixed_size: 0
    .sgpr_count:     12
    .sgpr_spill_count: 0
    .symbol:         _ZN7rocprim17ROCPRIM_400000_NS6detail31init_lookback_scan_state_kernelINS1_19lookback_scan_stateIjLb0ELb1EEENS1_16block_id_wrapperIjLb1EEEEEvT_jT0_jPNS7_10value_typeE.kd
    .uniform_work_group_size: 1
    .uses_dynamic_stack: false
    .vgpr_count:     7
    .vgpr_spill_count: 0
    .wavefront_size: 32
    .workgroup_processor_mode: 1
  - .args:
      - .offset:         0
        .size:           128
        .value_kind:     by_value
    .group_segment_fixed_size: 0
    .kernarg_segment_align: 8
    .kernarg_segment_size: 128
    .language:       OpenCL C
    .language_version:
      - 2
      - 0
    .max_flat_workgroup_size: 256
    .name:           _ZN7rocprim17ROCPRIM_400000_NS6detail17trampoline_kernelINS0_14default_configENS1_25partition_config_selectorILNS1_17partition_subalgoE9EiibEEZZNS1_14partition_implILS5_9ELb0ES3_jPKiN6thrust23THRUST_200600_302600_NS17counting_iteratorIiNSB_11use_defaultESD_SD_EEPNS0_10empty_typeENS0_5tupleIJPiSF_EEENSH_IJSI_SG_EEENS0_18inequality_wrapperIN6hipcub16HIPCUB_304000_NS8EqualityEEEPlJSF_EEE10hipError_tPvRmT3_T4_T5_T6_T7_T9_mT8_P12ihipStream_tbDpT10_ENKUlT_T0_E_clISt17integral_constantIbLb0EES19_IbLb1EEEEDaS15_S16_EUlS15_E_NS1_11comp_targetILNS1_3genE0ELNS1_11target_archE4294967295ELNS1_3gpuE0ELNS1_3repE0EEENS1_30default_config_static_selectorELNS0_4arch9wavefront6targetE0EEEvT1_
    .private_segment_fixed_size: 0
    .sgpr_count:     0
    .sgpr_spill_count: 0
    .symbol:         _ZN7rocprim17ROCPRIM_400000_NS6detail17trampoline_kernelINS0_14default_configENS1_25partition_config_selectorILNS1_17partition_subalgoE9EiibEEZZNS1_14partition_implILS5_9ELb0ES3_jPKiN6thrust23THRUST_200600_302600_NS17counting_iteratorIiNSB_11use_defaultESD_SD_EEPNS0_10empty_typeENS0_5tupleIJPiSF_EEENSH_IJSI_SG_EEENS0_18inequality_wrapperIN6hipcub16HIPCUB_304000_NS8EqualityEEEPlJSF_EEE10hipError_tPvRmT3_T4_T5_T6_T7_T9_mT8_P12ihipStream_tbDpT10_ENKUlT_T0_E_clISt17integral_constantIbLb0EES19_IbLb1EEEEDaS15_S16_EUlS15_E_NS1_11comp_targetILNS1_3genE0ELNS1_11target_archE4294967295ELNS1_3gpuE0ELNS1_3repE0EEENS1_30default_config_static_selectorELNS0_4arch9wavefront6targetE0EEEvT1_.kd
    .uniform_work_group_size: 1
    .uses_dynamic_stack: false
    .vgpr_count:     0
    .vgpr_spill_count: 0
    .wavefront_size: 32
    .workgroup_processor_mode: 1
  - .args:
      - .offset:         0
        .size:           128
        .value_kind:     by_value
    .group_segment_fixed_size: 0
    .kernarg_segment_align: 8
    .kernarg_segment_size: 128
    .language:       OpenCL C
    .language_version:
      - 2
      - 0
    .max_flat_workgroup_size: 512
    .name:           _ZN7rocprim17ROCPRIM_400000_NS6detail17trampoline_kernelINS0_14default_configENS1_25partition_config_selectorILNS1_17partition_subalgoE9EiibEEZZNS1_14partition_implILS5_9ELb0ES3_jPKiN6thrust23THRUST_200600_302600_NS17counting_iteratorIiNSB_11use_defaultESD_SD_EEPNS0_10empty_typeENS0_5tupleIJPiSF_EEENSH_IJSI_SG_EEENS0_18inequality_wrapperIN6hipcub16HIPCUB_304000_NS8EqualityEEEPlJSF_EEE10hipError_tPvRmT3_T4_T5_T6_T7_T9_mT8_P12ihipStream_tbDpT10_ENKUlT_T0_E_clISt17integral_constantIbLb0EES19_IbLb1EEEEDaS15_S16_EUlS15_E_NS1_11comp_targetILNS1_3genE5ELNS1_11target_archE942ELNS1_3gpuE9ELNS1_3repE0EEENS1_30default_config_static_selectorELNS0_4arch9wavefront6targetE0EEEvT1_
    .private_segment_fixed_size: 0
    .sgpr_count:     0
    .sgpr_spill_count: 0
    .symbol:         _ZN7rocprim17ROCPRIM_400000_NS6detail17trampoline_kernelINS0_14default_configENS1_25partition_config_selectorILNS1_17partition_subalgoE9EiibEEZZNS1_14partition_implILS5_9ELb0ES3_jPKiN6thrust23THRUST_200600_302600_NS17counting_iteratorIiNSB_11use_defaultESD_SD_EEPNS0_10empty_typeENS0_5tupleIJPiSF_EEENSH_IJSI_SG_EEENS0_18inequality_wrapperIN6hipcub16HIPCUB_304000_NS8EqualityEEEPlJSF_EEE10hipError_tPvRmT3_T4_T5_T6_T7_T9_mT8_P12ihipStream_tbDpT10_ENKUlT_T0_E_clISt17integral_constantIbLb0EES19_IbLb1EEEEDaS15_S16_EUlS15_E_NS1_11comp_targetILNS1_3genE5ELNS1_11target_archE942ELNS1_3gpuE9ELNS1_3repE0EEENS1_30default_config_static_selectorELNS0_4arch9wavefront6targetE0EEEvT1_.kd
    .uniform_work_group_size: 1
    .uses_dynamic_stack: false
    .vgpr_count:     0
    .vgpr_spill_count: 0
    .wavefront_size: 32
    .workgroup_processor_mode: 1
  - .args:
      - .offset:         0
        .size:           128
        .value_kind:     by_value
    .group_segment_fixed_size: 0
    .kernarg_segment_align: 8
    .kernarg_segment_size: 128
    .language:       OpenCL C
    .language_version:
      - 2
      - 0
    .max_flat_workgroup_size: 192
    .name:           _ZN7rocprim17ROCPRIM_400000_NS6detail17trampoline_kernelINS0_14default_configENS1_25partition_config_selectorILNS1_17partition_subalgoE9EiibEEZZNS1_14partition_implILS5_9ELb0ES3_jPKiN6thrust23THRUST_200600_302600_NS17counting_iteratorIiNSB_11use_defaultESD_SD_EEPNS0_10empty_typeENS0_5tupleIJPiSF_EEENSH_IJSI_SG_EEENS0_18inequality_wrapperIN6hipcub16HIPCUB_304000_NS8EqualityEEEPlJSF_EEE10hipError_tPvRmT3_T4_T5_T6_T7_T9_mT8_P12ihipStream_tbDpT10_ENKUlT_T0_E_clISt17integral_constantIbLb0EES19_IbLb1EEEEDaS15_S16_EUlS15_E_NS1_11comp_targetILNS1_3genE4ELNS1_11target_archE910ELNS1_3gpuE8ELNS1_3repE0EEENS1_30default_config_static_selectorELNS0_4arch9wavefront6targetE0EEEvT1_
    .private_segment_fixed_size: 0
    .sgpr_count:     0
    .sgpr_spill_count: 0
    .symbol:         _ZN7rocprim17ROCPRIM_400000_NS6detail17trampoline_kernelINS0_14default_configENS1_25partition_config_selectorILNS1_17partition_subalgoE9EiibEEZZNS1_14partition_implILS5_9ELb0ES3_jPKiN6thrust23THRUST_200600_302600_NS17counting_iteratorIiNSB_11use_defaultESD_SD_EEPNS0_10empty_typeENS0_5tupleIJPiSF_EEENSH_IJSI_SG_EEENS0_18inequality_wrapperIN6hipcub16HIPCUB_304000_NS8EqualityEEEPlJSF_EEE10hipError_tPvRmT3_T4_T5_T6_T7_T9_mT8_P12ihipStream_tbDpT10_ENKUlT_T0_E_clISt17integral_constantIbLb0EES19_IbLb1EEEEDaS15_S16_EUlS15_E_NS1_11comp_targetILNS1_3genE4ELNS1_11target_archE910ELNS1_3gpuE8ELNS1_3repE0EEENS1_30default_config_static_selectorELNS0_4arch9wavefront6targetE0EEEvT1_.kd
    .uniform_work_group_size: 1
    .uses_dynamic_stack: false
    .vgpr_count:     0
    .vgpr_spill_count: 0
    .wavefront_size: 32
    .workgroup_processor_mode: 1
  - .args:
      - .offset:         0
        .size:           128
        .value_kind:     by_value
    .group_segment_fixed_size: 0
    .kernarg_segment_align: 8
    .kernarg_segment_size: 128
    .language:       OpenCL C
    .language_version:
      - 2
      - 0
    .max_flat_workgroup_size: 256
    .name:           _ZN7rocprim17ROCPRIM_400000_NS6detail17trampoline_kernelINS0_14default_configENS1_25partition_config_selectorILNS1_17partition_subalgoE9EiibEEZZNS1_14partition_implILS5_9ELb0ES3_jPKiN6thrust23THRUST_200600_302600_NS17counting_iteratorIiNSB_11use_defaultESD_SD_EEPNS0_10empty_typeENS0_5tupleIJPiSF_EEENSH_IJSI_SG_EEENS0_18inequality_wrapperIN6hipcub16HIPCUB_304000_NS8EqualityEEEPlJSF_EEE10hipError_tPvRmT3_T4_T5_T6_T7_T9_mT8_P12ihipStream_tbDpT10_ENKUlT_T0_E_clISt17integral_constantIbLb0EES19_IbLb1EEEEDaS15_S16_EUlS15_E_NS1_11comp_targetILNS1_3genE3ELNS1_11target_archE908ELNS1_3gpuE7ELNS1_3repE0EEENS1_30default_config_static_selectorELNS0_4arch9wavefront6targetE0EEEvT1_
    .private_segment_fixed_size: 0
    .sgpr_count:     0
    .sgpr_spill_count: 0
    .symbol:         _ZN7rocprim17ROCPRIM_400000_NS6detail17trampoline_kernelINS0_14default_configENS1_25partition_config_selectorILNS1_17partition_subalgoE9EiibEEZZNS1_14partition_implILS5_9ELb0ES3_jPKiN6thrust23THRUST_200600_302600_NS17counting_iteratorIiNSB_11use_defaultESD_SD_EEPNS0_10empty_typeENS0_5tupleIJPiSF_EEENSH_IJSI_SG_EEENS0_18inequality_wrapperIN6hipcub16HIPCUB_304000_NS8EqualityEEEPlJSF_EEE10hipError_tPvRmT3_T4_T5_T6_T7_T9_mT8_P12ihipStream_tbDpT10_ENKUlT_T0_E_clISt17integral_constantIbLb0EES19_IbLb1EEEEDaS15_S16_EUlS15_E_NS1_11comp_targetILNS1_3genE3ELNS1_11target_archE908ELNS1_3gpuE7ELNS1_3repE0EEENS1_30default_config_static_selectorELNS0_4arch9wavefront6targetE0EEEvT1_.kd
    .uniform_work_group_size: 1
    .uses_dynamic_stack: false
    .vgpr_count:     0
    .vgpr_spill_count: 0
    .wavefront_size: 32
    .workgroup_processor_mode: 1
  - .args:
      - .offset:         0
        .size:           128
        .value_kind:     by_value
    .group_segment_fixed_size: 0
    .kernarg_segment_align: 8
    .kernarg_segment_size: 128
    .language:       OpenCL C
    .language_version:
      - 2
      - 0
    .max_flat_workgroup_size: 256
    .name:           _ZN7rocprim17ROCPRIM_400000_NS6detail17trampoline_kernelINS0_14default_configENS1_25partition_config_selectorILNS1_17partition_subalgoE9EiibEEZZNS1_14partition_implILS5_9ELb0ES3_jPKiN6thrust23THRUST_200600_302600_NS17counting_iteratorIiNSB_11use_defaultESD_SD_EEPNS0_10empty_typeENS0_5tupleIJPiSF_EEENSH_IJSI_SG_EEENS0_18inequality_wrapperIN6hipcub16HIPCUB_304000_NS8EqualityEEEPlJSF_EEE10hipError_tPvRmT3_T4_T5_T6_T7_T9_mT8_P12ihipStream_tbDpT10_ENKUlT_T0_E_clISt17integral_constantIbLb0EES19_IbLb1EEEEDaS15_S16_EUlS15_E_NS1_11comp_targetILNS1_3genE2ELNS1_11target_archE906ELNS1_3gpuE6ELNS1_3repE0EEENS1_30default_config_static_selectorELNS0_4arch9wavefront6targetE0EEEvT1_
    .private_segment_fixed_size: 0
    .sgpr_count:     0
    .sgpr_spill_count: 0
    .symbol:         _ZN7rocprim17ROCPRIM_400000_NS6detail17trampoline_kernelINS0_14default_configENS1_25partition_config_selectorILNS1_17partition_subalgoE9EiibEEZZNS1_14partition_implILS5_9ELb0ES3_jPKiN6thrust23THRUST_200600_302600_NS17counting_iteratorIiNSB_11use_defaultESD_SD_EEPNS0_10empty_typeENS0_5tupleIJPiSF_EEENSH_IJSI_SG_EEENS0_18inequality_wrapperIN6hipcub16HIPCUB_304000_NS8EqualityEEEPlJSF_EEE10hipError_tPvRmT3_T4_T5_T6_T7_T9_mT8_P12ihipStream_tbDpT10_ENKUlT_T0_E_clISt17integral_constantIbLb0EES19_IbLb1EEEEDaS15_S16_EUlS15_E_NS1_11comp_targetILNS1_3genE2ELNS1_11target_archE906ELNS1_3gpuE6ELNS1_3repE0EEENS1_30default_config_static_selectorELNS0_4arch9wavefront6targetE0EEEvT1_.kd
    .uniform_work_group_size: 1
    .uses_dynamic_stack: false
    .vgpr_count:     0
    .vgpr_spill_count: 0
    .wavefront_size: 32
    .workgroup_processor_mode: 1
  - .args:
      - .offset:         0
        .size:           128
        .value_kind:     by_value
    .group_segment_fixed_size: 10760
    .kernarg_segment_align: 8
    .kernarg_segment_size: 128
    .language:       OpenCL C
    .language_version:
      - 2
      - 0
    .max_flat_workgroup_size: 384
    .name:           _ZN7rocprim17ROCPRIM_400000_NS6detail17trampoline_kernelINS0_14default_configENS1_25partition_config_selectorILNS1_17partition_subalgoE9EiibEEZZNS1_14partition_implILS5_9ELb0ES3_jPKiN6thrust23THRUST_200600_302600_NS17counting_iteratorIiNSB_11use_defaultESD_SD_EEPNS0_10empty_typeENS0_5tupleIJPiSF_EEENSH_IJSI_SG_EEENS0_18inequality_wrapperIN6hipcub16HIPCUB_304000_NS8EqualityEEEPlJSF_EEE10hipError_tPvRmT3_T4_T5_T6_T7_T9_mT8_P12ihipStream_tbDpT10_ENKUlT_T0_E_clISt17integral_constantIbLb0EES19_IbLb1EEEEDaS15_S16_EUlS15_E_NS1_11comp_targetILNS1_3genE10ELNS1_11target_archE1200ELNS1_3gpuE4ELNS1_3repE0EEENS1_30default_config_static_selectorELNS0_4arch9wavefront6targetE0EEEvT1_
    .private_segment_fixed_size: 0
    .sgpr_count:     30
    .sgpr_spill_count: 0
    .symbol:         _ZN7rocprim17ROCPRIM_400000_NS6detail17trampoline_kernelINS0_14default_configENS1_25partition_config_selectorILNS1_17partition_subalgoE9EiibEEZZNS1_14partition_implILS5_9ELb0ES3_jPKiN6thrust23THRUST_200600_302600_NS17counting_iteratorIiNSB_11use_defaultESD_SD_EEPNS0_10empty_typeENS0_5tupleIJPiSF_EEENSH_IJSI_SG_EEENS0_18inequality_wrapperIN6hipcub16HIPCUB_304000_NS8EqualityEEEPlJSF_EEE10hipError_tPvRmT3_T4_T5_T6_T7_T9_mT8_P12ihipStream_tbDpT10_ENKUlT_T0_E_clISt17integral_constantIbLb0EES19_IbLb1EEEEDaS15_S16_EUlS15_E_NS1_11comp_targetILNS1_3genE10ELNS1_11target_archE1200ELNS1_3gpuE4ELNS1_3repE0EEENS1_30default_config_static_selectorELNS0_4arch9wavefront6targetE0EEEvT1_.kd
    .uniform_work_group_size: 1
    .uses_dynamic_stack: false
    .vgpr_count:     53
    .vgpr_spill_count: 0
    .wavefront_size: 32
    .workgroup_processor_mode: 1
  - .args:
      - .offset:         0
        .size:           128
        .value_kind:     by_value
    .group_segment_fixed_size: 0
    .kernarg_segment_align: 8
    .kernarg_segment_size: 128
    .language:       OpenCL C
    .language_version:
      - 2
      - 0
    .max_flat_workgroup_size: 384
    .name:           _ZN7rocprim17ROCPRIM_400000_NS6detail17trampoline_kernelINS0_14default_configENS1_25partition_config_selectorILNS1_17partition_subalgoE9EiibEEZZNS1_14partition_implILS5_9ELb0ES3_jPKiN6thrust23THRUST_200600_302600_NS17counting_iteratorIiNSB_11use_defaultESD_SD_EEPNS0_10empty_typeENS0_5tupleIJPiSF_EEENSH_IJSI_SG_EEENS0_18inequality_wrapperIN6hipcub16HIPCUB_304000_NS8EqualityEEEPlJSF_EEE10hipError_tPvRmT3_T4_T5_T6_T7_T9_mT8_P12ihipStream_tbDpT10_ENKUlT_T0_E_clISt17integral_constantIbLb0EES19_IbLb1EEEEDaS15_S16_EUlS15_E_NS1_11comp_targetILNS1_3genE9ELNS1_11target_archE1100ELNS1_3gpuE3ELNS1_3repE0EEENS1_30default_config_static_selectorELNS0_4arch9wavefront6targetE0EEEvT1_
    .private_segment_fixed_size: 0
    .sgpr_count:     0
    .sgpr_spill_count: 0
    .symbol:         _ZN7rocprim17ROCPRIM_400000_NS6detail17trampoline_kernelINS0_14default_configENS1_25partition_config_selectorILNS1_17partition_subalgoE9EiibEEZZNS1_14partition_implILS5_9ELb0ES3_jPKiN6thrust23THRUST_200600_302600_NS17counting_iteratorIiNSB_11use_defaultESD_SD_EEPNS0_10empty_typeENS0_5tupleIJPiSF_EEENSH_IJSI_SG_EEENS0_18inequality_wrapperIN6hipcub16HIPCUB_304000_NS8EqualityEEEPlJSF_EEE10hipError_tPvRmT3_T4_T5_T6_T7_T9_mT8_P12ihipStream_tbDpT10_ENKUlT_T0_E_clISt17integral_constantIbLb0EES19_IbLb1EEEEDaS15_S16_EUlS15_E_NS1_11comp_targetILNS1_3genE9ELNS1_11target_archE1100ELNS1_3gpuE3ELNS1_3repE0EEENS1_30default_config_static_selectorELNS0_4arch9wavefront6targetE0EEEvT1_.kd
    .uniform_work_group_size: 1
    .uses_dynamic_stack: false
    .vgpr_count:     0
    .vgpr_spill_count: 0
    .wavefront_size: 32
    .workgroup_processor_mode: 1
  - .args:
      - .offset:         0
        .size:           128
        .value_kind:     by_value
    .group_segment_fixed_size: 0
    .kernarg_segment_align: 8
    .kernarg_segment_size: 128
    .language:       OpenCL C
    .language_version:
      - 2
      - 0
    .max_flat_workgroup_size: 512
    .name:           _ZN7rocprim17ROCPRIM_400000_NS6detail17trampoline_kernelINS0_14default_configENS1_25partition_config_selectorILNS1_17partition_subalgoE9EiibEEZZNS1_14partition_implILS5_9ELb0ES3_jPKiN6thrust23THRUST_200600_302600_NS17counting_iteratorIiNSB_11use_defaultESD_SD_EEPNS0_10empty_typeENS0_5tupleIJPiSF_EEENSH_IJSI_SG_EEENS0_18inequality_wrapperIN6hipcub16HIPCUB_304000_NS8EqualityEEEPlJSF_EEE10hipError_tPvRmT3_T4_T5_T6_T7_T9_mT8_P12ihipStream_tbDpT10_ENKUlT_T0_E_clISt17integral_constantIbLb0EES19_IbLb1EEEEDaS15_S16_EUlS15_E_NS1_11comp_targetILNS1_3genE8ELNS1_11target_archE1030ELNS1_3gpuE2ELNS1_3repE0EEENS1_30default_config_static_selectorELNS0_4arch9wavefront6targetE0EEEvT1_
    .private_segment_fixed_size: 0
    .sgpr_count:     0
    .sgpr_spill_count: 0
    .symbol:         _ZN7rocprim17ROCPRIM_400000_NS6detail17trampoline_kernelINS0_14default_configENS1_25partition_config_selectorILNS1_17partition_subalgoE9EiibEEZZNS1_14partition_implILS5_9ELb0ES3_jPKiN6thrust23THRUST_200600_302600_NS17counting_iteratorIiNSB_11use_defaultESD_SD_EEPNS0_10empty_typeENS0_5tupleIJPiSF_EEENSH_IJSI_SG_EEENS0_18inequality_wrapperIN6hipcub16HIPCUB_304000_NS8EqualityEEEPlJSF_EEE10hipError_tPvRmT3_T4_T5_T6_T7_T9_mT8_P12ihipStream_tbDpT10_ENKUlT_T0_E_clISt17integral_constantIbLb0EES19_IbLb1EEEEDaS15_S16_EUlS15_E_NS1_11comp_targetILNS1_3genE8ELNS1_11target_archE1030ELNS1_3gpuE2ELNS1_3repE0EEENS1_30default_config_static_selectorELNS0_4arch9wavefront6targetE0EEEvT1_.kd
    .uniform_work_group_size: 1
    .uses_dynamic_stack: false
    .vgpr_count:     0
    .vgpr_spill_count: 0
    .wavefront_size: 32
    .workgroup_processor_mode: 1
  - .args:
      - .offset:         0
        .size:           112
        .value_kind:     by_value
    .group_segment_fixed_size: 0
    .kernarg_segment_align: 8
    .kernarg_segment_size: 112
    .language:       OpenCL C
    .language_version:
      - 2
      - 0
    .max_flat_workgroup_size: 128
    .name:           _ZN7rocprim17ROCPRIM_400000_NS6detail17trampoline_kernelINS0_14default_configENS1_25partition_config_selectorILNS1_17partition_subalgoE9EllbEEZZNS1_14partition_implILS5_9ELb0ES3_jPKlN6thrust23THRUST_200600_302600_NS17counting_iteratorIlNSB_11use_defaultESD_SD_EEPNS0_10empty_typeENS0_5tupleIJPlSF_EEENSH_IJSI_SG_EEENS0_18inequality_wrapperIN6hipcub16HIPCUB_304000_NS8EqualityEEESI_JSF_EEE10hipError_tPvRmT3_T4_T5_T6_T7_T9_mT8_P12ihipStream_tbDpT10_ENKUlT_T0_E_clISt17integral_constantIbLb0EES19_EEDaS14_S15_EUlS14_E_NS1_11comp_targetILNS1_3genE0ELNS1_11target_archE4294967295ELNS1_3gpuE0ELNS1_3repE0EEENS1_30default_config_static_selectorELNS0_4arch9wavefront6targetE0EEEvT1_
    .private_segment_fixed_size: 0
    .sgpr_count:     0
    .sgpr_spill_count: 0
    .symbol:         _ZN7rocprim17ROCPRIM_400000_NS6detail17trampoline_kernelINS0_14default_configENS1_25partition_config_selectorILNS1_17partition_subalgoE9EllbEEZZNS1_14partition_implILS5_9ELb0ES3_jPKlN6thrust23THRUST_200600_302600_NS17counting_iteratorIlNSB_11use_defaultESD_SD_EEPNS0_10empty_typeENS0_5tupleIJPlSF_EEENSH_IJSI_SG_EEENS0_18inequality_wrapperIN6hipcub16HIPCUB_304000_NS8EqualityEEESI_JSF_EEE10hipError_tPvRmT3_T4_T5_T6_T7_T9_mT8_P12ihipStream_tbDpT10_ENKUlT_T0_E_clISt17integral_constantIbLb0EES19_EEDaS14_S15_EUlS14_E_NS1_11comp_targetILNS1_3genE0ELNS1_11target_archE4294967295ELNS1_3gpuE0ELNS1_3repE0EEENS1_30default_config_static_selectorELNS0_4arch9wavefront6targetE0EEEvT1_.kd
    .uniform_work_group_size: 1
    .uses_dynamic_stack: false
    .vgpr_count:     0
    .vgpr_spill_count: 0
    .wavefront_size: 32
    .workgroup_processor_mode: 1
  - .args:
      - .offset:         0
        .size:           112
        .value_kind:     by_value
    .group_segment_fixed_size: 0
    .kernarg_segment_align: 8
    .kernarg_segment_size: 112
    .language:       OpenCL C
    .language_version:
      - 2
      - 0
    .max_flat_workgroup_size: 512
    .name:           _ZN7rocprim17ROCPRIM_400000_NS6detail17trampoline_kernelINS0_14default_configENS1_25partition_config_selectorILNS1_17partition_subalgoE9EllbEEZZNS1_14partition_implILS5_9ELb0ES3_jPKlN6thrust23THRUST_200600_302600_NS17counting_iteratorIlNSB_11use_defaultESD_SD_EEPNS0_10empty_typeENS0_5tupleIJPlSF_EEENSH_IJSI_SG_EEENS0_18inequality_wrapperIN6hipcub16HIPCUB_304000_NS8EqualityEEESI_JSF_EEE10hipError_tPvRmT3_T4_T5_T6_T7_T9_mT8_P12ihipStream_tbDpT10_ENKUlT_T0_E_clISt17integral_constantIbLb0EES19_EEDaS14_S15_EUlS14_E_NS1_11comp_targetILNS1_3genE5ELNS1_11target_archE942ELNS1_3gpuE9ELNS1_3repE0EEENS1_30default_config_static_selectorELNS0_4arch9wavefront6targetE0EEEvT1_
    .private_segment_fixed_size: 0
    .sgpr_count:     0
    .sgpr_spill_count: 0
    .symbol:         _ZN7rocprim17ROCPRIM_400000_NS6detail17trampoline_kernelINS0_14default_configENS1_25partition_config_selectorILNS1_17partition_subalgoE9EllbEEZZNS1_14partition_implILS5_9ELb0ES3_jPKlN6thrust23THRUST_200600_302600_NS17counting_iteratorIlNSB_11use_defaultESD_SD_EEPNS0_10empty_typeENS0_5tupleIJPlSF_EEENSH_IJSI_SG_EEENS0_18inequality_wrapperIN6hipcub16HIPCUB_304000_NS8EqualityEEESI_JSF_EEE10hipError_tPvRmT3_T4_T5_T6_T7_T9_mT8_P12ihipStream_tbDpT10_ENKUlT_T0_E_clISt17integral_constantIbLb0EES19_EEDaS14_S15_EUlS14_E_NS1_11comp_targetILNS1_3genE5ELNS1_11target_archE942ELNS1_3gpuE9ELNS1_3repE0EEENS1_30default_config_static_selectorELNS0_4arch9wavefront6targetE0EEEvT1_.kd
    .uniform_work_group_size: 1
    .uses_dynamic_stack: false
    .vgpr_count:     0
    .vgpr_spill_count: 0
    .wavefront_size: 32
    .workgroup_processor_mode: 1
  - .args:
      - .offset:         0
        .size:           112
        .value_kind:     by_value
    .group_segment_fixed_size: 0
    .kernarg_segment_align: 8
    .kernarg_segment_size: 112
    .language:       OpenCL C
    .language_version:
      - 2
      - 0
    .max_flat_workgroup_size: 128
    .name:           _ZN7rocprim17ROCPRIM_400000_NS6detail17trampoline_kernelINS0_14default_configENS1_25partition_config_selectorILNS1_17partition_subalgoE9EllbEEZZNS1_14partition_implILS5_9ELb0ES3_jPKlN6thrust23THRUST_200600_302600_NS17counting_iteratorIlNSB_11use_defaultESD_SD_EEPNS0_10empty_typeENS0_5tupleIJPlSF_EEENSH_IJSI_SG_EEENS0_18inequality_wrapperIN6hipcub16HIPCUB_304000_NS8EqualityEEESI_JSF_EEE10hipError_tPvRmT3_T4_T5_T6_T7_T9_mT8_P12ihipStream_tbDpT10_ENKUlT_T0_E_clISt17integral_constantIbLb0EES19_EEDaS14_S15_EUlS14_E_NS1_11comp_targetILNS1_3genE4ELNS1_11target_archE910ELNS1_3gpuE8ELNS1_3repE0EEENS1_30default_config_static_selectorELNS0_4arch9wavefront6targetE0EEEvT1_
    .private_segment_fixed_size: 0
    .sgpr_count:     0
    .sgpr_spill_count: 0
    .symbol:         _ZN7rocprim17ROCPRIM_400000_NS6detail17trampoline_kernelINS0_14default_configENS1_25partition_config_selectorILNS1_17partition_subalgoE9EllbEEZZNS1_14partition_implILS5_9ELb0ES3_jPKlN6thrust23THRUST_200600_302600_NS17counting_iteratorIlNSB_11use_defaultESD_SD_EEPNS0_10empty_typeENS0_5tupleIJPlSF_EEENSH_IJSI_SG_EEENS0_18inequality_wrapperIN6hipcub16HIPCUB_304000_NS8EqualityEEESI_JSF_EEE10hipError_tPvRmT3_T4_T5_T6_T7_T9_mT8_P12ihipStream_tbDpT10_ENKUlT_T0_E_clISt17integral_constantIbLb0EES19_EEDaS14_S15_EUlS14_E_NS1_11comp_targetILNS1_3genE4ELNS1_11target_archE910ELNS1_3gpuE8ELNS1_3repE0EEENS1_30default_config_static_selectorELNS0_4arch9wavefront6targetE0EEEvT1_.kd
    .uniform_work_group_size: 1
    .uses_dynamic_stack: false
    .vgpr_count:     0
    .vgpr_spill_count: 0
    .wavefront_size: 32
    .workgroup_processor_mode: 1
  - .args:
      - .offset:         0
        .size:           112
        .value_kind:     by_value
    .group_segment_fixed_size: 0
    .kernarg_segment_align: 8
    .kernarg_segment_size: 112
    .language:       OpenCL C
    .language_version:
      - 2
      - 0
    .max_flat_workgroup_size: 128
    .name:           _ZN7rocprim17ROCPRIM_400000_NS6detail17trampoline_kernelINS0_14default_configENS1_25partition_config_selectorILNS1_17partition_subalgoE9EllbEEZZNS1_14partition_implILS5_9ELb0ES3_jPKlN6thrust23THRUST_200600_302600_NS17counting_iteratorIlNSB_11use_defaultESD_SD_EEPNS0_10empty_typeENS0_5tupleIJPlSF_EEENSH_IJSI_SG_EEENS0_18inequality_wrapperIN6hipcub16HIPCUB_304000_NS8EqualityEEESI_JSF_EEE10hipError_tPvRmT3_T4_T5_T6_T7_T9_mT8_P12ihipStream_tbDpT10_ENKUlT_T0_E_clISt17integral_constantIbLb0EES19_EEDaS14_S15_EUlS14_E_NS1_11comp_targetILNS1_3genE3ELNS1_11target_archE908ELNS1_3gpuE7ELNS1_3repE0EEENS1_30default_config_static_selectorELNS0_4arch9wavefront6targetE0EEEvT1_
    .private_segment_fixed_size: 0
    .sgpr_count:     0
    .sgpr_spill_count: 0
    .symbol:         _ZN7rocprim17ROCPRIM_400000_NS6detail17trampoline_kernelINS0_14default_configENS1_25partition_config_selectorILNS1_17partition_subalgoE9EllbEEZZNS1_14partition_implILS5_9ELb0ES3_jPKlN6thrust23THRUST_200600_302600_NS17counting_iteratorIlNSB_11use_defaultESD_SD_EEPNS0_10empty_typeENS0_5tupleIJPlSF_EEENSH_IJSI_SG_EEENS0_18inequality_wrapperIN6hipcub16HIPCUB_304000_NS8EqualityEEESI_JSF_EEE10hipError_tPvRmT3_T4_T5_T6_T7_T9_mT8_P12ihipStream_tbDpT10_ENKUlT_T0_E_clISt17integral_constantIbLb0EES19_EEDaS14_S15_EUlS14_E_NS1_11comp_targetILNS1_3genE3ELNS1_11target_archE908ELNS1_3gpuE7ELNS1_3repE0EEENS1_30default_config_static_selectorELNS0_4arch9wavefront6targetE0EEEvT1_.kd
    .uniform_work_group_size: 1
    .uses_dynamic_stack: false
    .vgpr_count:     0
    .vgpr_spill_count: 0
    .wavefront_size: 32
    .workgroup_processor_mode: 1
  - .args:
      - .offset:         0
        .size:           112
        .value_kind:     by_value
    .group_segment_fixed_size: 0
    .kernarg_segment_align: 8
    .kernarg_segment_size: 112
    .language:       OpenCL C
    .language_version:
      - 2
      - 0
    .max_flat_workgroup_size: 192
    .name:           _ZN7rocprim17ROCPRIM_400000_NS6detail17trampoline_kernelINS0_14default_configENS1_25partition_config_selectorILNS1_17partition_subalgoE9EllbEEZZNS1_14partition_implILS5_9ELb0ES3_jPKlN6thrust23THRUST_200600_302600_NS17counting_iteratorIlNSB_11use_defaultESD_SD_EEPNS0_10empty_typeENS0_5tupleIJPlSF_EEENSH_IJSI_SG_EEENS0_18inequality_wrapperIN6hipcub16HIPCUB_304000_NS8EqualityEEESI_JSF_EEE10hipError_tPvRmT3_T4_T5_T6_T7_T9_mT8_P12ihipStream_tbDpT10_ENKUlT_T0_E_clISt17integral_constantIbLb0EES19_EEDaS14_S15_EUlS14_E_NS1_11comp_targetILNS1_3genE2ELNS1_11target_archE906ELNS1_3gpuE6ELNS1_3repE0EEENS1_30default_config_static_selectorELNS0_4arch9wavefront6targetE0EEEvT1_
    .private_segment_fixed_size: 0
    .sgpr_count:     0
    .sgpr_spill_count: 0
    .symbol:         _ZN7rocprim17ROCPRIM_400000_NS6detail17trampoline_kernelINS0_14default_configENS1_25partition_config_selectorILNS1_17partition_subalgoE9EllbEEZZNS1_14partition_implILS5_9ELb0ES3_jPKlN6thrust23THRUST_200600_302600_NS17counting_iteratorIlNSB_11use_defaultESD_SD_EEPNS0_10empty_typeENS0_5tupleIJPlSF_EEENSH_IJSI_SG_EEENS0_18inequality_wrapperIN6hipcub16HIPCUB_304000_NS8EqualityEEESI_JSF_EEE10hipError_tPvRmT3_T4_T5_T6_T7_T9_mT8_P12ihipStream_tbDpT10_ENKUlT_T0_E_clISt17integral_constantIbLb0EES19_EEDaS14_S15_EUlS14_E_NS1_11comp_targetILNS1_3genE2ELNS1_11target_archE906ELNS1_3gpuE6ELNS1_3repE0EEENS1_30default_config_static_selectorELNS0_4arch9wavefront6targetE0EEEvT1_.kd
    .uniform_work_group_size: 1
    .uses_dynamic_stack: false
    .vgpr_count:     0
    .vgpr_spill_count: 0
    .wavefront_size: 32
    .workgroup_processor_mode: 1
  - .args:
      - .offset:         0
        .size:           112
        .value_kind:     by_value
    .group_segment_fixed_size: 25352
    .kernarg_segment_align: 8
    .kernarg_segment_size: 112
    .language:       OpenCL C
    .language_version:
      - 2
      - 0
    .max_flat_workgroup_size: 384
    .name:           _ZN7rocprim17ROCPRIM_400000_NS6detail17trampoline_kernelINS0_14default_configENS1_25partition_config_selectorILNS1_17partition_subalgoE9EllbEEZZNS1_14partition_implILS5_9ELb0ES3_jPKlN6thrust23THRUST_200600_302600_NS17counting_iteratorIlNSB_11use_defaultESD_SD_EEPNS0_10empty_typeENS0_5tupleIJPlSF_EEENSH_IJSI_SG_EEENS0_18inequality_wrapperIN6hipcub16HIPCUB_304000_NS8EqualityEEESI_JSF_EEE10hipError_tPvRmT3_T4_T5_T6_T7_T9_mT8_P12ihipStream_tbDpT10_ENKUlT_T0_E_clISt17integral_constantIbLb0EES19_EEDaS14_S15_EUlS14_E_NS1_11comp_targetILNS1_3genE10ELNS1_11target_archE1200ELNS1_3gpuE4ELNS1_3repE0EEENS1_30default_config_static_selectorELNS0_4arch9wavefront6targetE0EEEvT1_
    .private_segment_fixed_size: 0
    .sgpr_count:     28
    .sgpr_spill_count: 0
    .symbol:         _ZN7rocprim17ROCPRIM_400000_NS6detail17trampoline_kernelINS0_14default_configENS1_25partition_config_selectorILNS1_17partition_subalgoE9EllbEEZZNS1_14partition_implILS5_9ELb0ES3_jPKlN6thrust23THRUST_200600_302600_NS17counting_iteratorIlNSB_11use_defaultESD_SD_EEPNS0_10empty_typeENS0_5tupleIJPlSF_EEENSH_IJSI_SG_EEENS0_18inequality_wrapperIN6hipcub16HIPCUB_304000_NS8EqualityEEESI_JSF_EEE10hipError_tPvRmT3_T4_T5_T6_T7_T9_mT8_P12ihipStream_tbDpT10_ENKUlT_T0_E_clISt17integral_constantIbLb0EES19_EEDaS14_S15_EUlS14_E_NS1_11comp_targetILNS1_3genE10ELNS1_11target_archE1200ELNS1_3gpuE4ELNS1_3repE0EEENS1_30default_config_static_selectorELNS0_4arch9wavefront6targetE0EEEvT1_.kd
    .uniform_work_group_size: 1
    .uses_dynamic_stack: false
    .vgpr_count:     73
    .vgpr_spill_count: 0
    .wavefront_size: 32
    .workgroup_processor_mode: 1
  - .args:
      - .offset:         0
        .size:           112
        .value_kind:     by_value
    .group_segment_fixed_size: 0
    .kernarg_segment_align: 8
    .kernarg_segment_size: 112
    .language:       OpenCL C
    .language_version:
      - 2
      - 0
    .max_flat_workgroup_size: 512
    .name:           _ZN7rocprim17ROCPRIM_400000_NS6detail17trampoline_kernelINS0_14default_configENS1_25partition_config_selectorILNS1_17partition_subalgoE9EllbEEZZNS1_14partition_implILS5_9ELb0ES3_jPKlN6thrust23THRUST_200600_302600_NS17counting_iteratorIlNSB_11use_defaultESD_SD_EEPNS0_10empty_typeENS0_5tupleIJPlSF_EEENSH_IJSI_SG_EEENS0_18inequality_wrapperIN6hipcub16HIPCUB_304000_NS8EqualityEEESI_JSF_EEE10hipError_tPvRmT3_T4_T5_T6_T7_T9_mT8_P12ihipStream_tbDpT10_ENKUlT_T0_E_clISt17integral_constantIbLb0EES19_EEDaS14_S15_EUlS14_E_NS1_11comp_targetILNS1_3genE9ELNS1_11target_archE1100ELNS1_3gpuE3ELNS1_3repE0EEENS1_30default_config_static_selectorELNS0_4arch9wavefront6targetE0EEEvT1_
    .private_segment_fixed_size: 0
    .sgpr_count:     0
    .sgpr_spill_count: 0
    .symbol:         _ZN7rocprim17ROCPRIM_400000_NS6detail17trampoline_kernelINS0_14default_configENS1_25partition_config_selectorILNS1_17partition_subalgoE9EllbEEZZNS1_14partition_implILS5_9ELb0ES3_jPKlN6thrust23THRUST_200600_302600_NS17counting_iteratorIlNSB_11use_defaultESD_SD_EEPNS0_10empty_typeENS0_5tupleIJPlSF_EEENSH_IJSI_SG_EEENS0_18inequality_wrapperIN6hipcub16HIPCUB_304000_NS8EqualityEEESI_JSF_EEE10hipError_tPvRmT3_T4_T5_T6_T7_T9_mT8_P12ihipStream_tbDpT10_ENKUlT_T0_E_clISt17integral_constantIbLb0EES19_EEDaS14_S15_EUlS14_E_NS1_11comp_targetILNS1_3genE9ELNS1_11target_archE1100ELNS1_3gpuE3ELNS1_3repE0EEENS1_30default_config_static_selectorELNS0_4arch9wavefront6targetE0EEEvT1_.kd
    .uniform_work_group_size: 1
    .uses_dynamic_stack: false
    .vgpr_count:     0
    .vgpr_spill_count: 0
    .wavefront_size: 32
    .workgroup_processor_mode: 1
  - .args:
      - .offset:         0
        .size:           112
        .value_kind:     by_value
    .group_segment_fixed_size: 0
    .kernarg_segment_align: 8
    .kernarg_segment_size: 112
    .language:       OpenCL C
    .language_version:
      - 2
      - 0
    .max_flat_workgroup_size: 512
    .name:           _ZN7rocprim17ROCPRIM_400000_NS6detail17trampoline_kernelINS0_14default_configENS1_25partition_config_selectorILNS1_17partition_subalgoE9EllbEEZZNS1_14partition_implILS5_9ELb0ES3_jPKlN6thrust23THRUST_200600_302600_NS17counting_iteratorIlNSB_11use_defaultESD_SD_EEPNS0_10empty_typeENS0_5tupleIJPlSF_EEENSH_IJSI_SG_EEENS0_18inequality_wrapperIN6hipcub16HIPCUB_304000_NS8EqualityEEESI_JSF_EEE10hipError_tPvRmT3_T4_T5_T6_T7_T9_mT8_P12ihipStream_tbDpT10_ENKUlT_T0_E_clISt17integral_constantIbLb0EES19_EEDaS14_S15_EUlS14_E_NS1_11comp_targetILNS1_3genE8ELNS1_11target_archE1030ELNS1_3gpuE2ELNS1_3repE0EEENS1_30default_config_static_selectorELNS0_4arch9wavefront6targetE0EEEvT1_
    .private_segment_fixed_size: 0
    .sgpr_count:     0
    .sgpr_spill_count: 0
    .symbol:         _ZN7rocprim17ROCPRIM_400000_NS6detail17trampoline_kernelINS0_14default_configENS1_25partition_config_selectorILNS1_17partition_subalgoE9EllbEEZZNS1_14partition_implILS5_9ELb0ES3_jPKlN6thrust23THRUST_200600_302600_NS17counting_iteratorIlNSB_11use_defaultESD_SD_EEPNS0_10empty_typeENS0_5tupleIJPlSF_EEENSH_IJSI_SG_EEENS0_18inequality_wrapperIN6hipcub16HIPCUB_304000_NS8EqualityEEESI_JSF_EEE10hipError_tPvRmT3_T4_T5_T6_T7_T9_mT8_P12ihipStream_tbDpT10_ENKUlT_T0_E_clISt17integral_constantIbLb0EES19_EEDaS14_S15_EUlS14_E_NS1_11comp_targetILNS1_3genE8ELNS1_11target_archE1030ELNS1_3gpuE2ELNS1_3repE0EEENS1_30default_config_static_selectorELNS0_4arch9wavefront6targetE0EEEvT1_.kd
    .uniform_work_group_size: 1
    .uses_dynamic_stack: false
    .vgpr_count:     0
    .vgpr_spill_count: 0
    .wavefront_size: 32
    .workgroup_processor_mode: 1
  - .args:
      - .offset:         0
        .size:           128
        .value_kind:     by_value
    .group_segment_fixed_size: 0
    .kernarg_segment_align: 8
    .kernarg_segment_size: 128
    .language:       OpenCL C
    .language_version:
      - 2
      - 0
    .max_flat_workgroup_size: 128
    .name:           _ZN7rocprim17ROCPRIM_400000_NS6detail17trampoline_kernelINS0_14default_configENS1_25partition_config_selectorILNS1_17partition_subalgoE9EllbEEZZNS1_14partition_implILS5_9ELb0ES3_jPKlN6thrust23THRUST_200600_302600_NS17counting_iteratorIlNSB_11use_defaultESD_SD_EEPNS0_10empty_typeENS0_5tupleIJPlSF_EEENSH_IJSI_SG_EEENS0_18inequality_wrapperIN6hipcub16HIPCUB_304000_NS8EqualityEEESI_JSF_EEE10hipError_tPvRmT3_T4_T5_T6_T7_T9_mT8_P12ihipStream_tbDpT10_ENKUlT_T0_E_clISt17integral_constantIbLb1EES19_EEDaS14_S15_EUlS14_E_NS1_11comp_targetILNS1_3genE0ELNS1_11target_archE4294967295ELNS1_3gpuE0ELNS1_3repE0EEENS1_30default_config_static_selectorELNS0_4arch9wavefront6targetE0EEEvT1_
    .private_segment_fixed_size: 0
    .sgpr_count:     0
    .sgpr_spill_count: 0
    .symbol:         _ZN7rocprim17ROCPRIM_400000_NS6detail17trampoline_kernelINS0_14default_configENS1_25partition_config_selectorILNS1_17partition_subalgoE9EllbEEZZNS1_14partition_implILS5_9ELb0ES3_jPKlN6thrust23THRUST_200600_302600_NS17counting_iteratorIlNSB_11use_defaultESD_SD_EEPNS0_10empty_typeENS0_5tupleIJPlSF_EEENSH_IJSI_SG_EEENS0_18inequality_wrapperIN6hipcub16HIPCUB_304000_NS8EqualityEEESI_JSF_EEE10hipError_tPvRmT3_T4_T5_T6_T7_T9_mT8_P12ihipStream_tbDpT10_ENKUlT_T0_E_clISt17integral_constantIbLb1EES19_EEDaS14_S15_EUlS14_E_NS1_11comp_targetILNS1_3genE0ELNS1_11target_archE4294967295ELNS1_3gpuE0ELNS1_3repE0EEENS1_30default_config_static_selectorELNS0_4arch9wavefront6targetE0EEEvT1_.kd
    .uniform_work_group_size: 1
    .uses_dynamic_stack: false
    .vgpr_count:     0
    .vgpr_spill_count: 0
    .wavefront_size: 32
    .workgroup_processor_mode: 1
  - .args:
      - .offset:         0
        .size:           128
        .value_kind:     by_value
    .group_segment_fixed_size: 0
    .kernarg_segment_align: 8
    .kernarg_segment_size: 128
    .language:       OpenCL C
    .language_version:
      - 2
      - 0
    .max_flat_workgroup_size: 512
    .name:           _ZN7rocprim17ROCPRIM_400000_NS6detail17trampoline_kernelINS0_14default_configENS1_25partition_config_selectorILNS1_17partition_subalgoE9EllbEEZZNS1_14partition_implILS5_9ELb0ES3_jPKlN6thrust23THRUST_200600_302600_NS17counting_iteratorIlNSB_11use_defaultESD_SD_EEPNS0_10empty_typeENS0_5tupleIJPlSF_EEENSH_IJSI_SG_EEENS0_18inequality_wrapperIN6hipcub16HIPCUB_304000_NS8EqualityEEESI_JSF_EEE10hipError_tPvRmT3_T4_T5_T6_T7_T9_mT8_P12ihipStream_tbDpT10_ENKUlT_T0_E_clISt17integral_constantIbLb1EES19_EEDaS14_S15_EUlS14_E_NS1_11comp_targetILNS1_3genE5ELNS1_11target_archE942ELNS1_3gpuE9ELNS1_3repE0EEENS1_30default_config_static_selectorELNS0_4arch9wavefront6targetE0EEEvT1_
    .private_segment_fixed_size: 0
    .sgpr_count:     0
    .sgpr_spill_count: 0
    .symbol:         _ZN7rocprim17ROCPRIM_400000_NS6detail17trampoline_kernelINS0_14default_configENS1_25partition_config_selectorILNS1_17partition_subalgoE9EllbEEZZNS1_14partition_implILS5_9ELb0ES3_jPKlN6thrust23THRUST_200600_302600_NS17counting_iteratorIlNSB_11use_defaultESD_SD_EEPNS0_10empty_typeENS0_5tupleIJPlSF_EEENSH_IJSI_SG_EEENS0_18inequality_wrapperIN6hipcub16HIPCUB_304000_NS8EqualityEEESI_JSF_EEE10hipError_tPvRmT3_T4_T5_T6_T7_T9_mT8_P12ihipStream_tbDpT10_ENKUlT_T0_E_clISt17integral_constantIbLb1EES19_EEDaS14_S15_EUlS14_E_NS1_11comp_targetILNS1_3genE5ELNS1_11target_archE942ELNS1_3gpuE9ELNS1_3repE0EEENS1_30default_config_static_selectorELNS0_4arch9wavefront6targetE0EEEvT1_.kd
    .uniform_work_group_size: 1
    .uses_dynamic_stack: false
    .vgpr_count:     0
    .vgpr_spill_count: 0
    .wavefront_size: 32
    .workgroup_processor_mode: 1
  - .args:
      - .offset:         0
        .size:           128
        .value_kind:     by_value
    .group_segment_fixed_size: 0
    .kernarg_segment_align: 8
    .kernarg_segment_size: 128
    .language:       OpenCL C
    .language_version:
      - 2
      - 0
    .max_flat_workgroup_size: 128
    .name:           _ZN7rocprim17ROCPRIM_400000_NS6detail17trampoline_kernelINS0_14default_configENS1_25partition_config_selectorILNS1_17partition_subalgoE9EllbEEZZNS1_14partition_implILS5_9ELb0ES3_jPKlN6thrust23THRUST_200600_302600_NS17counting_iteratorIlNSB_11use_defaultESD_SD_EEPNS0_10empty_typeENS0_5tupleIJPlSF_EEENSH_IJSI_SG_EEENS0_18inequality_wrapperIN6hipcub16HIPCUB_304000_NS8EqualityEEESI_JSF_EEE10hipError_tPvRmT3_T4_T5_T6_T7_T9_mT8_P12ihipStream_tbDpT10_ENKUlT_T0_E_clISt17integral_constantIbLb1EES19_EEDaS14_S15_EUlS14_E_NS1_11comp_targetILNS1_3genE4ELNS1_11target_archE910ELNS1_3gpuE8ELNS1_3repE0EEENS1_30default_config_static_selectorELNS0_4arch9wavefront6targetE0EEEvT1_
    .private_segment_fixed_size: 0
    .sgpr_count:     0
    .sgpr_spill_count: 0
    .symbol:         _ZN7rocprim17ROCPRIM_400000_NS6detail17trampoline_kernelINS0_14default_configENS1_25partition_config_selectorILNS1_17partition_subalgoE9EllbEEZZNS1_14partition_implILS5_9ELb0ES3_jPKlN6thrust23THRUST_200600_302600_NS17counting_iteratorIlNSB_11use_defaultESD_SD_EEPNS0_10empty_typeENS0_5tupleIJPlSF_EEENSH_IJSI_SG_EEENS0_18inequality_wrapperIN6hipcub16HIPCUB_304000_NS8EqualityEEESI_JSF_EEE10hipError_tPvRmT3_T4_T5_T6_T7_T9_mT8_P12ihipStream_tbDpT10_ENKUlT_T0_E_clISt17integral_constantIbLb1EES19_EEDaS14_S15_EUlS14_E_NS1_11comp_targetILNS1_3genE4ELNS1_11target_archE910ELNS1_3gpuE8ELNS1_3repE0EEENS1_30default_config_static_selectorELNS0_4arch9wavefront6targetE0EEEvT1_.kd
    .uniform_work_group_size: 1
    .uses_dynamic_stack: false
    .vgpr_count:     0
    .vgpr_spill_count: 0
    .wavefront_size: 32
    .workgroup_processor_mode: 1
  - .args:
      - .offset:         0
        .size:           128
        .value_kind:     by_value
    .group_segment_fixed_size: 0
    .kernarg_segment_align: 8
    .kernarg_segment_size: 128
    .language:       OpenCL C
    .language_version:
      - 2
      - 0
    .max_flat_workgroup_size: 128
    .name:           _ZN7rocprim17ROCPRIM_400000_NS6detail17trampoline_kernelINS0_14default_configENS1_25partition_config_selectorILNS1_17partition_subalgoE9EllbEEZZNS1_14partition_implILS5_9ELb0ES3_jPKlN6thrust23THRUST_200600_302600_NS17counting_iteratorIlNSB_11use_defaultESD_SD_EEPNS0_10empty_typeENS0_5tupleIJPlSF_EEENSH_IJSI_SG_EEENS0_18inequality_wrapperIN6hipcub16HIPCUB_304000_NS8EqualityEEESI_JSF_EEE10hipError_tPvRmT3_T4_T5_T6_T7_T9_mT8_P12ihipStream_tbDpT10_ENKUlT_T0_E_clISt17integral_constantIbLb1EES19_EEDaS14_S15_EUlS14_E_NS1_11comp_targetILNS1_3genE3ELNS1_11target_archE908ELNS1_3gpuE7ELNS1_3repE0EEENS1_30default_config_static_selectorELNS0_4arch9wavefront6targetE0EEEvT1_
    .private_segment_fixed_size: 0
    .sgpr_count:     0
    .sgpr_spill_count: 0
    .symbol:         _ZN7rocprim17ROCPRIM_400000_NS6detail17trampoline_kernelINS0_14default_configENS1_25partition_config_selectorILNS1_17partition_subalgoE9EllbEEZZNS1_14partition_implILS5_9ELb0ES3_jPKlN6thrust23THRUST_200600_302600_NS17counting_iteratorIlNSB_11use_defaultESD_SD_EEPNS0_10empty_typeENS0_5tupleIJPlSF_EEENSH_IJSI_SG_EEENS0_18inequality_wrapperIN6hipcub16HIPCUB_304000_NS8EqualityEEESI_JSF_EEE10hipError_tPvRmT3_T4_T5_T6_T7_T9_mT8_P12ihipStream_tbDpT10_ENKUlT_T0_E_clISt17integral_constantIbLb1EES19_EEDaS14_S15_EUlS14_E_NS1_11comp_targetILNS1_3genE3ELNS1_11target_archE908ELNS1_3gpuE7ELNS1_3repE0EEENS1_30default_config_static_selectorELNS0_4arch9wavefront6targetE0EEEvT1_.kd
    .uniform_work_group_size: 1
    .uses_dynamic_stack: false
    .vgpr_count:     0
    .vgpr_spill_count: 0
    .wavefront_size: 32
    .workgroup_processor_mode: 1
  - .args:
      - .offset:         0
        .size:           128
        .value_kind:     by_value
    .group_segment_fixed_size: 0
    .kernarg_segment_align: 8
    .kernarg_segment_size: 128
    .language:       OpenCL C
    .language_version:
      - 2
      - 0
    .max_flat_workgroup_size: 192
    .name:           _ZN7rocprim17ROCPRIM_400000_NS6detail17trampoline_kernelINS0_14default_configENS1_25partition_config_selectorILNS1_17partition_subalgoE9EllbEEZZNS1_14partition_implILS5_9ELb0ES3_jPKlN6thrust23THRUST_200600_302600_NS17counting_iteratorIlNSB_11use_defaultESD_SD_EEPNS0_10empty_typeENS0_5tupleIJPlSF_EEENSH_IJSI_SG_EEENS0_18inequality_wrapperIN6hipcub16HIPCUB_304000_NS8EqualityEEESI_JSF_EEE10hipError_tPvRmT3_T4_T5_T6_T7_T9_mT8_P12ihipStream_tbDpT10_ENKUlT_T0_E_clISt17integral_constantIbLb1EES19_EEDaS14_S15_EUlS14_E_NS1_11comp_targetILNS1_3genE2ELNS1_11target_archE906ELNS1_3gpuE6ELNS1_3repE0EEENS1_30default_config_static_selectorELNS0_4arch9wavefront6targetE0EEEvT1_
    .private_segment_fixed_size: 0
    .sgpr_count:     0
    .sgpr_spill_count: 0
    .symbol:         _ZN7rocprim17ROCPRIM_400000_NS6detail17trampoline_kernelINS0_14default_configENS1_25partition_config_selectorILNS1_17partition_subalgoE9EllbEEZZNS1_14partition_implILS5_9ELb0ES3_jPKlN6thrust23THRUST_200600_302600_NS17counting_iteratorIlNSB_11use_defaultESD_SD_EEPNS0_10empty_typeENS0_5tupleIJPlSF_EEENSH_IJSI_SG_EEENS0_18inequality_wrapperIN6hipcub16HIPCUB_304000_NS8EqualityEEESI_JSF_EEE10hipError_tPvRmT3_T4_T5_T6_T7_T9_mT8_P12ihipStream_tbDpT10_ENKUlT_T0_E_clISt17integral_constantIbLb1EES19_EEDaS14_S15_EUlS14_E_NS1_11comp_targetILNS1_3genE2ELNS1_11target_archE906ELNS1_3gpuE6ELNS1_3repE0EEENS1_30default_config_static_selectorELNS0_4arch9wavefront6targetE0EEEvT1_.kd
    .uniform_work_group_size: 1
    .uses_dynamic_stack: false
    .vgpr_count:     0
    .vgpr_spill_count: 0
    .wavefront_size: 32
    .workgroup_processor_mode: 1
  - .args:
      - .offset:         0
        .size:           128
        .value_kind:     by_value
    .group_segment_fixed_size: 0
    .kernarg_segment_align: 8
    .kernarg_segment_size: 128
    .language:       OpenCL C
    .language_version:
      - 2
      - 0
    .max_flat_workgroup_size: 384
    .name:           _ZN7rocprim17ROCPRIM_400000_NS6detail17trampoline_kernelINS0_14default_configENS1_25partition_config_selectorILNS1_17partition_subalgoE9EllbEEZZNS1_14partition_implILS5_9ELb0ES3_jPKlN6thrust23THRUST_200600_302600_NS17counting_iteratorIlNSB_11use_defaultESD_SD_EEPNS0_10empty_typeENS0_5tupleIJPlSF_EEENSH_IJSI_SG_EEENS0_18inequality_wrapperIN6hipcub16HIPCUB_304000_NS8EqualityEEESI_JSF_EEE10hipError_tPvRmT3_T4_T5_T6_T7_T9_mT8_P12ihipStream_tbDpT10_ENKUlT_T0_E_clISt17integral_constantIbLb1EES19_EEDaS14_S15_EUlS14_E_NS1_11comp_targetILNS1_3genE10ELNS1_11target_archE1200ELNS1_3gpuE4ELNS1_3repE0EEENS1_30default_config_static_selectorELNS0_4arch9wavefront6targetE0EEEvT1_
    .private_segment_fixed_size: 0
    .sgpr_count:     0
    .sgpr_spill_count: 0
    .symbol:         _ZN7rocprim17ROCPRIM_400000_NS6detail17trampoline_kernelINS0_14default_configENS1_25partition_config_selectorILNS1_17partition_subalgoE9EllbEEZZNS1_14partition_implILS5_9ELb0ES3_jPKlN6thrust23THRUST_200600_302600_NS17counting_iteratorIlNSB_11use_defaultESD_SD_EEPNS0_10empty_typeENS0_5tupleIJPlSF_EEENSH_IJSI_SG_EEENS0_18inequality_wrapperIN6hipcub16HIPCUB_304000_NS8EqualityEEESI_JSF_EEE10hipError_tPvRmT3_T4_T5_T6_T7_T9_mT8_P12ihipStream_tbDpT10_ENKUlT_T0_E_clISt17integral_constantIbLb1EES19_EEDaS14_S15_EUlS14_E_NS1_11comp_targetILNS1_3genE10ELNS1_11target_archE1200ELNS1_3gpuE4ELNS1_3repE0EEENS1_30default_config_static_selectorELNS0_4arch9wavefront6targetE0EEEvT1_.kd
    .uniform_work_group_size: 1
    .uses_dynamic_stack: false
    .vgpr_count:     0
    .vgpr_spill_count: 0
    .wavefront_size: 32
    .workgroup_processor_mode: 1
  - .args:
      - .offset:         0
        .size:           128
        .value_kind:     by_value
    .group_segment_fixed_size: 0
    .kernarg_segment_align: 8
    .kernarg_segment_size: 128
    .language:       OpenCL C
    .language_version:
      - 2
      - 0
    .max_flat_workgroup_size: 512
    .name:           _ZN7rocprim17ROCPRIM_400000_NS6detail17trampoline_kernelINS0_14default_configENS1_25partition_config_selectorILNS1_17partition_subalgoE9EllbEEZZNS1_14partition_implILS5_9ELb0ES3_jPKlN6thrust23THRUST_200600_302600_NS17counting_iteratorIlNSB_11use_defaultESD_SD_EEPNS0_10empty_typeENS0_5tupleIJPlSF_EEENSH_IJSI_SG_EEENS0_18inequality_wrapperIN6hipcub16HIPCUB_304000_NS8EqualityEEESI_JSF_EEE10hipError_tPvRmT3_T4_T5_T6_T7_T9_mT8_P12ihipStream_tbDpT10_ENKUlT_T0_E_clISt17integral_constantIbLb1EES19_EEDaS14_S15_EUlS14_E_NS1_11comp_targetILNS1_3genE9ELNS1_11target_archE1100ELNS1_3gpuE3ELNS1_3repE0EEENS1_30default_config_static_selectorELNS0_4arch9wavefront6targetE0EEEvT1_
    .private_segment_fixed_size: 0
    .sgpr_count:     0
    .sgpr_spill_count: 0
    .symbol:         _ZN7rocprim17ROCPRIM_400000_NS6detail17trampoline_kernelINS0_14default_configENS1_25partition_config_selectorILNS1_17partition_subalgoE9EllbEEZZNS1_14partition_implILS5_9ELb0ES3_jPKlN6thrust23THRUST_200600_302600_NS17counting_iteratorIlNSB_11use_defaultESD_SD_EEPNS0_10empty_typeENS0_5tupleIJPlSF_EEENSH_IJSI_SG_EEENS0_18inequality_wrapperIN6hipcub16HIPCUB_304000_NS8EqualityEEESI_JSF_EEE10hipError_tPvRmT3_T4_T5_T6_T7_T9_mT8_P12ihipStream_tbDpT10_ENKUlT_T0_E_clISt17integral_constantIbLb1EES19_EEDaS14_S15_EUlS14_E_NS1_11comp_targetILNS1_3genE9ELNS1_11target_archE1100ELNS1_3gpuE3ELNS1_3repE0EEENS1_30default_config_static_selectorELNS0_4arch9wavefront6targetE0EEEvT1_.kd
    .uniform_work_group_size: 1
    .uses_dynamic_stack: false
    .vgpr_count:     0
    .vgpr_spill_count: 0
    .wavefront_size: 32
    .workgroup_processor_mode: 1
  - .args:
      - .offset:         0
        .size:           128
        .value_kind:     by_value
    .group_segment_fixed_size: 0
    .kernarg_segment_align: 8
    .kernarg_segment_size: 128
    .language:       OpenCL C
    .language_version:
      - 2
      - 0
    .max_flat_workgroup_size: 512
    .name:           _ZN7rocprim17ROCPRIM_400000_NS6detail17trampoline_kernelINS0_14default_configENS1_25partition_config_selectorILNS1_17partition_subalgoE9EllbEEZZNS1_14partition_implILS5_9ELb0ES3_jPKlN6thrust23THRUST_200600_302600_NS17counting_iteratorIlNSB_11use_defaultESD_SD_EEPNS0_10empty_typeENS0_5tupleIJPlSF_EEENSH_IJSI_SG_EEENS0_18inequality_wrapperIN6hipcub16HIPCUB_304000_NS8EqualityEEESI_JSF_EEE10hipError_tPvRmT3_T4_T5_T6_T7_T9_mT8_P12ihipStream_tbDpT10_ENKUlT_T0_E_clISt17integral_constantIbLb1EES19_EEDaS14_S15_EUlS14_E_NS1_11comp_targetILNS1_3genE8ELNS1_11target_archE1030ELNS1_3gpuE2ELNS1_3repE0EEENS1_30default_config_static_selectorELNS0_4arch9wavefront6targetE0EEEvT1_
    .private_segment_fixed_size: 0
    .sgpr_count:     0
    .sgpr_spill_count: 0
    .symbol:         _ZN7rocprim17ROCPRIM_400000_NS6detail17trampoline_kernelINS0_14default_configENS1_25partition_config_selectorILNS1_17partition_subalgoE9EllbEEZZNS1_14partition_implILS5_9ELb0ES3_jPKlN6thrust23THRUST_200600_302600_NS17counting_iteratorIlNSB_11use_defaultESD_SD_EEPNS0_10empty_typeENS0_5tupleIJPlSF_EEENSH_IJSI_SG_EEENS0_18inequality_wrapperIN6hipcub16HIPCUB_304000_NS8EqualityEEESI_JSF_EEE10hipError_tPvRmT3_T4_T5_T6_T7_T9_mT8_P12ihipStream_tbDpT10_ENKUlT_T0_E_clISt17integral_constantIbLb1EES19_EEDaS14_S15_EUlS14_E_NS1_11comp_targetILNS1_3genE8ELNS1_11target_archE1030ELNS1_3gpuE2ELNS1_3repE0EEENS1_30default_config_static_selectorELNS0_4arch9wavefront6targetE0EEEvT1_.kd
    .uniform_work_group_size: 1
    .uses_dynamic_stack: false
    .vgpr_count:     0
    .vgpr_spill_count: 0
    .wavefront_size: 32
    .workgroup_processor_mode: 1
  - .args:
      - .offset:         0
        .size:           112
        .value_kind:     by_value
    .group_segment_fixed_size: 0
    .kernarg_segment_align: 8
    .kernarg_segment_size: 112
    .language:       OpenCL C
    .language_version:
      - 2
      - 0
    .max_flat_workgroup_size: 128
    .name:           _ZN7rocprim17ROCPRIM_400000_NS6detail17trampoline_kernelINS0_14default_configENS1_25partition_config_selectorILNS1_17partition_subalgoE9EllbEEZZNS1_14partition_implILS5_9ELb0ES3_jPKlN6thrust23THRUST_200600_302600_NS17counting_iteratorIlNSB_11use_defaultESD_SD_EEPNS0_10empty_typeENS0_5tupleIJPlSF_EEENSH_IJSI_SG_EEENS0_18inequality_wrapperIN6hipcub16HIPCUB_304000_NS8EqualityEEESI_JSF_EEE10hipError_tPvRmT3_T4_T5_T6_T7_T9_mT8_P12ihipStream_tbDpT10_ENKUlT_T0_E_clISt17integral_constantIbLb1EES18_IbLb0EEEEDaS14_S15_EUlS14_E_NS1_11comp_targetILNS1_3genE0ELNS1_11target_archE4294967295ELNS1_3gpuE0ELNS1_3repE0EEENS1_30default_config_static_selectorELNS0_4arch9wavefront6targetE0EEEvT1_
    .private_segment_fixed_size: 0
    .sgpr_count:     0
    .sgpr_spill_count: 0
    .symbol:         _ZN7rocprim17ROCPRIM_400000_NS6detail17trampoline_kernelINS0_14default_configENS1_25partition_config_selectorILNS1_17partition_subalgoE9EllbEEZZNS1_14partition_implILS5_9ELb0ES3_jPKlN6thrust23THRUST_200600_302600_NS17counting_iteratorIlNSB_11use_defaultESD_SD_EEPNS0_10empty_typeENS0_5tupleIJPlSF_EEENSH_IJSI_SG_EEENS0_18inequality_wrapperIN6hipcub16HIPCUB_304000_NS8EqualityEEESI_JSF_EEE10hipError_tPvRmT3_T4_T5_T6_T7_T9_mT8_P12ihipStream_tbDpT10_ENKUlT_T0_E_clISt17integral_constantIbLb1EES18_IbLb0EEEEDaS14_S15_EUlS14_E_NS1_11comp_targetILNS1_3genE0ELNS1_11target_archE4294967295ELNS1_3gpuE0ELNS1_3repE0EEENS1_30default_config_static_selectorELNS0_4arch9wavefront6targetE0EEEvT1_.kd
    .uniform_work_group_size: 1
    .uses_dynamic_stack: false
    .vgpr_count:     0
    .vgpr_spill_count: 0
    .wavefront_size: 32
    .workgroup_processor_mode: 1
  - .args:
      - .offset:         0
        .size:           112
        .value_kind:     by_value
    .group_segment_fixed_size: 0
    .kernarg_segment_align: 8
    .kernarg_segment_size: 112
    .language:       OpenCL C
    .language_version:
      - 2
      - 0
    .max_flat_workgroup_size: 512
    .name:           _ZN7rocprim17ROCPRIM_400000_NS6detail17trampoline_kernelINS0_14default_configENS1_25partition_config_selectorILNS1_17partition_subalgoE9EllbEEZZNS1_14partition_implILS5_9ELb0ES3_jPKlN6thrust23THRUST_200600_302600_NS17counting_iteratorIlNSB_11use_defaultESD_SD_EEPNS0_10empty_typeENS0_5tupleIJPlSF_EEENSH_IJSI_SG_EEENS0_18inequality_wrapperIN6hipcub16HIPCUB_304000_NS8EqualityEEESI_JSF_EEE10hipError_tPvRmT3_T4_T5_T6_T7_T9_mT8_P12ihipStream_tbDpT10_ENKUlT_T0_E_clISt17integral_constantIbLb1EES18_IbLb0EEEEDaS14_S15_EUlS14_E_NS1_11comp_targetILNS1_3genE5ELNS1_11target_archE942ELNS1_3gpuE9ELNS1_3repE0EEENS1_30default_config_static_selectorELNS0_4arch9wavefront6targetE0EEEvT1_
    .private_segment_fixed_size: 0
    .sgpr_count:     0
    .sgpr_spill_count: 0
    .symbol:         _ZN7rocprim17ROCPRIM_400000_NS6detail17trampoline_kernelINS0_14default_configENS1_25partition_config_selectorILNS1_17partition_subalgoE9EllbEEZZNS1_14partition_implILS5_9ELb0ES3_jPKlN6thrust23THRUST_200600_302600_NS17counting_iteratorIlNSB_11use_defaultESD_SD_EEPNS0_10empty_typeENS0_5tupleIJPlSF_EEENSH_IJSI_SG_EEENS0_18inequality_wrapperIN6hipcub16HIPCUB_304000_NS8EqualityEEESI_JSF_EEE10hipError_tPvRmT3_T4_T5_T6_T7_T9_mT8_P12ihipStream_tbDpT10_ENKUlT_T0_E_clISt17integral_constantIbLb1EES18_IbLb0EEEEDaS14_S15_EUlS14_E_NS1_11comp_targetILNS1_3genE5ELNS1_11target_archE942ELNS1_3gpuE9ELNS1_3repE0EEENS1_30default_config_static_selectorELNS0_4arch9wavefront6targetE0EEEvT1_.kd
    .uniform_work_group_size: 1
    .uses_dynamic_stack: false
    .vgpr_count:     0
    .vgpr_spill_count: 0
    .wavefront_size: 32
    .workgroup_processor_mode: 1
  - .args:
      - .offset:         0
        .size:           112
        .value_kind:     by_value
    .group_segment_fixed_size: 0
    .kernarg_segment_align: 8
    .kernarg_segment_size: 112
    .language:       OpenCL C
    .language_version:
      - 2
      - 0
    .max_flat_workgroup_size: 128
    .name:           _ZN7rocprim17ROCPRIM_400000_NS6detail17trampoline_kernelINS0_14default_configENS1_25partition_config_selectorILNS1_17partition_subalgoE9EllbEEZZNS1_14partition_implILS5_9ELb0ES3_jPKlN6thrust23THRUST_200600_302600_NS17counting_iteratorIlNSB_11use_defaultESD_SD_EEPNS0_10empty_typeENS0_5tupleIJPlSF_EEENSH_IJSI_SG_EEENS0_18inequality_wrapperIN6hipcub16HIPCUB_304000_NS8EqualityEEESI_JSF_EEE10hipError_tPvRmT3_T4_T5_T6_T7_T9_mT8_P12ihipStream_tbDpT10_ENKUlT_T0_E_clISt17integral_constantIbLb1EES18_IbLb0EEEEDaS14_S15_EUlS14_E_NS1_11comp_targetILNS1_3genE4ELNS1_11target_archE910ELNS1_3gpuE8ELNS1_3repE0EEENS1_30default_config_static_selectorELNS0_4arch9wavefront6targetE0EEEvT1_
    .private_segment_fixed_size: 0
    .sgpr_count:     0
    .sgpr_spill_count: 0
    .symbol:         _ZN7rocprim17ROCPRIM_400000_NS6detail17trampoline_kernelINS0_14default_configENS1_25partition_config_selectorILNS1_17partition_subalgoE9EllbEEZZNS1_14partition_implILS5_9ELb0ES3_jPKlN6thrust23THRUST_200600_302600_NS17counting_iteratorIlNSB_11use_defaultESD_SD_EEPNS0_10empty_typeENS0_5tupleIJPlSF_EEENSH_IJSI_SG_EEENS0_18inequality_wrapperIN6hipcub16HIPCUB_304000_NS8EqualityEEESI_JSF_EEE10hipError_tPvRmT3_T4_T5_T6_T7_T9_mT8_P12ihipStream_tbDpT10_ENKUlT_T0_E_clISt17integral_constantIbLb1EES18_IbLb0EEEEDaS14_S15_EUlS14_E_NS1_11comp_targetILNS1_3genE4ELNS1_11target_archE910ELNS1_3gpuE8ELNS1_3repE0EEENS1_30default_config_static_selectorELNS0_4arch9wavefront6targetE0EEEvT1_.kd
    .uniform_work_group_size: 1
    .uses_dynamic_stack: false
    .vgpr_count:     0
    .vgpr_spill_count: 0
    .wavefront_size: 32
    .workgroup_processor_mode: 1
  - .args:
      - .offset:         0
        .size:           112
        .value_kind:     by_value
    .group_segment_fixed_size: 0
    .kernarg_segment_align: 8
    .kernarg_segment_size: 112
    .language:       OpenCL C
    .language_version:
      - 2
      - 0
    .max_flat_workgroup_size: 128
    .name:           _ZN7rocprim17ROCPRIM_400000_NS6detail17trampoline_kernelINS0_14default_configENS1_25partition_config_selectorILNS1_17partition_subalgoE9EllbEEZZNS1_14partition_implILS5_9ELb0ES3_jPKlN6thrust23THRUST_200600_302600_NS17counting_iteratorIlNSB_11use_defaultESD_SD_EEPNS0_10empty_typeENS0_5tupleIJPlSF_EEENSH_IJSI_SG_EEENS0_18inequality_wrapperIN6hipcub16HIPCUB_304000_NS8EqualityEEESI_JSF_EEE10hipError_tPvRmT3_T4_T5_T6_T7_T9_mT8_P12ihipStream_tbDpT10_ENKUlT_T0_E_clISt17integral_constantIbLb1EES18_IbLb0EEEEDaS14_S15_EUlS14_E_NS1_11comp_targetILNS1_3genE3ELNS1_11target_archE908ELNS1_3gpuE7ELNS1_3repE0EEENS1_30default_config_static_selectorELNS0_4arch9wavefront6targetE0EEEvT1_
    .private_segment_fixed_size: 0
    .sgpr_count:     0
    .sgpr_spill_count: 0
    .symbol:         _ZN7rocprim17ROCPRIM_400000_NS6detail17trampoline_kernelINS0_14default_configENS1_25partition_config_selectorILNS1_17partition_subalgoE9EllbEEZZNS1_14partition_implILS5_9ELb0ES3_jPKlN6thrust23THRUST_200600_302600_NS17counting_iteratorIlNSB_11use_defaultESD_SD_EEPNS0_10empty_typeENS0_5tupleIJPlSF_EEENSH_IJSI_SG_EEENS0_18inequality_wrapperIN6hipcub16HIPCUB_304000_NS8EqualityEEESI_JSF_EEE10hipError_tPvRmT3_T4_T5_T6_T7_T9_mT8_P12ihipStream_tbDpT10_ENKUlT_T0_E_clISt17integral_constantIbLb1EES18_IbLb0EEEEDaS14_S15_EUlS14_E_NS1_11comp_targetILNS1_3genE3ELNS1_11target_archE908ELNS1_3gpuE7ELNS1_3repE0EEENS1_30default_config_static_selectorELNS0_4arch9wavefront6targetE0EEEvT1_.kd
    .uniform_work_group_size: 1
    .uses_dynamic_stack: false
    .vgpr_count:     0
    .vgpr_spill_count: 0
    .wavefront_size: 32
    .workgroup_processor_mode: 1
  - .args:
      - .offset:         0
        .size:           112
        .value_kind:     by_value
    .group_segment_fixed_size: 0
    .kernarg_segment_align: 8
    .kernarg_segment_size: 112
    .language:       OpenCL C
    .language_version:
      - 2
      - 0
    .max_flat_workgroup_size: 192
    .name:           _ZN7rocprim17ROCPRIM_400000_NS6detail17trampoline_kernelINS0_14default_configENS1_25partition_config_selectorILNS1_17partition_subalgoE9EllbEEZZNS1_14partition_implILS5_9ELb0ES3_jPKlN6thrust23THRUST_200600_302600_NS17counting_iteratorIlNSB_11use_defaultESD_SD_EEPNS0_10empty_typeENS0_5tupleIJPlSF_EEENSH_IJSI_SG_EEENS0_18inequality_wrapperIN6hipcub16HIPCUB_304000_NS8EqualityEEESI_JSF_EEE10hipError_tPvRmT3_T4_T5_T6_T7_T9_mT8_P12ihipStream_tbDpT10_ENKUlT_T0_E_clISt17integral_constantIbLb1EES18_IbLb0EEEEDaS14_S15_EUlS14_E_NS1_11comp_targetILNS1_3genE2ELNS1_11target_archE906ELNS1_3gpuE6ELNS1_3repE0EEENS1_30default_config_static_selectorELNS0_4arch9wavefront6targetE0EEEvT1_
    .private_segment_fixed_size: 0
    .sgpr_count:     0
    .sgpr_spill_count: 0
    .symbol:         _ZN7rocprim17ROCPRIM_400000_NS6detail17trampoline_kernelINS0_14default_configENS1_25partition_config_selectorILNS1_17partition_subalgoE9EllbEEZZNS1_14partition_implILS5_9ELb0ES3_jPKlN6thrust23THRUST_200600_302600_NS17counting_iteratorIlNSB_11use_defaultESD_SD_EEPNS0_10empty_typeENS0_5tupleIJPlSF_EEENSH_IJSI_SG_EEENS0_18inequality_wrapperIN6hipcub16HIPCUB_304000_NS8EqualityEEESI_JSF_EEE10hipError_tPvRmT3_T4_T5_T6_T7_T9_mT8_P12ihipStream_tbDpT10_ENKUlT_T0_E_clISt17integral_constantIbLb1EES18_IbLb0EEEEDaS14_S15_EUlS14_E_NS1_11comp_targetILNS1_3genE2ELNS1_11target_archE906ELNS1_3gpuE6ELNS1_3repE0EEENS1_30default_config_static_selectorELNS0_4arch9wavefront6targetE0EEEvT1_.kd
    .uniform_work_group_size: 1
    .uses_dynamic_stack: false
    .vgpr_count:     0
    .vgpr_spill_count: 0
    .wavefront_size: 32
    .workgroup_processor_mode: 1
  - .args:
      - .offset:         0
        .size:           112
        .value_kind:     by_value
    .group_segment_fixed_size: 0
    .kernarg_segment_align: 8
    .kernarg_segment_size: 112
    .language:       OpenCL C
    .language_version:
      - 2
      - 0
    .max_flat_workgroup_size: 384
    .name:           _ZN7rocprim17ROCPRIM_400000_NS6detail17trampoline_kernelINS0_14default_configENS1_25partition_config_selectorILNS1_17partition_subalgoE9EllbEEZZNS1_14partition_implILS5_9ELb0ES3_jPKlN6thrust23THRUST_200600_302600_NS17counting_iteratorIlNSB_11use_defaultESD_SD_EEPNS0_10empty_typeENS0_5tupleIJPlSF_EEENSH_IJSI_SG_EEENS0_18inequality_wrapperIN6hipcub16HIPCUB_304000_NS8EqualityEEESI_JSF_EEE10hipError_tPvRmT3_T4_T5_T6_T7_T9_mT8_P12ihipStream_tbDpT10_ENKUlT_T0_E_clISt17integral_constantIbLb1EES18_IbLb0EEEEDaS14_S15_EUlS14_E_NS1_11comp_targetILNS1_3genE10ELNS1_11target_archE1200ELNS1_3gpuE4ELNS1_3repE0EEENS1_30default_config_static_selectorELNS0_4arch9wavefront6targetE0EEEvT1_
    .private_segment_fixed_size: 0
    .sgpr_count:     0
    .sgpr_spill_count: 0
    .symbol:         _ZN7rocprim17ROCPRIM_400000_NS6detail17trampoline_kernelINS0_14default_configENS1_25partition_config_selectorILNS1_17partition_subalgoE9EllbEEZZNS1_14partition_implILS5_9ELb0ES3_jPKlN6thrust23THRUST_200600_302600_NS17counting_iteratorIlNSB_11use_defaultESD_SD_EEPNS0_10empty_typeENS0_5tupleIJPlSF_EEENSH_IJSI_SG_EEENS0_18inequality_wrapperIN6hipcub16HIPCUB_304000_NS8EqualityEEESI_JSF_EEE10hipError_tPvRmT3_T4_T5_T6_T7_T9_mT8_P12ihipStream_tbDpT10_ENKUlT_T0_E_clISt17integral_constantIbLb1EES18_IbLb0EEEEDaS14_S15_EUlS14_E_NS1_11comp_targetILNS1_3genE10ELNS1_11target_archE1200ELNS1_3gpuE4ELNS1_3repE0EEENS1_30default_config_static_selectorELNS0_4arch9wavefront6targetE0EEEvT1_.kd
    .uniform_work_group_size: 1
    .uses_dynamic_stack: false
    .vgpr_count:     0
    .vgpr_spill_count: 0
    .wavefront_size: 32
    .workgroup_processor_mode: 1
  - .args:
      - .offset:         0
        .size:           112
        .value_kind:     by_value
    .group_segment_fixed_size: 0
    .kernarg_segment_align: 8
    .kernarg_segment_size: 112
    .language:       OpenCL C
    .language_version:
      - 2
      - 0
    .max_flat_workgroup_size: 512
    .name:           _ZN7rocprim17ROCPRIM_400000_NS6detail17trampoline_kernelINS0_14default_configENS1_25partition_config_selectorILNS1_17partition_subalgoE9EllbEEZZNS1_14partition_implILS5_9ELb0ES3_jPKlN6thrust23THRUST_200600_302600_NS17counting_iteratorIlNSB_11use_defaultESD_SD_EEPNS0_10empty_typeENS0_5tupleIJPlSF_EEENSH_IJSI_SG_EEENS0_18inequality_wrapperIN6hipcub16HIPCUB_304000_NS8EqualityEEESI_JSF_EEE10hipError_tPvRmT3_T4_T5_T6_T7_T9_mT8_P12ihipStream_tbDpT10_ENKUlT_T0_E_clISt17integral_constantIbLb1EES18_IbLb0EEEEDaS14_S15_EUlS14_E_NS1_11comp_targetILNS1_3genE9ELNS1_11target_archE1100ELNS1_3gpuE3ELNS1_3repE0EEENS1_30default_config_static_selectorELNS0_4arch9wavefront6targetE0EEEvT1_
    .private_segment_fixed_size: 0
    .sgpr_count:     0
    .sgpr_spill_count: 0
    .symbol:         _ZN7rocprim17ROCPRIM_400000_NS6detail17trampoline_kernelINS0_14default_configENS1_25partition_config_selectorILNS1_17partition_subalgoE9EllbEEZZNS1_14partition_implILS5_9ELb0ES3_jPKlN6thrust23THRUST_200600_302600_NS17counting_iteratorIlNSB_11use_defaultESD_SD_EEPNS0_10empty_typeENS0_5tupleIJPlSF_EEENSH_IJSI_SG_EEENS0_18inequality_wrapperIN6hipcub16HIPCUB_304000_NS8EqualityEEESI_JSF_EEE10hipError_tPvRmT3_T4_T5_T6_T7_T9_mT8_P12ihipStream_tbDpT10_ENKUlT_T0_E_clISt17integral_constantIbLb1EES18_IbLb0EEEEDaS14_S15_EUlS14_E_NS1_11comp_targetILNS1_3genE9ELNS1_11target_archE1100ELNS1_3gpuE3ELNS1_3repE0EEENS1_30default_config_static_selectorELNS0_4arch9wavefront6targetE0EEEvT1_.kd
    .uniform_work_group_size: 1
    .uses_dynamic_stack: false
    .vgpr_count:     0
    .vgpr_spill_count: 0
    .wavefront_size: 32
    .workgroup_processor_mode: 1
  - .args:
      - .offset:         0
        .size:           112
        .value_kind:     by_value
    .group_segment_fixed_size: 0
    .kernarg_segment_align: 8
    .kernarg_segment_size: 112
    .language:       OpenCL C
    .language_version:
      - 2
      - 0
    .max_flat_workgroup_size: 512
    .name:           _ZN7rocprim17ROCPRIM_400000_NS6detail17trampoline_kernelINS0_14default_configENS1_25partition_config_selectorILNS1_17partition_subalgoE9EllbEEZZNS1_14partition_implILS5_9ELb0ES3_jPKlN6thrust23THRUST_200600_302600_NS17counting_iteratorIlNSB_11use_defaultESD_SD_EEPNS0_10empty_typeENS0_5tupleIJPlSF_EEENSH_IJSI_SG_EEENS0_18inequality_wrapperIN6hipcub16HIPCUB_304000_NS8EqualityEEESI_JSF_EEE10hipError_tPvRmT3_T4_T5_T6_T7_T9_mT8_P12ihipStream_tbDpT10_ENKUlT_T0_E_clISt17integral_constantIbLb1EES18_IbLb0EEEEDaS14_S15_EUlS14_E_NS1_11comp_targetILNS1_3genE8ELNS1_11target_archE1030ELNS1_3gpuE2ELNS1_3repE0EEENS1_30default_config_static_selectorELNS0_4arch9wavefront6targetE0EEEvT1_
    .private_segment_fixed_size: 0
    .sgpr_count:     0
    .sgpr_spill_count: 0
    .symbol:         _ZN7rocprim17ROCPRIM_400000_NS6detail17trampoline_kernelINS0_14default_configENS1_25partition_config_selectorILNS1_17partition_subalgoE9EllbEEZZNS1_14partition_implILS5_9ELb0ES3_jPKlN6thrust23THRUST_200600_302600_NS17counting_iteratorIlNSB_11use_defaultESD_SD_EEPNS0_10empty_typeENS0_5tupleIJPlSF_EEENSH_IJSI_SG_EEENS0_18inequality_wrapperIN6hipcub16HIPCUB_304000_NS8EqualityEEESI_JSF_EEE10hipError_tPvRmT3_T4_T5_T6_T7_T9_mT8_P12ihipStream_tbDpT10_ENKUlT_T0_E_clISt17integral_constantIbLb1EES18_IbLb0EEEEDaS14_S15_EUlS14_E_NS1_11comp_targetILNS1_3genE8ELNS1_11target_archE1030ELNS1_3gpuE2ELNS1_3repE0EEENS1_30default_config_static_selectorELNS0_4arch9wavefront6targetE0EEEvT1_.kd
    .uniform_work_group_size: 1
    .uses_dynamic_stack: false
    .vgpr_count:     0
    .vgpr_spill_count: 0
    .wavefront_size: 32
    .workgroup_processor_mode: 1
  - .args:
      - .offset:         0
        .size:           128
        .value_kind:     by_value
    .group_segment_fixed_size: 0
    .kernarg_segment_align: 8
    .kernarg_segment_size: 128
    .language:       OpenCL C
    .language_version:
      - 2
      - 0
    .max_flat_workgroup_size: 128
    .name:           _ZN7rocprim17ROCPRIM_400000_NS6detail17trampoline_kernelINS0_14default_configENS1_25partition_config_selectorILNS1_17partition_subalgoE9EllbEEZZNS1_14partition_implILS5_9ELb0ES3_jPKlN6thrust23THRUST_200600_302600_NS17counting_iteratorIlNSB_11use_defaultESD_SD_EEPNS0_10empty_typeENS0_5tupleIJPlSF_EEENSH_IJSI_SG_EEENS0_18inequality_wrapperIN6hipcub16HIPCUB_304000_NS8EqualityEEESI_JSF_EEE10hipError_tPvRmT3_T4_T5_T6_T7_T9_mT8_P12ihipStream_tbDpT10_ENKUlT_T0_E_clISt17integral_constantIbLb0EES18_IbLb1EEEEDaS14_S15_EUlS14_E_NS1_11comp_targetILNS1_3genE0ELNS1_11target_archE4294967295ELNS1_3gpuE0ELNS1_3repE0EEENS1_30default_config_static_selectorELNS0_4arch9wavefront6targetE0EEEvT1_
    .private_segment_fixed_size: 0
    .sgpr_count:     0
    .sgpr_spill_count: 0
    .symbol:         _ZN7rocprim17ROCPRIM_400000_NS6detail17trampoline_kernelINS0_14default_configENS1_25partition_config_selectorILNS1_17partition_subalgoE9EllbEEZZNS1_14partition_implILS5_9ELb0ES3_jPKlN6thrust23THRUST_200600_302600_NS17counting_iteratorIlNSB_11use_defaultESD_SD_EEPNS0_10empty_typeENS0_5tupleIJPlSF_EEENSH_IJSI_SG_EEENS0_18inequality_wrapperIN6hipcub16HIPCUB_304000_NS8EqualityEEESI_JSF_EEE10hipError_tPvRmT3_T4_T5_T6_T7_T9_mT8_P12ihipStream_tbDpT10_ENKUlT_T0_E_clISt17integral_constantIbLb0EES18_IbLb1EEEEDaS14_S15_EUlS14_E_NS1_11comp_targetILNS1_3genE0ELNS1_11target_archE4294967295ELNS1_3gpuE0ELNS1_3repE0EEENS1_30default_config_static_selectorELNS0_4arch9wavefront6targetE0EEEvT1_.kd
    .uniform_work_group_size: 1
    .uses_dynamic_stack: false
    .vgpr_count:     0
    .vgpr_spill_count: 0
    .wavefront_size: 32
    .workgroup_processor_mode: 1
  - .args:
      - .offset:         0
        .size:           128
        .value_kind:     by_value
    .group_segment_fixed_size: 0
    .kernarg_segment_align: 8
    .kernarg_segment_size: 128
    .language:       OpenCL C
    .language_version:
      - 2
      - 0
    .max_flat_workgroup_size: 512
    .name:           _ZN7rocprim17ROCPRIM_400000_NS6detail17trampoline_kernelINS0_14default_configENS1_25partition_config_selectorILNS1_17partition_subalgoE9EllbEEZZNS1_14partition_implILS5_9ELb0ES3_jPKlN6thrust23THRUST_200600_302600_NS17counting_iteratorIlNSB_11use_defaultESD_SD_EEPNS0_10empty_typeENS0_5tupleIJPlSF_EEENSH_IJSI_SG_EEENS0_18inequality_wrapperIN6hipcub16HIPCUB_304000_NS8EqualityEEESI_JSF_EEE10hipError_tPvRmT3_T4_T5_T6_T7_T9_mT8_P12ihipStream_tbDpT10_ENKUlT_T0_E_clISt17integral_constantIbLb0EES18_IbLb1EEEEDaS14_S15_EUlS14_E_NS1_11comp_targetILNS1_3genE5ELNS1_11target_archE942ELNS1_3gpuE9ELNS1_3repE0EEENS1_30default_config_static_selectorELNS0_4arch9wavefront6targetE0EEEvT1_
    .private_segment_fixed_size: 0
    .sgpr_count:     0
    .sgpr_spill_count: 0
    .symbol:         _ZN7rocprim17ROCPRIM_400000_NS6detail17trampoline_kernelINS0_14default_configENS1_25partition_config_selectorILNS1_17partition_subalgoE9EllbEEZZNS1_14partition_implILS5_9ELb0ES3_jPKlN6thrust23THRUST_200600_302600_NS17counting_iteratorIlNSB_11use_defaultESD_SD_EEPNS0_10empty_typeENS0_5tupleIJPlSF_EEENSH_IJSI_SG_EEENS0_18inequality_wrapperIN6hipcub16HIPCUB_304000_NS8EqualityEEESI_JSF_EEE10hipError_tPvRmT3_T4_T5_T6_T7_T9_mT8_P12ihipStream_tbDpT10_ENKUlT_T0_E_clISt17integral_constantIbLb0EES18_IbLb1EEEEDaS14_S15_EUlS14_E_NS1_11comp_targetILNS1_3genE5ELNS1_11target_archE942ELNS1_3gpuE9ELNS1_3repE0EEENS1_30default_config_static_selectorELNS0_4arch9wavefront6targetE0EEEvT1_.kd
    .uniform_work_group_size: 1
    .uses_dynamic_stack: false
    .vgpr_count:     0
    .vgpr_spill_count: 0
    .wavefront_size: 32
    .workgroup_processor_mode: 1
  - .args:
      - .offset:         0
        .size:           128
        .value_kind:     by_value
    .group_segment_fixed_size: 0
    .kernarg_segment_align: 8
    .kernarg_segment_size: 128
    .language:       OpenCL C
    .language_version:
      - 2
      - 0
    .max_flat_workgroup_size: 128
    .name:           _ZN7rocprim17ROCPRIM_400000_NS6detail17trampoline_kernelINS0_14default_configENS1_25partition_config_selectorILNS1_17partition_subalgoE9EllbEEZZNS1_14partition_implILS5_9ELb0ES3_jPKlN6thrust23THRUST_200600_302600_NS17counting_iteratorIlNSB_11use_defaultESD_SD_EEPNS0_10empty_typeENS0_5tupleIJPlSF_EEENSH_IJSI_SG_EEENS0_18inequality_wrapperIN6hipcub16HIPCUB_304000_NS8EqualityEEESI_JSF_EEE10hipError_tPvRmT3_T4_T5_T6_T7_T9_mT8_P12ihipStream_tbDpT10_ENKUlT_T0_E_clISt17integral_constantIbLb0EES18_IbLb1EEEEDaS14_S15_EUlS14_E_NS1_11comp_targetILNS1_3genE4ELNS1_11target_archE910ELNS1_3gpuE8ELNS1_3repE0EEENS1_30default_config_static_selectorELNS0_4arch9wavefront6targetE0EEEvT1_
    .private_segment_fixed_size: 0
    .sgpr_count:     0
    .sgpr_spill_count: 0
    .symbol:         _ZN7rocprim17ROCPRIM_400000_NS6detail17trampoline_kernelINS0_14default_configENS1_25partition_config_selectorILNS1_17partition_subalgoE9EllbEEZZNS1_14partition_implILS5_9ELb0ES3_jPKlN6thrust23THRUST_200600_302600_NS17counting_iteratorIlNSB_11use_defaultESD_SD_EEPNS0_10empty_typeENS0_5tupleIJPlSF_EEENSH_IJSI_SG_EEENS0_18inequality_wrapperIN6hipcub16HIPCUB_304000_NS8EqualityEEESI_JSF_EEE10hipError_tPvRmT3_T4_T5_T6_T7_T9_mT8_P12ihipStream_tbDpT10_ENKUlT_T0_E_clISt17integral_constantIbLb0EES18_IbLb1EEEEDaS14_S15_EUlS14_E_NS1_11comp_targetILNS1_3genE4ELNS1_11target_archE910ELNS1_3gpuE8ELNS1_3repE0EEENS1_30default_config_static_selectorELNS0_4arch9wavefront6targetE0EEEvT1_.kd
    .uniform_work_group_size: 1
    .uses_dynamic_stack: false
    .vgpr_count:     0
    .vgpr_spill_count: 0
    .wavefront_size: 32
    .workgroup_processor_mode: 1
  - .args:
      - .offset:         0
        .size:           128
        .value_kind:     by_value
    .group_segment_fixed_size: 0
    .kernarg_segment_align: 8
    .kernarg_segment_size: 128
    .language:       OpenCL C
    .language_version:
      - 2
      - 0
    .max_flat_workgroup_size: 128
    .name:           _ZN7rocprim17ROCPRIM_400000_NS6detail17trampoline_kernelINS0_14default_configENS1_25partition_config_selectorILNS1_17partition_subalgoE9EllbEEZZNS1_14partition_implILS5_9ELb0ES3_jPKlN6thrust23THRUST_200600_302600_NS17counting_iteratorIlNSB_11use_defaultESD_SD_EEPNS0_10empty_typeENS0_5tupleIJPlSF_EEENSH_IJSI_SG_EEENS0_18inequality_wrapperIN6hipcub16HIPCUB_304000_NS8EqualityEEESI_JSF_EEE10hipError_tPvRmT3_T4_T5_T6_T7_T9_mT8_P12ihipStream_tbDpT10_ENKUlT_T0_E_clISt17integral_constantIbLb0EES18_IbLb1EEEEDaS14_S15_EUlS14_E_NS1_11comp_targetILNS1_3genE3ELNS1_11target_archE908ELNS1_3gpuE7ELNS1_3repE0EEENS1_30default_config_static_selectorELNS0_4arch9wavefront6targetE0EEEvT1_
    .private_segment_fixed_size: 0
    .sgpr_count:     0
    .sgpr_spill_count: 0
    .symbol:         _ZN7rocprim17ROCPRIM_400000_NS6detail17trampoline_kernelINS0_14default_configENS1_25partition_config_selectorILNS1_17partition_subalgoE9EllbEEZZNS1_14partition_implILS5_9ELb0ES3_jPKlN6thrust23THRUST_200600_302600_NS17counting_iteratorIlNSB_11use_defaultESD_SD_EEPNS0_10empty_typeENS0_5tupleIJPlSF_EEENSH_IJSI_SG_EEENS0_18inequality_wrapperIN6hipcub16HIPCUB_304000_NS8EqualityEEESI_JSF_EEE10hipError_tPvRmT3_T4_T5_T6_T7_T9_mT8_P12ihipStream_tbDpT10_ENKUlT_T0_E_clISt17integral_constantIbLb0EES18_IbLb1EEEEDaS14_S15_EUlS14_E_NS1_11comp_targetILNS1_3genE3ELNS1_11target_archE908ELNS1_3gpuE7ELNS1_3repE0EEENS1_30default_config_static_selectorELNS0_4arch9wavefront6targetE0EEEvT1_.kd
    .uniform_work_group_size: 1
    .uses_dynamic_stack: false
    .vgpr_count:     0
    .vgpr_spill_count: 0
    .wavefront_size: 32
    .workgroup_processor_mode: 1
  - .args:
      - .offset:         0
        .size:           128
        .value_kind:     by_value
    .group_segment_fixed_size: 0
    .kernarg_segment_align: 8
    .kernarg_segment_size: 128
    .language:       OpenCL C
    .language_version:
      - 2
      - 0
    .max_flat_workgroup_size: 192
    .name:           _ZN7rocprim17ROCPRIM_400000_NS6detail17trampoline_kernelINS0_14default_configENS1_25partition_config_selectorILNS1_17partition_subalgoE9EllbEEZZNS1_14partition_implILS5_9ELb0ES3_jPKlN6thrust23THRUST_200600_302600_NS17counting_iteratorIlNSB_11use_defaultESD_SD_EEPNS0_10empty_typeENS0_5tupleIJPlSF_EEENSH_IJSI_SG_EEENS0_18inequality_wrapperIN6hipcub16HIPCUB_304000_NS8EqualityEEESI_JSF_EEE10hipError_tPvRmT3_T4_T5_T6_T7_T9_mT8_P12ihipStream_tbDpT10_ENKUlT_T0_E_clISt17integral_constantIbLb0EES18_IbLb1EEEEDaS14_S15_EUlS14_E_NS1_11comp_targetILNS1_3genE2ELNS1_11target_archE906ELNS1_3gpuE6ELNS1_3repE0EEENS1_30default_config_static_selectorELNS0_4arch9wavefront6targetE0EEEvT1_
    .private_segment_fixed_size: 0
    .sgpr_count:     0
    .sgpr_spill_count: 0
    .symbol:         _ZN7rocprim17ROCPRIM_400000_NS6detail17trampoline_kernelINS0_14default_configENS1_25partition_config_selectorILNS1_17partition_subalgoE9EllbEEZZNS1_14partition_implILS5_9ELb0ES3_jPKlN6thrust23THRUST_200600_302600_NS17counting_iteratorIlNSB_11use_defaultESD_SD_EEPNS0_10empty_typeENS0_5tupleIJPlSF_EEENSH_IJSI_SG_EEENS0_18inequality_wrapperIN6hipcub16HIPCUB_304000_NS8EqualityEEESI_JSF_EEE10hipError_tPvRmT3_T4_T5_T6_T7_T9_mT8_P12ihipStream_tbDpT10_ENKUlT_T0_E_clISt17integral_constantIbLb0EES18_IbLb1EEEEDaS14_S15_EUlS14_E_NS1_11comp_targetILNS1_3genE2ELNS1_11target_archE906ELNS1_3gpuE6ELNS1_3repE0EEENS1_30default_config_static_selectorELNS0_4arch9wavefront6targetE0EEEvT1_.kd
    .uniform_work_group_size: 1
    .uses_dynamic_stack: false
    .vgpr_count:     0
    .vgpr_spill_count: 0
    .wavefront_size: 32
    .workgroup_processor_mode: 1
  - .args:
      - .offset:         0
        .size:           128
        .value_kind:     by_value
    .group_segment_fixed_size: 25352
    .kernarg_segment_align: 8
    .kernarg_segment_size: 128
    .language:       OpenCL C
    .language_version:
      - 2
      - 0
    .max_flat_workgroup_size: 384
    .name:           _ZN7rocprim17ROCPRIM_400000_NS6detail17trampoline_kernelINS0_14default_configENS1_25partition_config_selectorILNS1_17partition_subalgoE9EllbEEZZNS1_14partition_implILS5_9ELb0ES3_jPKlN6thrust23THRUST_200600_302600_NS17counting_iteratorIlNSB_11use_defaultESD_SD_EEPNS0_10empty_typeENS0_5tupleIJPlSF_EEENSH_IJSI_SG_EEENS0_18inequality_wrapperIN6hipcub16HIPCUB_304000_NS8EqualityEEESI_JSF_EEE10hipError_tPvRmT3_T4_T5_T6_T7_T9_mT8_P12ihipStream_tbDpT10_ENKUlT_T0_E_clISt17integral_constantIbLb0EES18_IbLb1EEEEDaS14_S15_EUlS14_E_NS1_11comp_targetILNS1_3genE10ELNS1_11target_archE1200ELNS1_3gpuE4ELNS1_3repE0EEENS1_30default_config_static_selectorELNS0_4arch9wavefront6targetE0EEEvT1_
    .private_segment_fixed_size: 0
    .sgpr_count:     30
    .sgpr_spill_count: 0
    .symbol:         _ZN7rocprim17ROCPRIM_400000_NS6detail17trampoline_kernelINS0_14default_configENS1_25partition_config_selectorILNS1_17partition_subalgoE9EllbEEZZNS1_14partition_implILS5_9ELb0ES3_jPKlN6thrust23THRUST_200600_302600_NS17counting_iteratorIlNSB_11use_defaultESD_SD_EEPNS0_10empty_typeENS0_5tupleIJPlSF_EEENSH_IJSI_SG_EEENS0_18inequality_wrapperIN6hipcub16HIPCUB_304000_NS8EqualityEEESI_JSF_EEE10hipError_tPvRmT3_T4_T5_T6_T7_T9_mT8_P12ihipStream_tbDpT10_ENKUlT_T0_E_clISt17integral_constantIbLb0EES18_IbLb1EEEEDaS14_S15_EUlS14_E_NS1_11comp_targetILNS1_3genE10ELNS1_11target_archE1200ELNS1_3gpuE4ELNS1_3repE0EEENS1_30default_config_static_selectorELNS0_4arch9wavefront6targetE0EEEvT1_.kd
    .uniform_work_group_size: 1
    .uses_dynamic_stack: false
    .vgpr_count:     73
    .vgpr_spill_count: 0
    .wavefront_size: 32
    .workgroup_processor_mode: 1
  - .args:
      - .offset:         0
        .size:           128
        .value_kind:     by_value
    .group_segment_fixed_size: 0
    .kernarg_segment_align: 8
    .kernarg_segment_size: 128
    .language:       OpenCL C
    .language_version:
      - 2
      - 0
    .max_flat_workgroup_size: 512
    .name:           _ZN7rocprim17ROCPRIM_400000_NS6detail17trampoline_kernelINS0_14default_configENS1_25partition_config_selectorILNS1_17partition_subalgoE9EllbEEZZNS1_14partition_implILS5_9ELb0ES3_jPKlN6thrust23THRUST_200600_302600_NS17counting_iteratorIlNSB_11use_defaultESD_SD_EEPNS0_10empty_typeENS0_5tupleIJPlSF_EEENSH_IJSI_SG_EEENS0_18inequality_wrapperIN6hipcub16HIPCUB_304000_NS8EqualityEEESI_JSF_EEE10hipError_tPvRmT3_T4_T5_T6_T7_T9_mT8_P12ihipStream_tbDpT10_ENKUlT_T0_E_clISt17integral_constantIbLb0EES18_IbLb1EEEEDaS14_S15_EUlS14_E_NS1_11comp_targetILNS1_3genE9ELNS1_11target_archE1100ELNS1_3gpuE3ELNS1_3repE0EEENS1_30default_config_static_selectorELNS0_4arch9wavefront6targetE0EEEvT1_
    .private_segment_fixed_size: 0
    .sgpr_count:     0
    .sgpr_spill_count: 0
    .symbol:         _ZN7rocprim17ROCPRIM_400000_NS6detail17trampoline_kernelINS0_14default_configENS1_25partition_config_selectorILNS1_17partition_subalgoE9EllbEEZZNS1_14partition_implILS5_9ELb0ES3_jPKlN6thrust23THRUST_200600_302600_NS17counting_iteratorIlNSB_11use_defaultESD_SD_EEPNS0_10empty_typeENS0_5tupleIJPlSF_EEENSH_IJSI_SG_EEENS0_18inequality_wrapperIN6hipcub16HIPCUB_304000_NS8EqualityEEESI_JSF_EEE10hipError_tPvRmT3_T4_T5_T6_T7_T9_mT8_P12ihipStream_tbDpT10_ENKUlT_T0_E_clISt17integral_constantIbLb0EES18_IbLb1EEEEDaS14_S15_EUlS14_E_NS1_11comp_targetILNS1_3genE9ELNS1_11target_archE1100ELNS1_3gpuE3ELNS1_3repE0EEENS1_30default_config_static_selectorELNS0_4arch9wavefront6targetE0EEEvT1_.kd
    .uniform_work_group_size: 1
    .uses_dynamic_stack: false
    .vgpr_count:     0
    .vgpr_spill_count: 0
    .wavefront_size: 32
    .workgroup_processor_mode: 1
  - .args:
      - .offset:         0
        .size:           128
        .value_kind:     by_value
    .group_segment_fixed_size: 0
    .kernarg_segment_align: 8
    .kernarg_segment_size: 128
    .language:       OpenCL C
    .language_version:
      - 2
      - 0
    .max_flat_workgroup_size: 512
    .name:           _ZN7rocprim17ROCPRIM_400000_NS6detail17trampoline_kernelINS0_14default_configENS1_25partition_config_selectorILNS1_17partition_subalgoE9EllbEEZZNS1_14partition_implILS5_9ELb0ES3_jPKlN6thrust23THRUST_200600_302600_NS17counting_iteratorIlNSB_11use_defaultESD_SD_EEPNS0_10empty_typeENS0_5tupleIJPlSF_EEENSH_IJSI_SG_EEENS0_18inequality_wrapperIN6hipcub16HIPCUB_304000_NS8EqualityEEESI_JSF_EEE10hipError_tPvRmT3_T4_T5_T6_T7_T9_mT8_P12ihipStream_tbDpT10_ENKUlT_T0_E_clISt17integral_constantIbLb0EES18_IbLb1EEEEDaS14_S15_EUlS14_E_NS1_11comp_targetILNS1_3genE8ELNS1_11target_archE1030ELNS1_3gpuE2ELNS1_3repE0EEENS1_30default_config_static_selectorELNS0_4arch9wavefront6targetE0EEEvT1_
    .private_segment_fixed_size: 0
    .sgpr_count:     0
    .sgpr_spill_count: 0
    .symbol:         _ZN7rocprim17ROCPRIM_400000_NS6detail17trampoline_kernelINS0_14default_configENS1_25partition_config_selectorILNS1_17partition_subalgoE9EllbEEZZNS1_14partition_implILS5_9ELb0ES3_jPKlN6thrust23THRUST_200600_302600_NS17counting_iteratorIlNSB_11use_defaultESD_SD_EEPNS0_10empty_typeENS0_5tupleIJPlSF_EEENSH_IJSI_SG_EEENS0_18inequality_wrapperIN6hipcub16HIPCUB_304000_NS8EqualityEEESI_JSF_EEE10hipError_tPvRmT3_T4_T5_T6_T7_T9_mT8_P12ihipStream_tbDpT10_ENKUlT_T0_E_clISt17integral_constantIbLb0EES18_IbLb1EEEEDaS14_S15_EUlS14_E_NS1_11comp_targetILNS1_3genE8ELNS1_11target_archE1030ELNS1_3gpuE2ELNS1_3repE0EEENS1_30default_config_static_selectorELNS0_4arch9wavefront6targetE0EEEvT1_.kd
    .uniform_work_group_size: 1
    .uses_dynamic_stack: false
    .vgpr_count:     0
    .vgpr_spill_count: 0
    .wavefront_size: 32
    .workgroup_processor_mode: 1
  - .args:
      - .address_space:  global
        .offset:         0
        .size:           8
        .value_kind:     global_buffer
      - .address_space:  global
        .offset:         8
        .size:           8
        .value_kind:     global_buffer
      - .address_space:  global
        .offset:         16
        .size:           8
        .value_kind:     global_buffer
      - .offset:         24
        .size:           8
        .value_kind:     by_value
      - .offset:         32
        .size:           4
        .value_kind:     hidden_block_count_x
      - .offset:         36
        .size:           4
        .value_kind:     hidden_block_count_y
      - .offset:         40
        .size:           4
        .value_kind:     hidden_block_count_z
      - .offset:         44
        .size:           2
        .value_kind:     hidden_group_size_x
      - .offset:         46
        .size:           2
        .value_kind:     hidden_group_size_y
      - .offset:         48
        .size:           2
        .value_kind:     hidden_group_size_z
      - .offset:         50
        .size:           2
        .value_kind:     hidden_remainder_x
      - .offset:         52
        .size:           2
        .value_kind:     hidden_remainder_y
      - .offset:         54
        .size:           2
        .value_kind:     hidden_remainder_z
      - .offset:         72
        .size:           8
        .value_kind:     hidden_global_offset_x
      - .offset:         80
        .size:           8
        .value_kind:     hidden_global_offset_y
      - .offset:         88
        .size:           8
        .value_kind:     hidden_global_offset_z
      - .offset:         96
        .size:           2
        .value_kind:     hidden_grid_dims
    .group_segment_fixed_size: 0
    .kernarg_segment_align: 8
    .kernarg_segment_size: 288
    .language:       OpenCL C
    .language_version:
      - 2
      - 0
    .max_flat_workgroup_size: 1024
    .name:           _ZN2at6native12_GLOBAL__N_124krn_partials_per_segmentIiEEvPT_PKS3_PKll
    .private_segment_fixed_size: 0
    .sgpr_count:     14
    .sgpr_spill_count: 0
    .symbol:         _ZN2at6native12_GLOBAL__N_124krn_partials_per_segmentIiEEvPT_PKS3_PKll.kd
    .uniform_work_group_size: 1
    .uses_dynamic_stack: false
    .vgpr_count:     8
    .vgpr_spill_count: 0
    .wavefront_size: 32
    .workgroup_processor_mode: 1
  - .args:
      - .address_space:  global
        .offset:         0
        .size:           8
        .value_kind:     global_buffer
      - .address_space:  global
        .offset:         8
        .size:           8
        .value_kind:     global_buffer
      - .address_space:  global
        .offset:         16
        .size:           8
        .value_kind:     global_buffer
      - .address_space:  global
        .offset:         24
        .size:           8
        .value_kind:     global_buffer
    .group_segment_fixed_size: 0
    .kernarg_segment_align: 8
    .kernarg_segment_size: 32
    .language:       OpenCL C
    .language_version:
      - 2
      - 0
    .max_flat_workgroup_size: 1024
    .name:           _ZN2at6native12_GLOBAL__N_131compute_num_of_partial_segmentsIiEEvPKT_S5_PKlPl
    .private_segment_fixed_size: 0
    .sgpr_count:     8
    .sgpr_spill_count: 0
    .symbol:         _ZN2at6native12_GLOBAL__N_131compute_num_of_partial_segmentsIiEEvPKT_S5_PKlPl.kd
    .uniform_work_group_size: 1
    .uses_dynamic_stack: false
    .vgpr_count:     3
    .vgpr_spill_count: 0
    .wavefront_size: 32
    .workgroup_processor_mode: 1
  - .args:
      - .address_space:  global
        .offset:         0
        .size:           8
        .value_kind:     global_buffer
      - .address_space:  global
        .offset:         8
        .size:           8
        .value_kind:     global_buffer
      - .address_space:  global
        .offset:         16
        .size:           8
        .value_kind:     global_buffer
      - .address_space:  global
        .offset:         24
        .size:           8
        .value_kind:     global_buffer
      - .address_space:  global
        .offset:         32
        .size:           8
        .value_kind:     global_buffer
      - .offset:         40
        .size:           4
        .value_kind:     hidden_block_count_x
      - .offset:         44
        .size:           4
        .value_kind:     hidden_block_count_y
      - .offset:         48
        .size:           4
        .value_kind:     hidden_block_count_z
      - .offset:         52
        .size:           2
        .value_kind:     hidden_group_size_x
      - .offset:         54
        .size:           2
        .value_kind:     hidden_group_size_y
      - .offset:         56
        .size:           2
        .value_kind:     hidden_group_size_z
      - .offset:         58
        .size:           2
        .value_kind:     hidden_remainder_x
      - .offset:         60
        .size:           2
        .value_kind:     hidden_remainder_y
      - .offset:         62
        .size:           2
        .value_kind:     hidden_remainder_z
      - .offset:         80
        .size:           8
        .value_kind:     hidden_global_offset_x
      - .offset:         88
        .size:           8
        .value_kind:     hidden_global_offset_y
      - .offset:         96
        .size:           8
        .value_kind:     hidden_global_offset_z
      - .offset:         104
        .size:           2
        .value_kind:     hidden_grid_dims
    .group_segment_fixed_size: 0
    .kernarg_segment_align: 8
    .kernarg_segment_size: 296
    .language:       OpenCL C
    .language_version:
      - 2
      - 0
    .max_flat_workgroup_size: 1024
    .name:           _ZN2at6native12_GLOBAL__N_126krn_partial_segment_offsetIiEEvPT_PKS3_S6_S6_PKl
    .private_segment_fixed_size: 0
    .sgpr_count:     10
    .sgpr_spill_count: 0
    .symbol:         _ZN2at6native12_GLOBAL__N_126krn_partial_segment_offsetIiEEvPT_PKS3_S6_S6_PKl.kd
    .uniform_work_group_size: 1
    .uses_dynamic_stack: false
    .vgpr_count:     7
    .vgpr_spill_count: 0
    .wavefront_size: 32
    .workgroup_processor_mode: 1
  - .args:
      - .address_space:  global
        .offset:         0
        .size:           8
        .value_kind:     global_buffer
      - .address_space:  global
        .offset:         8
        .size:           8
        .value_kind:     global_buffer
      - .address_space:  global
        .offset:         16
        .size:           8
        .value_kind:     global_buffer
      - .address_space:  global
        .offset:         24
        .size:           8
        .value_kind:     global_buffer
      - .offset:         32
        .size:           4
        .value_kind:     hidden_block_count_x
      - .offset:         36
        .size:           4
        .value_kind:     hidden_block_count_y
      - .offset:         40
        .size:           4
        .value_kind:     hidden_block_count_z
      - .offset:         44
        .size:           2
        .value_kind:     hidden_group_size_x
      - .offset:         46
        .size:           2
        .value_kind:     hidden_group_size_y
      - .offset:         48
        .size:           2
        .value_kind:     hidden_group_size_z
      - .offset:         50
        .size:           2
        .value_kind:     hidden_remainder_x
      - .offset:         52
        .size:           2
        .value_kind:     hidden_remainder_y
      - .offset:         54
        .size:           2
        .value_kind:     hidden_remainder_z
      - .offset:         72
        .size:           8
        .value_kind:     hidden_global_offset_x
      - .offset:         80
        .size:           8
        .value_kind:     hidden_global_offset_y
      - .offset:         88
        .size:           8
        .value_kind:     hidden_global_offset_z
      - .offset:         96
        .size:           2
        .value_kind:     hidden_grid_dims
    .group_segment_fixed_size: 0
    .kernarg_segment_align: 8
    .kernarg_segment_size: 288
    .language:       OpenCL C
    .language_version:
      - 2
      - 0
    .max_flat_workgroup_size: 1024
    .name:           _ZN2at6native12_GLOBAL__N_126krn_partial_to_segment_idxIiEEvPT_PKS3_S6_PKl
    .private_segment_fixed_size: 0
    .sgpr_count:     14
    .sgpr_spill_count: 0
    .symbol:         _ZN2at6native12_GLOBAL__N_126krn_partial_to_segment_idxIiEEvPT_PKS3_S6_PKl.kd
    .uniform_work_group_size: 1
    .uses_dynamic_stack: false
    .vgpr_count:     5
    .vgpr_spill_count: 0
    .wavefront_size: 32
    .workgroup_processor_mode: 1
  - .args:
      - .address_space:  global
        .offset:         0
        .size:           8
        .value_kind:     global_buffer
      - .address_space:  global
        .offset:         8
        .size:           8
        .value_kind:     global_buffer
      - .address_space:  global
        .offset:         16
        .size:           8
        .value_kind:     global_buffer
      - .offset:         24
        .size:           8
        .value_kind:     by_value
      - .offset:         32
        .size:           8
        .value_kind:     by_value
      - .address_space:  global
        .offset:         40
        .size:           8
        .value_kind:     global_buffer
      - .address_space:  global
        .offset:         48
        .size:           8
        .value_kind:     global_buffer
      - .address_space:  global
        .offset:         56
        .size:           8
        .value_kind:     global_buffer
      - .address_space:  global
        .offset:         64
        .size:           8
        .value_kind:     global_buffer
      - .address_space:  global
        .offset:         72
        .size:           8
        .value_kind:     global_buffer
      - .address_space:  global
        .offset:         80
        .size:           8
        .value_kind:     global_buffer
      - .offset:         88
        .size:           8
        .value_kind:     by_value
      - .offset:         96
        .size:           8
        .value_kind:     by_value
      - .offset:         104
        .size:           4
        .value_kind:     hidden_block_count_x
      - .offset:         108
        .size:           4
        .value_kind:     hidden_block_count_y
      - .offset:         112
        .size:           4
        .value_kind:     hidden_block_count_z
      - .offset:         116
        .size:           2
        .value_kind:     hidden_group_size_x
      - .offset:         118
        .size:           2
        .value_kind:     hidden_group_size_y
      - .offset:         120
        .size:           2
        .value_kind:     hidden_group_size_z
      - .offset:         122
        .size:           2
        .value_kind:     hidden_remainder_x
      - .offset:         124
        .size:           2
        .value_kind:     hidden_remainder_y
      - .offset:         126
        .size:           2
        .value_kind:     hidden_remainder_z
      - .offset:         144
        .size:           8
        .value_kind:     hidden_global_offset_x
      - .offset:         152
        .size:           8
        .value_kind:     hidden_global_offset_y
      - .offset:         160
        .size:           8
        .value_kind:     hidden_global_offset_z
      - .offset:         168
        .size:           2
        .value_kind:     hidden_grid_dims
    .group_segment_fixed_size: 0
    .kernarg_segment_align: 8
    .kernarg_segment_size: 360
    .language:       OpenCL C
    .language_version:
      - 2
      - 0
    .max_flat_workgroup_size: 1024
    .name:           _ZN2at6native12_GLOBAL__N_137compute_grad_weight_atomic_accumulateIddiEEvPKT1_PKT_S5_llS5_PKlS5_S5_S5_PT0_ll
    .private_segment_fixed_size: 0
    .sgpr_count:     30
    .sgpr_spill_count: 0
    .symbol:         _ZN2at6native12_GLOBAL__N_137compute_grad_weight_atomic_accumulateIddiEEvPKT1_PKT_S5_llS5_PKlS5_S5_S5_PT0_ll.kd
    .uniform_work_group_size: 1
    .uses_dynamic_stack: false
    .vgpr_count:     25
    .vgpr_spill_count: 0
    .wavefront_size: 32
    .workgroup_processor_mode: 1
  - .args:
      - .address_space:  global
        .offset:         0
        .size:           8
        .value_kind:     global_buffer
      - .address_space:  global
        .offset:         8
        .size:           8
        .value_kind:     global_buffer
      - .address_space:  global
        .offset:         16
        .size:           8
        .value_kind:     global_buffer
      - .address_space:  global
        .offset:         24
        .size:           8
        .value_kind:     global_buffer
      - .offset:         32
        .size:           8
        .value_kind:     by_value
      - .offset:         40
        .size:           8
        .value_kind:     by_value
      - .offset:         48
        .size:           4
        .value_kind:     by_value
      - .address_space:  global
        .offset:         56
        .size:           8
        .value_kind:     global_buffer
      - .address_space:  global
        .offset:         64
        .size:           8
        .value_kind:     global_buffer
      - .offset:         72
        .size:           8
        .value_kind:     by_value
      - .address_space:  global
        .offset:         80
        .size:           8
        .value_kind:     global_buffer
      - .address_space:  global
        .offset:         88
        .size:           8
        .value_kind:     global_buffer
      - .address_space:  global
        .offset:         96
        .size:           8
        .value_kind:     global_buffer
      - .offset:         104
        .size:           8
        .value_kind:     by_value
      - .offset:         112
        .size:           4
        .value_kind:     hidden_block_count_x
      - .offset:         116
        .size:           4
        .value_kind:     hidden_block_count_y
      - .offset:         120
        .size:           4
        .value_kind:     hidden_block_count_z
      - .offset:         124
        .size:           2
        .value_kind:     hidden_group_size_x
      - .offset:         126
        .size:           2
        .value_kind:     hidden_group_size_y
      - .offset:         128
        .size:           2
        .value_kind:     hidden_group_size_z
      - .offset:         130
        .size:           2
        .value_kind:     hidden_remainder_x
      - .offset:         132
        .size:           2
        .value_kind:     hidden_remainder_y
      - .offset:         134
        .size:           2
        .value_kind:     hidden_remainder_z
      - .offset:         152
        .size:           8
        .value_kind:     hidden_global_offset_x
      - .offset:         160
        .size:           8
        .value_kind:     hidden_global_offset_y
      - .offset:         168
        .size:           8
        .value_kind:     hidden_global_offset_z
      - .offset:         176
        .size:           2
        .value_kind:     hidden_grid_dims
    .group_segment_fixed_size: 0
    .kernarg_segment_align: 8
    .kernarg_segment_size: 368
    .language:       OpenCL C
    .language_version:
      - 2
      - 0
    .max_flat_workgroup_size: 1024
    .name:           _ZN2at6native12_GLOBAL__N_124compute_grad_weight_bagsIdiEEvPKT0_PKT_S5_S5_lliS5_S8_lS5_PKlPNS_14AccumulateTypeIS6_Lb1EE4typeEl
    .private_segment_fixed_size: 0
    .sgpr_count:     30
    .sgpr_spill_count: 0
    .symbol:         _ZN2at6native12_GLOBAL__N_124compute_grad_weight_bagsIdiEEvPKT0_PKT_S5_S5_lliS5_S8_lS5_PKlPNS_14AccumulateTypeIS6_Lb1EE4typeEl.kd
    .uniform_work_group_size: 1
    .uses_dynamic_stack: false
    .vgpr_count:     29
    .vgpr_spill_count: 0
    .wavefront_size: 32
    .workgroup_processor_mode: 1
  - .args:
      - .address_space:  global
        .offset:         0
        .size:           8
        .value_kind:     global_buffer
      - .address_space:  global
        .offset:         8
        .size:           8
        .value_kind:     global_buffer
      - .address_space:  global
        .offset:         16
        .size:           8
        .value_kind:     global_buffer
      - .offset:         24
        .size:           8
        .value_kind:     by_value
      - .offset:         32
        .size:           8
        .value_kind:     by_value
      - .address_space:  global
        .offset:         40
        .size:           8
        .value_kind:     global_buffer
      - .address_space:  global
        .offset:         48
        .size:           8
        .value_kind:     global_buffer
      - .address_space:  global
        .offset:         56
        .size:           8
        .value_kind:     global_buffer
      - .offset:         64
        .size:           8
        .value_kind:     by_value
      - .offset:         72
        .size:           4
        .value_kind:     hidden_block_count_x
      - .offset:         76
        .size:           4
        .value_kind:     hidden_block_count_y
      - .offset:         80
        .size:           4
        .value_kind:     hidden_block_count_z
      - .offset:         84
        .size:           2
        .value_kind:     hidden_group_size_x
      - .offset:         86
        .size:           2
        .value_kind:     hidden_group_size_y
      - .offset:         88
        .size:           2
        .value_kind:     hidden_group_size_z
      - .offset:         90
        .size:           2
        .value_kind:     hidden_remainder_x
      - .offset:         92
        .size:           2
        .value_kind:     hidden_remainder_y
      - .offset:         94
        .size:           2
        .value_kind:     hidden_remainder_z
      - .offset:         112
        .size:           8
        .value_kind:     hidden_global_offset_x
      - .offset:         120
        .size:           8
        .value_kind:     hidden_global_offset_y
      - .offset:         128
        .size:           8
        .value_kind:     hidden_global_offset_z
      - .offset:         136
        .size:           2
        .value_kind:     hidden_grid_dims
    .group_segment_fixed_size: 0
    .kernarg_segment_align: 8
    .kernarg_segment_size: 328
    .language:       OpenCL C
    .language_version:
      - 2
      - 0
    .max_flat_workgroup_size: 1024
    .name:           _ZN2at6native12_GLOBAL__N_119compute_grad_weightIdiEEvPKT0_PKT_S5_llS5_PKlPNS_14AccumulateTypeIS6_Lb1EE4typeEl
    .private_segment_fixed_size: 0
    .sgpr_count:     38
    .sgpr_spill_count: 0
    .symbol:         _ZN2at6native12_GLOBAL__N_119compute_grad_weightIdiEEvPKT0_PKT_S5_llS5_PKlPNS_14AccumulateTypeIS6_Lb1EE4typeEl.kd
    .uniform_work_group_size: 1
    .uses_dynamic_stack: false
    .vgpr_count:     25
    .vgpr_spill_count: 0
    .wavefront_size: 32
    .workgroup_processor_mode: 1
  - .args:
      - .address_space:  global
        .offset:         0
        .size:           8
        .value_kind:     global_buffer
      - .address_space:  global
        .offset:         8
        .size:           8
        .value_kind:     global_buffer
      - .offset:         16
        .size:           8
        .value_kind:     by_value
      - .address_space:  global
        .offset:         24
        .size:           8
        .value_kind:     global_buffer
      - .address_space:  global
        .offset:         32
        .size:           8
        .value_kind:     global_buffer
      - .address_space:  global
        .offset:         40
        .size:           8
        .value_kind:     global_buffer
      - .address_space:  global
        .offset:         48
        .size:           8
        .value_kind:     global_buffer
      - .address_space:  global
        .offset:         56
        .size:           8
        .value_kind:     global_buffer
      - .offset:         64
        .size:           8
        .value_kind:     by_value
      - .offset:         72
        .size:           8
        .value_kind:     by_value
      - .offset:         80
        .size:           4
        .value_kind:     hidden_block_count_x
      - .offset:         84
        .size:           4
        .value_kind:     hidden_block_count_y
      - .offset:         88
        .size:           4
        .value_kind:     hidden_block_count_z
      - .offset:         92
        .size:           2
        .value_kind:     hidden_group_size_x
      - .offset:         94
        .size:           2
        .value_kind:     hidden_group_size_y
      - .offset:         96
        .size:           2
        .value_kind:     hidden_group_size_z
      - .offset:         98
        .size:           2
        .value_kind:     hidden_remainder_x
      - .offset:         100
        .size:           2
        .value_kind:     hidden_remainder_y
      - .offset:         102
        .size:           2
        .value_kind:     hidden_remainder_z
      - .offset:         120
        .size:           8
        .value_kind:     hidden_global_offset_x
      - .offset:         128
        .size:           8
        .value_kind:     hidden_global_offset_y
      - .offset:         136
        .size:           8
        .value_kind:     hidden_global_offset_z
      - .offset:         144
        .size:           2
        .value_kind:     hidden_grid_dims
    .group_segment_fixed_size: 0
    .kernarg_segment_align: 8
    .kernarg_segment_size: 336
    .language:       OpenCL C
    .language_version:
      - 2
      - 0
    .max_flat_workgroup_size: 1024
    .name:           _ZN2at6native12_GLOBAL__N_115sum_and_scatterIdiEEvPKT0_PT_lS5_PKlPKNS_14AccumulateTypeIS6_Lb1EE4typeES5_S9_ll
    .private_segment_fixed_size: 0
    .sgpr_count:     40
    .sgpr_spill_count: 0
    .symbol:         _ZN2at6native12_GLOBAL__N_115sum_and_scatterIdiEEvPKT0_PT_lS5_PKlPKNS_14AccumulateTypeIS6_Lb1EE4typeES5_S9_ll.kd
    .uniform_work_group_size: 1
    .uses_dynamic_stack: false
    .vgpr_count:     14
    .vgpr_spill_count: 0
    .wavefront_size: 32
    .workgroup_processor_mode: 1
  - .args:
      - .address_space:  global
        .offset:         0
        .size:           8
        .value_kind:     global_buffer
      - .address_space:  global
        .offset:         8
        .size:           8
        .value_kind:     global_buffer
      - .address_space:  global
        .offset:         16
        .size:           8
        .value_kind:     global_buffer
      - .offset:         24
        .size:           8
        .value_kind:     by_value
      - .offset:         32
        .size:           8
        .value_kind:     by_value
      - .address_space:  global
        .offset:         40
        .size:           8
        .value_kind:     global_buffer
      - .address_space:  global
        .offset:         48
        .size:           8
        .value_kind:     global_buffer
      - .address_space:  global
        .offset:         56
        .size:           8
        .value_kind:     global_buffer
      - .address_space:  global
        .offset:         64
        .size:           8
        .value_kind:     global_buffer
      - .address_space:  global
        .offset:         72
        .size:           8
        .value_kind:     global_buffer
      - .address_space:  global
        .offset:         80
        .size:           8
        .value_kind:     global_buffer
      - .offset:         88
        .size:           8
        .value_kind:     by_value
      - .offset:         96
        .size:           8
        .value_kind:     by_value
      - .offset:         104
        .size:           4
        .value_kind:     hidden_block_count_x
      - .offset:         108
        .size:           4
        .value_kind:     hidden_block_count_y
      - .offset:         112
        .size:           4
        .value_kind:     hidden_block_count_z
      - .offset:         116
        .size:           2
        .value_kind:     hidden_group_size_x
      - .offset:         118
        .size:           2
        .value_kind:     hidden_group_size_y
      - .offset:         120
        .size:           2
        .value_kind:     hidden_group_size_z
      - .offset:         122
        .size:           2
        .value_kind:     hidden_remainder_x
      - .offset:         124
        .size:           2
        .value_kind:     hidden_remainder_y
      - .offset:         126
        .size:           2
        .value_kind:     hidden_remainder_z
      - .offset:         144
        .size:           8
        .value_kind:     hidden_global_offset_x
      - .offset:         152
        .size:           8
        .value_kind:     hidden_global_offset_y
      - .offset:         160
        .size:           8
        .value_kind:     hidden_global_offset_z
      - .offset:         168
        .size:           2
        .value_kind:     hidden_grid_dims
    .group_segment_fixed_size: 0
    .kernarg_segment_align: 8
    .kernarg_segment_size: 360
    .language:       OpenCL C
    .language_version:
      - 2
      - 0
    .max_flat_workgroup_size: 1024
    .name:           _ZN2at6native12_GLOBAL__N_137compute_grad_weight_atomic_accumulateIffiEEvPKT1_PKT_S5_llS5_PKlS5_S5_S5_PT0_ll
    .private_segment_fixed_size: 0
    .sgpr_count:     30
    .sgpr_spill_count: 0
    .symbol:         _ZN2at6native12_GLOBAL__N_137compute_grad_weight_atomic_accumulateIffiEEvPKT1_PKT_S5_llS5_PKlS5_S5_S5_PT0_ll.kd
    .uniform_work_group_size: 1
    .uses_dynamic_stack: false
    .vgpr_count:     20
    .vgpr_spill_count: 0
    .wavefront_size: 32
    .workgroup_processor_mode: 1
  - .args:
      - .address_space:  global
        .offset:         0
        .size:           8
        .value_kind:     global_buffer
      - .address_space:  global
        .offset:         8
        .size:           8
        .value_kind:     global_buffer
      - .address_space:  global
        .offset:         16
        .size:           8
        .value_kind:     global_buffer
      - .address_space:  global
        .offset:         24
        .size:           8
        .value_kind:     global_buffer
      - .offset:         32
        .size:           8
        .value_kind:     by_value
      - .offset:         40
        .size:           8
        .value_kind:     by_value
      - .offset:         48
        .size:           4
        .value_kind:     by_value
      - .address_space:  global
        .offset:         56
        .size:           8
        .value_kind:     global_buffer
      - .address_space:  global
        .offset:         64
        .size:           8
        .value_kind:     global_buffer
      - .offset:         72
        .size:           8
        .value_kind:     by_value
      - .address_space:  global
        .offset:         80
        .size:           8
        .value_kind:     global_buffer
      - .address_space:  global
        .offset:         88
        .size:           8
        .value_kind:     global_buffer
      - .address_space:  global
        .offset:         96
        .size:           8
        .value_kind:     global_buffer
      - .offset:         104
        .size:           8
        .value_kind:     by_value
      - .offset:         112
        .size:           4
        .value_kind:     hidden_block_count_x
      - .offset:         116
        .size:           4
        .value_kind:     hidden_block_count_y
      - .offset:         120
        .size:           4
        .value_kind:     hidden_block_count_z
      - .offset:         124
        .size:           2
        .value_kind:     hidden_group_size_x
      - .offset:         126
        .size:           2
        .value_kind:     hidden_group_size_y
      - .offset:         128
        .size:           2
        .value_kind:     hidden_group_size_z
      - .offset:         130
        .size:           2
        .value_kind:     hidden_remainder_x
      - .offset:         132
        .size:           2
        .value_kind:     hidden_remainder_y
      - .offset:         134
        .size:           2
        .value_kind:     hidden_remainder_z
      - .offset:         152
        .size:           8
        .value_kind:     hidden_global_offset_x
      - .offset:         160
        .size:           8
        .value_kind:     hidden_global_offset_y
      - .offset:         168
        .size:           8
        .value_kind:     hidden_global_offset_z
      - .offset:         176
        .size:           2
        .value_kind:     hidden_grid_dims
    .group_segment_fixed_size: 0
    .kernarg_segment_align: 8
    .kernarg_segment_size: 368
    .language:       OpenCL C
    .language_version:
      - 2
      - 0
    .max_flat_workgroup_size: 1024
    .name:           _ZN2at6native12_GLOBAL__N_124compute_grad_weight_bagsIfiEEvPKT0_PKT_S5_S5_lliS5_S8_lS5_PKlPNS_14AccumulateTypeIS6_Lb1EE4typeEl
    .private_segment_fixed_size: 0
    .sgpr_count:     30
    .sgpr_spill_count: 0
    .symbol:         _ZN2at6native12_GLOBAL__N_124compute_grad_weight_bagsIfiEEvPKT0_PKT_S5_S5_lliS5_S8_lS5_PKlPNS_14AccumulateTypeIS6_Lb1EE4typeEl.kd
    .uniform_work_group_size: 1
    .uses_dynamic_stack: false
    .vgpr_count:     26
    .vgpr_spill_count: 0
    .wavefront_size: 32
    .workgroup_processor_mode: 1
  - .args:
      - .address_space:  global
        .offset:         0
        .size:           8
        .value_kind:     global_buffer
      - .address_space:  global
        .offset:         8
        .size:           8
        .value_kind:     global_buffer
      - .address_space:  global
        .offset:         16
        .size:           8
        .value_kind:     global_buffer
      - .offset:         24
        .size:           8
        .value_kind:     by_value
      - .offset:         32
        .size:           8
        .value_kind:     by_value
      - .address_space:  global
        .offset:         40
        .size:           8
        .value_kind:     global_buffer
      - .address_space:  global
        .offset:         48
        .size:           8
        .value_kind:     global_buffer
      - .address_space:  global
        .offset:         56
        .size:           8
        .value_kind:     global_buffer
      - .offset:         64
        .size:           8
        .value_kind:     by_value
      - .offset:         72
        .size:           4
        .value_kind:     hidden_block_count_x
      - .offset:         76
        .size:           4
        .value_kind:     hidden_block_count_y
      - .offset:         80
        .size:           4
        .value_kind:     hidden_block_count_z
      - .offset:         84
        .size:           2
        .value_kind:     hidden_group_size_x
      - .offset:         86
        .size:           2
        .value_kind:     hidden_group_size_y
      - .offset:         88
        .size:           2
        .value_kind:     hidden_group_size_z
      - .offset:         90
        .size:           2
        .value_kind:     hidden_remainder_x
      - .offset:         92
        .size:           2
        .value_kind:     hidden_remainder_y
      - .offset:         94
        .size:           2
        .value_kind:     hidden_remainder_z
      - .offset:         112
        .size:           8
        .value_kind:     hidden_global_offset_x
      - .offset:         120
        .size:           8
        .value_kind:     hidden_global_offset_y
      - .offset:         128
        .size:           8
        .value_kind:     hidden_global_offset_z
      - .offset:         136
        .size:           2
        .value_kind:     hidden_grid_dims
    .group_segment_fixed_size: 0
    .kernarg_segment_align: 8
    .kernarg_segment_size: 328
    .language:       OpenCL C
    .language_version:
      - 2
      - 0
    .max_flat_workgroup_size: 1024
    .name:           _ZN2at6native12_GLOBAL__N_119compute_grad_weightIfiEEvPKT0_PKT_S5_llS5_PKlPNS_14AccumulateTypeIS6_Lb1EE4typeEl
    .private_segment_fixed_size: 0
    .sgpr_count:     38
    .sgpr_spill_count: 0
    .symbol:         _ZN2at6native12_GLOBAL__N_119compute_grad_weightIfiEEvPKT0_PKT_S5_llS5_PKlPNS_14AccumulateTypeIS6_Lb1EE4typeEl.kd
    .uniform_work_group_size: 1
    .uses_dynamic_stack: false
    .vgpr_count:     20
    .vgpr_spill_count: 0
    .wavefront_size: 32
    .workgroup_processor_mode: 1
  - .args:
      - .address_space:  global
        .offset:         0
        .size:           8
        .value_kind:     global_buffer
      - .address_space:  global
        .offset:         8
        .size:           8
        .value_kind:     global_buffer
      - .offset:         16
        .size:           8
        .value_kind:     by_value
      - .address_space:  global
        .offset:         24
        .size:           8
        .value_kind:     global_buffer
      - .address_space:  global
        .offset:         32
        .size:           8
        .value_kind:     global_buffer
      - .address_space:  global
        .offset:         40
        .size:           8
        .value_kind:     global_buffer
      - .address_space:  global
        .offset:         48
        .size:           8
        .value_kind:     global_buffer
      - .address_space:  global
        .offset:         56
        .size:           8
        .value_kind:     global_buffer
      - .offset:         64
        .size:           8
        .value_kind:     by_value
      - .offset:         72
        .size:           8
        .value_kind:     by_value
      - .offset:         80
        .size:           4
        .value_kind:     hidden_block_count_x
      - .offset:         84
        .size:           4
        .value_kind:     hidden_block_count_y
      - .offset:         88
        .size:           4
        .value_kind:     hidden_block_count_z
      - .offset:         92
        .size:           2
        .value_kind:     hidden_group_size_x
      - .offset:         94
        .size:           2
        .value_kind:     hidden_group_size_y
      - .offset:         96
        .size:           2
        .value_kind:     hidden_group_size_z
      - .offset:         98
        .size:           2
        .value_kind:     hidden_remainder_x
      - .offset:         100
        .size:           2
        .value_kind:     hidden_remainder_y
      - .offset:         102
        .size:           2
        .value_kind:     hidden_remainder_z
      - .offset:         120
        .size:           8
        .value_kind:     hidden_global_offset_x
      - .offset:         128
        .size:           8
        .value_kind:     hidden_global_offset_y
      - .offset:         136
        .size:           8
        .value_kind:     hidden_global_offset_z
      - .offset:         144
        .size:           2
        .value_kind:     hidden_grid_dims
    .group_segment_fixed_size: 0
    .kernarg_segment_align: 8
    .kernarg_segment_size: 336
    .language:       OpenCL C
    .language_version:
      - 2
      - 0
    .max_flat_workgroup_size: 1024
    .name:           _ZN2at6native12_GLOBAL__N_115sum_and_scatterIfiEEvPKT0_PT_lS5_PKlPKNS_14AccumulateTypeIS6_Lb1EE4typeES5_S9_ll
    .private_segment_fixed_size: 0
    .sgpr_count:     40
    .sgpr_spill_count: 0
    .symbol:         _ZN2at6native12_GLOBAL__N_115sum_and_scatterIfiEEvPKT0_PT_lS5_PKlPKNS_14AccumulateTypeIS6_Lb1EE4typeES5_S9_ll.kd
    .uniform_work_group_size: 1
    .uses_dynamic_stack: false
    .vgpr_count:     14
    .vgpr_spill_count: 0
    .wavefront_size: 32
    .workgroup_processor_mode: 1
  - .args:
      - .address_space:  global
        .offset:         0
        .size:           8
        .value_kind:     global_buffer
      - .address_space:  global
        .offset:         8
        .size:           8
        .value_kind:     global_buffer
      - .address_space:  global
        .offset:         16
        .size:           8
        .value_kind:     global_buffer
      - .offset:         24
        .size:           8
        .value_kind:     by_value
      - .offset:         32
        .size:           8
        .value_kind:     by_value
      - .address_space:  global
        .offset:         40
        .size:           8
        .value_kind:     global_buffer
      - .address_space:  global
        .offset:         48
        .size:           8
        .value_kind:     global_buffer
      - .address_space:  global
        .offset:         56
        .size:           8
        .value_kind:     global_buffer
      - .address_space:  global
        .offset:         64
        .size:           8
        .value_kind:     global_buffer
      - .address_space:  global
        .offset:         72
        .size:           8
        .value_kind:     global_buffer
      - .address_space:  global
        .offset:         80
        .size:           8
        .value_kind:     global_buffer
      - .offset:         88
        .size:           8
        .value_kind:     by_value
      - .offset:         96
        .size:           8
        .value_kind:     by_value
      - .offset:         104
        .size:           4
        .value_kind:     hidden_block_count_x
      - .offset:         108
        .size:           4
        .value_kind:     hidden_block_count_y
      - .offset:         112
        .size:           4
        .value_kind:     hidden_block_count_z
      - .offset:         116
        .size:           2
        .value_kind:     hidden_group_size_x
      - .offset:         118
        .size:           2
        .value_kind:     hidden_group_size_y
      - .offset:         120
        .size:           2
        .value_kind:     hidden_group_size_z
      - .offset:         122
        .size:           2
        .value_kind:     hidden_remainder_x
      - .offset:         124
        .size:           2
        .value_kind:     hidden_remainder_y
      - .offset:         126
        .size:           2
        .value_kind:     hidden_remainder_z
      - .offset:         144
        .size:           8
        .value_kind:     hidden_global_offset_x
      - .offset:         152
        .size:           8
        .value_kind:     hidden_global_offset_y
      - .offset:         160
        .size:           8
        .value_kind:     hidden_global_offset_z
      - .offset:         168
        .size:           2
        .value_kind:     hidden_grid_dims
    .group_segment_fixed_size: 0
    .kernarg_segment_align: 8
    .kernarg_segment_size: 360
    .language:       OpenCL C
    .language_version:
      - 2
      - 0
    .max_flat_workgroup_size: 1024
    .name:           _ZN2at6native12_GLOBAL__N_137compute_grad_weight_atomic_accumulateIN3c104HalfEfiEEvPKT1_PKT_S7_llS7_PKlS7_S7_S7_PT0_ll
    .private_segment_fixed_size: 0
    .sgpr_count:     30
    .sgpr_spill_count: 0
    .symbol:         _ZN2at6native12_GLOBAL__N_137compute_grad_weight_atomic_accumulateIN3c104HalfEfiEEvPKT1_PKT_S7_llS7_PKlS7_S7_S7_PT0_ll.kd
    .uniform_work_group_size: 1
    .uses_dynamic_stack: false
    .vgpr_count:     20
    .vgpr_spill_count: 0
    .wavefront_size: 32
    .workgroup_processor_mode: 1
  - .args:
      - .address_space:  global
        .offset:         0
        .size:           8
        .value_kind:     global_buffer
      - .address_space:  global
        .offset:         8
        .size:           8
        .value_kind:     global_buffer
      - .address_space:  global
        .offset:         16
        .size:           8
        .value_kind:     global_buffer
      - .address_space:  global
        .offset:         24
        .size:           8
        .value_kind:     global_buffer
      - .offset:         32
        .size:           8
        .value_kind:     by_value
      - .offset:         40
        .size:           8
        .value_kind:     by_value
      - .offset:         48
        .size:           4
        .value_kind:     by_value
      - .address_space:  global
        .offset:         56
        .size:           8
        .value_kind:     global_buffer
      - .address_space:  global
        .offset:         64
        .size:           8
        .value_kind:     global_buffer
      - .offset:         72
        .size:           8
        .value_kind:     by_value
      - .address_space:  global
        .offset:         80
        .size:           8
        .value_kind:     global_buffer
      - .address_space:  global
        .offset:         88
        .size:           8
        .value_kind:     global_buffer
      - .address_space:  global
        .offset:         96
        .size:           8
        .value_kind:     global_buffer
      - .offset:         104
        .size:           8
        .value_kind:     by_value
      - .offset:         112
        .size:           4
        .value_kind:     hidden_block_count_x
      - .offset:         116
        .size:           4
        .value_kind:     hidden_block_count_y
      - .offset:         120
        .size:           4
        .value_kind:     hidden_block_count_z
      - .offset:         124
        .size:           2
        .value_kind:     hidden_group_size_x
      - .offset:         126
        .size:           2
        .value_kind:     hidden_group_size_y
      - .offset:         128
        .size:           2
        .value_kind:     hidden_group_size_z
      - .offset:         130
        .size:           2
        .value_kind:     hidden_remainder_x
      - .offset:         132
        .size:           2
        .value_kind:     hidden_remainder_y
      - .offset:         134
        .size:           2
        .value_kind:     hidden_remainder_z
      - .offset:         152
        .size:           8
        .value_kind:     hidden_global_offset_x
      - .offset:         160
        .size:           8
        .value_kind:     hidden_global_offset_y
      - .offset:         168
        .size:           8
        .value_kind:     hidden_global_offset_z
      - .offset:         176
        .size:           2
        .value_kind:     hidden_grid_dims
    .group_segment_fixed_size: 0
    .kernarg_segment_align: 8
    .kernarg_segment_size: 368
    .language:       OpenCL C
    .language_version:
      - 2
      - 0
    .max_flat_workgroup_size: 1024
    .name:           _ZN2at6native12_GLOBAL__N_124compute_grad_weight_bagsIN3c104HalfEiEEvPKT0_PKT_S7_S7_lliS7_SA_lS7_PKlPNS_14AccumulateTypeIS8_Lb1EE4typeEl
    .private_segment_fixed_size: 0
    .sgpr_count:     30
    .sgpr_spill_count: 0
    .symbol:         _ZN2at6native12_GLOBAL__N_124compute_grad_weight_bagsIN3c104HalfEiEEvPKT0_PKT_S7_S7_lliS7_SA_lS7_PKlPNS_14AccumulateTypeIS8_Lb1EE4typeEl.kd
    .uniform_work_group_size: 1
    .uses_dynamic_stack: false
    .vgpr_count:     26
    .vgpr_spill_count: 0
    .wavefront_size: 32
    .workgroup_processor_mode: 1
  - .args:
      - .address_space:  global
        .offset:         0
        .size:           8
        .value_kind:     global_buffer
      - .address_space:  global
        .offset:         8
        .size:           8
        .value_kind:     global_buffer
      - .address_space:  global
        .offset:         16
        .size:           8
        .value_kind:     global_buffer
      - .offset:         24
        .size:           8
        .value_kind:     by_value
      - .offset:         32
        .size:           8
        .value_kind:     by_value
      - .address_space:  global
        .offset:         40
        .size:           8
        .value_kind:     global_buffer
      - .address_space:  global
        .offset:         48
        .size:           8
        .value_kind:     global_buffer
      - .address_space:  global
        .offset:         56
        .size:           8
        .value_kind:     global_buffer
      - .offset:         64
        .size:           8
        .value_kind:     by_value
      - .offset:         72
        .size:           4
        .value_kind:     hidden_block_count_x
      - .offset:         76
        .size:           4
        .value_kind:     hidden_block_count_y
      - .offset:         80
        .size:           4
        .value_kind:     hidden_block_count_z
      - .offset:         84
        .size:           2
        .value_kind:     hidden_group_size_x
      - .offset:         86
        .size:           2
        .value_kind:     hidden_group_size_y
      - .offset:         88
        .size:           2
        .value_kind:     hidden_group_size_z
      - .offset:         90
        .size:           2
        .value_kind:     hidden_remainder_x
      - .offset:         92
        .size:           2
        .value_kind:     hidden_remainder_y
      - .offset:         94
        .size:           2
        .value_kind:     hidden_remainder_z
      - .offset:         112
        .size:           8
        .value_kind:     hidden_global_offset_x
      - .offset:         120
        .size:           8
        .value_kind:     hidden_global_offset_y
      - .offset:         128
        .size:           8
        .value_kind:     hidden_global_offset_z
      - .offset:         136
        .size:           2
        .value_kind:     hidden_grid_dims
    .group_segment_fixed_size: 0
    .kernarg_segment_align: 8
    .kernarg_segment_size: 328
    .language:       OpenCL C
    .language_version:
      - 2
      - 0
    .max_flat_workgroup_size: 1024
    .name:           _ZN2at6native12_GLOBAL__N_119compute_grad_weightIN3c104HalfEiEEvPKT0_PKT_S7_llS7_PKlPNS_14AccumulateTypeIS8_Lb1EE4typeEl
    .private_segment_fixed_size: 0
    .sgpr_count:     38
    .sgpr_spill_count: 0
    .symbol:         _ZN2at6native12_GLOBAL__N_119compute_grad_weightIN3c104HalfEiEEvPKT0_PKT_S7_llS7_PKlPNS_14AccumulateTypeIS8_Lb1EE4typeEl.kd
    .uniform_work_group_size: 1
    .uses_dynamic_stack: false
    .vgpr_count:     20
    .vgpr_spill_count: 0
    .wavefront_size: 32
    .workgroup_processor_mode: 1
  - .args:
      - .address_space:  global
        .offset:         0
        .size:           8
        .value_kind:     global_buffer
      - .address_space:  global
        .offset:         8
        .size:           8
        .value_kind:     global_buffer
      - .offset:         16
        .size:           8
        .value_kind:     by_value
      - .address_space:  global
        .offset:         24
        .size:           8
        .value_kind:     global_buffer
      - .address_space:  global
        .offset:         32
        .size:           8
        .value_kind:     global_buffer
      - .address_space:  global
        .offset:         40
        .size:           8
        .value_kind:     global_buffer
      - .address_space:  global
        .offset:         48
        .size:           8
        .value_kind:     global_buffer
      - .address_space:  global
        .offset:         56
        .size:           8
        .value_kind:     global_buffer
      - .offset:         64
        .size:           8
        .value_kind:     by_value
      - .offset:         72
        .size:           8
        .value_kind:     by_value
      - .offset:         80
        .size:           4
        .value_kind:     hidden_block_count_x
      - .offset:         84
        .size:           4
        .value_kind:     hidden_block_count_y
      - .offset:         88
        .size:           4
        .value_kind:     hidden_block_count_z
      - .offset:         92
        .size:           2
        .value_kind:     hidden_group_size_x
      - .offset:         94
        .size:           2
        .value_kind:     hidden_group_size_y
      - .offset:         96
        .size:           2
        .value_kind:     hidden_group_size_z
      - .offset:         98
        .size:           2
        .value_kind:     hidden_remainder_x
      - .offset:         100
        .size:           2
        .value_kind:     hidden_remainder_y
      - .offset:         102
        .size:           2
        .value_kind:     hidden_remainder_z
      - .offset:         120
        .size:           8
        .value_kind:     hidden_global_offset_x
      - .offset:         128
        .size:           8
        .value_kind:     hidden_global_offset_y
      - .offset:         136
        .size:           8
        .value_kind:     hidden_global_offset_z
      - .offset:         144
        .size:           2
        .value_kind:     hidden_grid_dims
    .group_segment_fixed_size: 0
    .kernarg_segment_align: 8
    .kernarg_segment_size: 336
    .language:       OpenCL C
    .language_version:
      - 2
      - 0
    .max_flat_workgroup_size: 1024
    .name:           _ZN2at6native12_GLOBAL__N_115sum_and_scatterIN3c104HalfEiEEvPKT0_PT_lS7_PKlPKNS_14AccumulateTypeIS8_Lb1EE4typeES7_SB_ll
    .private_segment_fixed_size: 0
    .sgpr_count:     40
    .sgpr_spill_count: 0
    .symbol:         _ZN2at6native12_GLOBAL__N_115sum_and_scatterIN3c104HalfEiEEvPKT0_PT_lS7_PKlPKNS_14AccumulateTypeIS8_Lb1EE4typeES7_SB_ll.kd
    .uniform_work_group_size: 1
    .uses_dynamic_stack: false
    .vgpr_count:     14
    .vgpr_spill_count: 0
    .wavefront_size: 32
    .workgroup_processor_mode: 1
  - .args:
      - .address_space:  global
        .offset:         0
        .size:           8
        .value_kind:     global_buffer
      - .address_space:  global
        .offset:         8
        .size:           8
        .value_kind:     global_buffer
      - .address_space:  global
        .offset:         16
        .size:           8
        .value_kind:     global_buffer
      - .offset:         24
        .size:           8
        .value_kind:     by_value
      - .offset:         32
        .size:           8
        .value_kind:     by_value
      - .address_space:  global
        .offset:         40
        .size:           8
        .value_kind:     global_buffer
      - .address_space:  global
        .offset:         48
        .size:           8
        .value_kind:     global_buffer
      - .address_space:  global
        .offset:         56
        .size:           8
        .value_kind:     global_buffer
      - .address_space:  global
        .offset:         64
        .size:           8
        .value_kind:     global_buffer
      - .address_space:  global
        .offset:         72
        .size:           8
        .value_kind:     global_buffer
      - .address_space:  global
        .offset:         80
        .size:           8
        .value_kind:     global_buffer
      - .offset:         88
        .size:           8
        .value_kind:     by_value
      - .offset:         96
        .size:           8
        .value_kind:     by_value
      - .offset:         104
        .size:           4
        .value_kind:     hidden_block_count_x
      - .offset:         108
        .size:           4
        .value_kind:     hidden_block_count_y
      - .offset:         112
        .size:           4
        .value_kind:     hidden_block_count_z
      - .offset:         116
        .size:           2
        .value_kind:     hidden_group_size_x
      - .offset:         118
        .size:           2
        .value_kind:     hidden_group_size_y
      - .offset:         120
        .size:           2
        .value_kind:     hidden_group_size_z
      - .offset:         122
        .size:           2
        .value_kind:     hidden_remainder_x
      - .offset:         124
        .size:           2
        .value_kind:     hidden_remainder_y
      - .offset:         126
        .size:           2
        .value_kind:     hidden_remainder_z
      - .offset:         144
        .size:           8
        .value_kind:     hidden_global_offset_x
      - .offset:         152
        .size:           8
        .value_kind:     hidden_global_offset_y
      - .offset:         160
        .size:           8
        .value_kind:     hidden_global_offset_z
      - .offset:         168
        .size:           2
        .value_kind:     hidden_grid_dims
    .group_segment_fixed_size: 0
    .kernarg_segment_align: 8
    .kernarg_segment_size: 360
    .language:       OpenCL C
    .language_version:
      - 2
      - 0
    .max_flat_workgroup_size: 1024
    .name:           _ZN2at6native12_GLOBAL__N_137compute_grad_weight_atomic_accumulateIN3c108BFloat16EfiEEvPKT1_PKT_S7_llS7_PKlS7_S7_S7_PT0_ll
    .private_segment_fixed_size: 0
    .sgpr_count:     30
    .sgpr_spill_count: 0
    .symbol:         _ZN2at6native12_GLOBAL__N_137compute_grad_weight_atomic_accumulateIN3c108BFloat16EfiEEvPKT1_PKT_S7_llS7_PKlS7_S7_S7_PT0_ll.kd
    .uniform_work_group_size: 1
    .uses_dynamic_stack: false
    .vgpr_count:     20
    .vgpr_spill_count: 0
    .wavefront_size: 32
    .workgroup_processor_mode: 1
  - .args:
      - .address_space:  global
        .offset:         0
        .size:           8
        .value_kind:     global_buffer
      - .address_space:  global
        .offset:         8
        .size:           8
        .value_kind:     global_buffer
      - .address_space:  global
        .offset:         16
        .size:           8
        .value_kind:     global_buffer
      - .address_space:  global
        .offset:         24
        .size:           8
        .value_kind:     global_buffer
      - .offset:         32
        .size:           8
        .value_kind:     by_value
      - .offset:         40
        .size:           8
        .value_kind:     by_value
      - .offset:         48
        .size:           4
        .value_kind:     by_value
      - .address_space:  global
        .offset:         56
        .size:           8
        .value_kind:     global_buffer
      - .address_space:  global
        .offset:         64
        .size:           8
        .value_kind:     global_buffer
      - .offset:         72
        .size:           8
        .value_kind:     by_value
      - .address_space:  global
        .offset:         80
        .size:           8
        .value_kind:     global_buffer
      - .address_space:  global
        .offset:         88
        .size:           8
        .value_kind:     global_buffer
      - .address_space:  global
        .offset:         96
        .size:           8
        .value_kind:     global_buffer
      - .offset:         104
        .size:           8
        .value_kind:     by_value
      - .offset:         112
        .size:           4
        .value_kind:     hidden_block_count_x
      - .offset:         116
        .size:           4
        .value_kind:     hidden_block_count_y
      - .offset:         120
        .size:           4
        .value_kind:     hidden_block_count_z
      - .offset:         124
        .size:           2
        .value_kind:     hidden_group_size_x
      - .offset:         126
        .size:           2
        .value_kind:     hidden_group_size_y
      - .offset:         128
        .size:           2
        .value_kind:     hidden_group_size_z
      - .offset:         130
        .size:           2
        .value_kind:     hidden_remainder_x
      - .offset:         132
        .size:           2
        .value_kind:     hidden_remainder_y
      - .offset:         134
        .size:           2
        .value_kind:     hidden_remainder_z
      - .offset:         152
        .size:           8
        .value_kind:     hidden_global_offset_x
      - .offset:         160
        .size:           8
        .value_kind:     hidden_global_offset_y
      - .offset:         168
        .size:           8
        .value_kind:     hidden_global_offset_z
      - .offset:         176
        .size:           2
        .value_kind:     hidden_grid_dims
    .group_segment_fixed_size: 0
    .kernarg_segment_align: 8
    .kernarg_segment_size: 368
    .language:       OpenCL C
    .language_version:
      - 2
      - 0
    .max_flat_workgroup_size: 1024
    .name:           _ZN2at6native12_GLOBAL__N_124compute_grad_weight_bagsIN3c108BFloat16EiEEvPKT0_PKT_S7_S7_lliS7_SA_lS7_PKlPNS_14AccumulateTypeIS8_Lb1EE4typeEl
    .private_segment_fixed_size: 0
    .sgpr_count:     30
    .sgpr_spill_count: 0
    .symbol:         _ZN2at6native12_GLOBAL__N_124compute_grad_weight_bagsIN3c108BFloat16EiEEvPKT0_PKT_S7_S7_lliS7_SA_lS7_PKlPNS_14AccumulateTypeIS8_Lb1EE4typeEl.kd
    .uniform_work_group_size: 1
    .uses_dynamic_stack: false
    .vgpr_count:     26
    .vgpr_spill_count: 0
    .wavefront_size: 32
    .workgroup_processor_mode: 1
  - .args:
      - .address_space:  global
        .offset:         0
        .size:           8
        .value_kind:     global_buffer
      - .address_space:  global
        .offset:         8
        .size:           8
        .value_kind:     global_buffer
      - .address_space:  global
        .offset:         16
        .size:           8
        .value_kind:     global_buffer
      - .offset:         24
        .size:           8
        .value_kind:     by_value
      - .offset:         32
        .size:           8
        .value_kind:     by_value
      - .address_space:  global
        .offset:         40
        .size:           8
        .value_kind:     global_buffer
      - .address_space:  global
        .offset:         48
        .size:           8
        .value_kind:     global_buffer
      - .address_space:  global
        .offset:         56
        .size:           8
        .value_kind:     global_buffer
      - .offset:         64
        .size:           8
        .value_kind:     by_value
      - .offset:         72
        .size:           4
        .value_kind:     hidden_block_count_x
      - .offset:         76
        .size:           4
        .value_kind:     hidden_block_count_y
      - .offset:         80
        .size:           4
        .value_kind:     hidden_block_count_z
      - .offset:         84
        .size:           2
        .value_kind:     hidden_group_size_x
      - .offset:         86
        .size:           2
        .value_kind:     hidden_group_size_y
      - .offset:         88
        .size:           2
        .value_kind:     hidden_group_size_z
      - .offset:         90
        .size:           2
        .value_kind:     hidden_remainder_x
      - .offset:         92
        .size:           2
        .value_kind:     hidden_remainder_y
      - .offset:         94
        .size:           2
        .value_kind:     hidden_remainder_z
      - .offset:         112
        .size:           8
        .value_kind:     hidden_global_offset_x
      - .offset:         120
        .size:           8
        .value_kind:     hidden_global_offset_y
      - .offset:         128
        .size:           8
        .value_kind:     hidden_global_offset_z
      - .offset:         136
        .size:           2
        .value_kind:     hidden_grid_dims
    .group_segment_fixed_size: 0
    .kernarg_segment_align: 8
    .kernarg_segment_size: 328
    .language:       OpenCL C
    .language_version:
      - 2
      - 0
    .max_flat_workgroup_size: 1024
    .name:           _ZN2at6native12_GLOBAL__N_119compute_grad_weightIN3c108BFloat16EiEEvPKT0_PKT_S7_llS7_PKlPNS_14AccumulateTypeIS8_Lb1EE4typeEl
    .private_segment_fixed_size: 0
    .sgpr_count:     38
    .sgpr_spill_count: 0
    .symbol:         _ZN2at6native12_GLOBAL__N_119compute_grad_weightIN3c108BFloat16EiEEvPKT0_PKT_S7_llS7_PKlPNS_14AccumulateTypeIS8_Lb1EE4typeEl.kd
    .uniform_work_group_size: 1
    .uses_dynamic_stack: false
    .vgpr_count:     20
    .vgpr_spill_count: 0
    .wavefront_size: 32
    .workgroup_processor_mode: 1
  - .args:
      - .address_space:  global
        .offset:         0
        .size:           8
        .value_kind:     global_buffer
      - .address_space:  global
        .offset:         8
        .size:           8
        .value_kind:     global_buffer
      - .offset:         16
        .size:           8
        .value_kind:     by_value
      - .address_space:  global
        .offset:         24
        .size:           8
        .value_kind:     global_buffer
      - .address_space:  global
        .offset:         32
        .size:           8
        .value_kind:     global_buffer
      - .address_space:  global
        .offset:         40
        .size:           8
        .value_kind:     global_buffer
      - .address_space:  global
        .offset:         48
        .size:           8
        .value_kind:     global_buffer
      - .address_space:  global
        .offset:         56
        .size:           8
        .value_kind:     global_buffer
      - .offset:         64
        .size:           8
        .value_kind:     by_value
      - .offset:         72
        .size:           8
        .value_kind:     by_value
      - .offset:         80
        .size:           4
        .value_kind:     hidden_block_count_x
      - .offset:         84
        .size:           4
        .value_kind:     hidden_block_count_y
      - .offset:         88
        .size:           4
        .value_kind:     hidden_block_count_z
      - .offset:         92
        .size:           2
        .value_kind:     hidden_group_size_x
      - .offset:         94
        .size:           2
        .value_kind:     hidden_group_size_y
      - .offset:         96
        .size:           2
        .value_kind:     hidden_group_size_z
      - .offset:         98
        .size:           2
        .value_kind:     hidden_remainder_x
      - .offset:         100
        .size:           2
        .value_kind:     hidden_remainder_y
      - .offset:         102
        .size:           2
        .value_kind:     hidden_remainder_z
      - .offset:         120
        .size:           8
        .value_kind:     hidden_global_offset_x
      - .offset:         128
        .size:           8
        .value_kind:     hidden_global_offset_y
      - .offset:         136
        .size:           8
        .value_kind:     hidden_global_offset_z
      - .offset:         144
        .size:           2
        .value_kind:     hidden_grid_dims
    .group_segment_fixed_size: 0
    .kernarg_segment_align: 8
    .kernarg_segment_size: 336
    .language:       OpenCL C
    .language_version:
      - 2
      - 0
    .max_flat_workgroup_size: 1024
    .name:           _ZN2at6native12_GLOBAL__N_115sum_and_scatterIN3c108BFloat16EiEEvPKT0_PT_lS7_PKlPKNS_14AccumulateTypeIS8_Lb1EE4typeES7_SB_ll
    .private_segment_fixed_size: 0
    .sgpr_count:     40
    .sgpr_spill_count: 0
    .symbol:         _ZN2at6native12_GLOBAL__N_115sum_and_scatterIN3c108BFloat16EiEEvPKT0_PT_lS7_PKlPKNS_14AccumulateTypeIS8_Lb1EE4typeES7_SB_ll.kd
    .uniform_work_group_size: 1
    .uses_dynamic_stack: false
    .vgpr_count:     14
    .vgpr_spill_count: 0
    .wavefront_size: 32
    .workgroup_processor_mode: 1
  - .args:
      - .address_space:  global
        .offset:         0
        .size:           8
        .value_kind:     global_buffer
      - .address_space:  global
        .offset:         8
        .size:           8
        .value_kind:     global_buffer
      - .address_space:  global
        .offset:         16
        .size:           8
        .value_kind:     global_buffer
      - .offset:         24
        .size:           8
        .value_kind:     by_value
      - .offset:         32
        .size:           4
        .value_kind:     hidden_block_count_x
      - .offset:         36
        .size:           4
        .value_kind:     hidden_block_count_y
      - .offset:         40
        .size:           4
        .value_kind:     hidden_block_count_z
      - .offset:         44
        .size:           2
        .value_kind:     hidden_group_size_x
      - .offset:         46
        .size:           2
        .value_kind:     hidden_group_size_y
      - .offset:         48
        .size:           2
        .value_kind:     hidden_group_size_z
      - .offset:         50
        .size:           2
        .value_kind:     hidden_remainder_x
      - .offset:         52
        .size:           2
        .value_kind:     hidden_remainder_y
      - .offset:         54
        .size:           2
        .value_kind:     hidden_remainder_z
      - .offset:         72
        .size:           8
        .value_kind:     hidden_global_offset_x
      - .offset:         80
        .size:           8
        .value_kind:     hidden_global_offset_y
      - .offset:         88
        .size:           8
        .value_kind:     hidden_global_offset_z
      - .offset:         96
        .size:           2
        .value_kind:     hidden_grid_dims
    .group_segment_fixed_size: 0
    .kernarg_segment_align: 8
    .kernarg_segment_size: 288
    .language:       OpenCL C
    .language_version:
      - 2
      - 0
    .max_flat_workgroup_size: 1024
    .name:           _ZN2at6native12_GLOBAL__N_124krn_partials_per_segmentIlEEvPT_PKS3_PKll
    .private_segment_fixed_size: 0
    .sgpr_count:     14
    .sgpr_spill_count: 0
    .symbol:         _ZN2at6native12_GLOBAL__N_124krn_partials_per_segmentIlEEvPT_PKS3_PKll.kd
    .uniform_work_group_size: 1
    .uses_dynamic_stack: false
    .vgpr_count:     8
    .vgpr_spill_count: 0
    .wavefront_size: 32
    .workgroup_processor_mode: 1
  - .args:
      - .address_space:  global
        .offset:         0
        .size:           8
        .value_kind:     global_buffer
      - .address_space:  global
        .offset:         8
        .size:           8
        .value_kind:     global_buffer
      - .address_space:  global
        .offset:         16
        .size:           8
        .value_kind:     global_buffer
      - .address_space:  global
        .offset:         24
        .size:           8
        .value_kind:     global_buffer
    .group_segment_fixed_size: 0
    .kernarg_segment_align: 8
    .kernarg_segment_size: 32
    .language:       OpenCL C
    .language_version:
      - 2
      - 0
    .max_flat_workgroup_size: 1024
    .name:           _ZN2at6native12_GLOBAL__N_131compute_num_of_partial_segmentsIlEEvPKT_S5_PKlPl
    .private_segment_fixed_size: 0
    .sgpr_count:     8
    .sgpr_spill_count: 0
    .symbol:         _ZN2at6native12_GLOBAL__N_131compute_num_of_partial_segmentsIlEEvPKT_S5_PKlPl.kd
    .uniform_work_group_size: 1
    .uses_dynamic_stack: false
    .vgpr_count:     3
    .vgpr_spill_count: 0
    .wavefront_size: 32
    .workgroup_processor_mode: 1
  - .args:
      - .address_space:  global
        .offset:         0
        .size:           8
        .value_kind:     global_buffer
      - .address_space:  global
        .offset:         8
        .size:           8
        .value_kind:     global_buffer
      - .address_space:  global
        .offset:         16
        .size:           8
        .value_kind:     global_buffer
      - .address_space:  global
        .offset:         24
        .size:           8
        .value_kind:     global_buffer
      - .address_space:  global
        .offset:         32
        .size:           8
        .value_kind:     global_buffer
      - .offset:         40
        .size:           4
        .value_kind:     hidden_block_count_x
      - .offset:         44
        .size:           4
        .value_kind:     hidden_block_count_y
      - .offset:         48
        .size:           4
        .value_kind:     hidden_block_count_z
      - .offset:         52
        .size:           2
        .value_kind:     hidden_group_size_x
      - .offset:         54
        .size:           2
        .value_kind:     hidden_group_size_y
      - .offset:         56
        .size:           2
        .value_kind:     hidden_group_size_z
      - .offset:         58
        .size:           2
        .value_kind:     hidden_remainder_x
      - .offset:         60
        .size:           2
        .value_kind:     hidden_remainder_y
      - .offset:         62
        .size:           2
        .value_kind:     hidden_remainder_z
      - .offset:         80
        .size:           8
        .value_kind:     hidden_global_offset_x
      - .offset:         88
        .size:           8
        .value_kind:     hidden_global_offset_y
      - .offset:         96
        .size:           8
        .value_kind:     hidden_global_offset_z
      - .offset:         104
        .size:           2
        .value_kind:     hidden_grid_dims
    .group_segment_fixed_size: 0
    .kernarg_segment_align: 8
    .kernarg_segment_size: 296
    .language:       OpenCL C
    .language_version:
      - 2
      - 0
    .max_flat_workgroup_size: 1024
    .name:           _ZN2at6native12_GLOBAL__N_126krn_partial_segment_offsetIlEEvPT_PKS3_S6_S6_PKl
    .private_segment_fixed_size: 0
    .sgpr_count:     10
    .sgpr_spill_count: 0
    .symbol:         _ZN2at6native12_GLOBAL__N_126krn_partial_segment_offsetIlEEvPT_PKS3_S6_S6_PKl.kd
    .uniform_work_group_size: 1
    .uses_dynamic_stack: false
    .vgpr_count:     6
    .vgpr_spill_count: 0
    .wavefront_size: 32
    .workgroup_processor_mode: 1
  - .args:
      - .address_space:  global
        .offset:         0
        .size:           8
        .value_kind:     global_buffer
      - .address_space:  global
        .offset:         8
        .size:           8
        .value_kind:     global_buffer
      - .address_space:  global
        .offset:         16
        .size:           8
        .value_kind:     global_buffer
      - .address_space:  global
        .offset:         24
        .size:           8
        .value_kind:     global_buffer
      - .offset:         32
        .size:           4
        .value_kind:     hidden_block_count_x
      - .offset:         36
        .size:           4
        .value_kind:     hidden_block_count_y
      - .offset:         40
        .size:           4
        .value_kind:     hidden_block_count_z
      - .offset:         44
        .size:           2
        .value_kind:     hidden_group_size_x
      - .offset:         46
        .size:           2
        .value_kind:     hidden_group_size_y
      - .offset:         48
        .size:           2
        .value_kind:     hidden_group_size_z
      - .offset:         50
        .size:           2
        .value_kind:     hidden_remainder_x
      - .offset:         52
        .size:           2
        .value_kind:     hidden_remainder_y
      - .offset:         54
        .size:           2
        .value_kind:     hidden_remainder_z
      - .offset:         72
        .size:           8
        .value_kind:     hidden_global_offset_x
      - .offset:         80
        .size:           8
        .value_kind:     hidden_global_offset_y
      - .offset:         88
        .size:           8
        .value_kind:     hidden_global_offset_z
      - .offset:         96
        .size:           2
        .value_kind:     hidden_grid_dims
    .group_segment_fixed_size: 0
    .kernarg_segment_align: 8
    .kernarg_segment_size: 288
    .language:       OpenCL C
    .language_version:
      - 2
      - 0
    .max_flat_workgroup_size: 1024
    .name:           _ZN2at6native12_GLOBAL__N_126krn_partial_to_segment_idxIlEEvPT_PKS3_S6_PKl
    .private_segment_fixed_size: 0
    .sgpr_count:     14
    .sgpr_spill_count: 0
    .symbol:         _ZN2at6native12_GLOBAL__N_126krn_partial_to_segment_idxIlEEvPT_PKS3_S6_PKl.kd
    .uniform_work_group_size: 1
    .uses_dynamic_stack: false
    .vgpr_count:     6
    .vgpr_spill_count: 0
    .wavefront_size: 32
    .workgroup_processor_mode: 1
  - .args:
      - .address_space:  global
        .offset:         0
        .size:           8
        .value_kind:     global_buffer
      - .address_space:  global
        .offset:         8
        .size:           8
        .value_kind:     global_buffer
      - .address_space:  global
        .offset:         16
        .size:           8
        .value_kind:     global_buffer
      - .offset:         24
        .size:           8
        .value_kind:     by_value
      - .offset:         32
        .size:           8
        .value_kind:     by_value
      - .address_space:  global
        .offset:         40
        .size:           8
        .value_kind:     global_buffer
      - .address_space:  global
        .offset:         48
        .size:           8
        .value_kind:     global_buffer
      - .address_space:  global
        .offset:         56
        .size:           8
        .value_kind:     global_buffer
      - .address_space:  global
        .offset:         64
        .size:           8
        .value_kind:     global_buffer
      - .address_space:  global
        .offset:         72
        .size:           8
        .value_kind:     global_buffer
      - .address_space:  global
        .offset:         80
        .size:           8
        .value_kind:     global_buffer
      - .offset:         88
        .size:           8
        .value_kind:     by_value
      - .offset:         96
        .size:           8
        .value_kind:     by_value
      - .offset:         104
        .size:           4
        .value_kind:     hidden_block_count_x
      - .offset:         108
        .size:           4
        .value_kind:     hidden_block_count_y
      - .offset:         112
        .size:           4
        .value_kind:     hidden_block_count_z
      - .offset:         116
        .size:           2
        .value_kind:     hidden_group_size_x
      - .offset:         118
        .size:           2
        .value_kind:     hidden_group_size_y
      - .offset:         120
        .size:           2
        .value_kind:     hidden_group_size_z
      - .offset:         122
        .size:           2
        .value_kind:     hidden_remainder_x
      - .offset:         124
        .size:           2
        .value_kind:     hidden_remainder_y
      - .offset:         126
        .size:           2
        .value_kind:     hidden_remainder_z
      - .offset:         144
        .size:           8
        .value_kind:     hidden_global_offset_x
      - .offset:         152
        .size:           8
        .value_kind:     hidden_global_offset_y
      - .offset:         160
        .size:           8
        .value_kind:     hidden_global_offset_z
      - .offset:         168
        .size:           2
        .value_kind:     hidden_grid_dims
    .group_segment_fixed_size: 0
    .kernarg_segment_align: 8
    .kernarg_segment_size: 360
    .language:       OpenCL C
    .language_version:
      - 2
      - 0
    .max_flat_workgroup_size: 1024
    .name:           _ZN2at6native12_GLOBAL__N_137compute_grad_weight_atomic_accumulateIddlEEvPKT1_PKT_S5_llS5_PKlS5_S5_S5_PT0_ll
    .private_segment_fixed_size: 0
    .sgpr_count:     30
    .sgpr_spill_count: 0
    .symbol:         _ZN2at6native12_GLOBAL__N_137compute_grad_weight_atomic_accumulateIddlEEvPKT1_PKT_S5_llS5_PKlS5_S5_S5_PT0_ll.kd
    .uniform_work_group_size: 1
    .uses_dynamic_stack: false
    .vgpr_count:     28
    .vgpr_spill_count: 0
    .wavefront_size: 32
    .workgroup_processor_mode: 1
  - .args:
      - .address_space:  global
        .offset:         0
        .size:           8
        .value_kind:     global_buffer
      - .address_space:  global
        .offset:         8
        .size:           8
        .value_kind:     global_buffer
      - .address_space:  global
        .offset:         16
        .size:           8
        .value_kind:     global_buffer
      - .address_space:  global
        .offset:         24
        .size:           8
        .value_kind:     global_buffer
      - .offset:         32
        .size:           8
        .value_kind:     by_value
      - .offset:         40
        .size:           8
        .value_kind:     by_value
      - .offset:         48
        .size:           4
        .value_kind:     by_value
      - .address_space:  global
        .offset:         56
        .size:           8
        .value_kind:     global_buffer
      - .address_space:  global
        .offset:         64
        .size:           8
        .value_kind:     global_buffer
      - .offset:         72
        .size:           8
        .value_kind:     by_value
      - .address_space:  global
        .offset:         80
        .size:           8
        .value_kind:     global_buffer
      - .address_space:  global
        .offset:         88
        .size:           8
        .value_kind:     global_buffer
      - .address_space:  global
        .offset:         96
        .size:           8
        .value_kind:     global_buffer
      - .offset:         104
        .size:           8
        .value_kind:     by_value
      - .offset:         112
        .size:           4
        .value_kind:     hidden_block_count_x
      - .offset:         116
        .size:           4
        .value_kind:     hidden_block_count_y
      - .offset:         120
        .size:           4
        .value_kind:     hidden_block_count_z
      - .offset:         124
        .size:           2
        .value_kind:     hidden_group_size_x
      - .offset:         126
        .size:           2
        .value_kind:     hidden_group_size_y
      - .offset:         128
        .size:           2
        .value_kind:     hidden_group_size_z
      - .offset:         130
        .size:           2
        .value_kind:     hidden_remainder_x
      - .offset:         132
        .size:           2
        .value_kind:     hidden_remainder_y
      - .offset:         134
        .size:           2
        .value_kind:     hidden_remainder_z
      - .offset:         152
        .size:           8
        .value_kind:     hidden_global_offset_x
      - .offset:         160
        .size:           8
        .value_kind:     hidden_global_offset_y
      - .offset:         168
        .size:           8
        .value_kind:     hidden_global_offset_z
      - .offset:         176
        .size:           2
        .value_kind:     hidden_grid_dims
    .group_segment_fixed_size: 0
    .kernarg_segment_align: 8
    .kernarg_segment_size: 368
    .language:       OpenCL C
    .language_version:
      - 2
      - 0
    .max_flat_workgroup_size: 1024
    .name:           _ZN2at6native12_GLOBAL__N_124compute_grad_weight_bagsIdlEEvPKT0_PKT_S5_S5_lliS5_S8_lS5_PKlPNS_14AccumulateTypeIS6_Lb1EE4typeEl
    .private_segment_fixed_size: 0
    .sgpr_count:     30
    .sgpr_spill_count: 0
    .symbol:         _ZN2at6native12_GLOBAL__N_124compute_grad_weight_bagsIdlEEvPKT0_PKT_S5_S5_lliS5_S8_lS5_PKlPNS_14AccumulateTypeIS6_Lb1EE4typeEl.kd
    .uniform_work_group_size: 1
    .uses_dynamic_stack: false
    .vgpr_count:     33
    .vgpr_spill_count: 0
    .wavefront_size: 32
    .workgroup_processor_mode: 1
  - .args:
      - .address_space:  global
        .offset:         0
        .size:           8
        .value_kind:     global_buffer
      - .address_space:  global
        .offset:         8
        .size:           8
        .value_kind:     global_buffer
      - .address_space:  global
        .offset:         16
        .size:           8
        .value_kind:     global_buffer
      - .offset:         24
        .size:           8
        .value_kind:     by_value
      - .offset:         32
        .size:           8
        .value_kind:     by_value
      - .address_space:  global
        .offset:         40
        .size:           8
        .value_kind:     global_buffer
      - .address_space:  global
        .offset:         48
        .size:           8
        .value_kind:     global_buffer
      - .address_space:  global
        .offset:         56
        .size:           8
        .value_kind:     global_buffer
      - .offset:         64
        .size:           8
        .value_kind:     by_value
      - .offset:         72
        .size:           4
        .value_kind:     hidden_block_count_x
      - .offset:         76
        .size:           4
        .value_kind:     hidden_block_count_y
      - .offset:         80
        .size:           4
        .value_kind:     hidden_block_count_z
      - .offset:         84
        .size:           2
        .value_kind:     hidden_group_size_x
      - .offset:         86
        .size:           2
        .value_kind:     hidden_group_size_y
      - .offset:         88
        .size:           2
        .value_kind:     hidden_group_size_z
      - .offset:         90
        .size:           2
        .value_kind:     hidden_remainder_x
      - .offset:         92
        .size:           2
        .value_kind:     hidden_remainder_y
      - .offset:         94
        .size:           2
        .value_kind:     hidden_remainder_z
      - .offset:         112
        .size:           8
        .value_kind:     hidden_global_offset_x
      - .offset:         120
        .size:           8
        .value_kind:     hidden_global_offset_y
      - .offset:         128
        .size:           8
        .value_kind:     hidden_global_offset_z
      - .offset:         136
        .size:           2
        .value_kind:     hidden_grid_dims
    .group_segment_fixed_size: 0
    .kernarg_segment_align: 8
    .kernarg_segment_size: 328
    .language:       OpenCL C
    .language_version:
      - 2
      - 0
    .max_flat_workgroup_size: 1024
    .name:           _ZN2at6native12_GLOBAL__N_119compute_grad_weightIdlEEvPKT0_PKT_S5_llS5_PKlPNS_14AccumulateTypeIS6_Lb1EE4typeEl
    .private_segment_fixed_size: 0
    .sgpr_count:     38
    .sgpr_spill_count: 0
    .symbol:         _ZN2at6native12_GLOBAL__N_119compute_grad_weightIdlEEvPKT0_PKT_S5_llS5_PKlPNS_14AccumulateTypeIS6_Lb1EE4typeEl.kd
    .uniform_work_group_size: 1
    .uses_dynamic_stack: false
    .vgpr_count:     26
    .vgpr_spill_count: 0
    .wavefront_size: 32
    .workgroup_processor_mode: 1
  - .args:
      - .address_space:  global
        .offset:         0
        .size:           8
        .value_kind:     global_buffer
      - .address_space:  global
        .offset:         8
        .size:           8
        .value_kind:     global_buffer
      - .offset:         16
        .size:           8
        .value_kind:     by_value
      - .address_space:  global
        .offset:         24
        .size:           8
        .value_kind:     global_buffer
      - .address_space:  global
        .offset:         32
        .size:           8
        .value_kind:     global_buffer
      - .address_space:  global
        .offset:         40
        .size:           8
        .value_kind:     global_buffer
      - .address_space:  global
        .offset:         48
        .size:           8
        .value_kind:     global_buffer
      - .address_space:  global
        .offset:         56
        .size:           8
        .value_kind:     global_buffer
      - .offset:         64
        .size:           8
        .value_kind:     by_value
      - .offset:         72
        .size:           8
        .value_kind:     by_value
      - .offset:         80
        .size:           4
        .value_kind:     hidden_block_count_x
      - .offset:         84
        .size:           4
        .value_kind:     hidden_block_count_y
      - .offset:         88
        .size:           4
        .value_kind:     hidden_block_count_z
      - .offset:         92
        .size:           2
        .value_kind:     hidden_group_size_x
      - .offset:         94
        .size:           2
        .value_kind:     hidden_group_size_y
      - .offset:         96
        .size:           2
        .value_kind:     hidden_group_size_z
      - .offset:         98
        .size:           2
        .value_kind:     hidden_remainder_x
      - .offset:         100
        .size:           2
        .value_kind:     hidden_remainder_y
      - .offset:         102
        .size:           2
        .value_kind:     hidden_remainder_z
      - .offset:         120
        .size:           8
        .value_kind:     hidden_global_offset_x
      - .offset:         128
        .size:           8
        .value_kind:     hidden_global_offset_y
      - .offset:         136
        .size:           8
        .value_kind:     hidden_global_offset_z
      - .offset:         144
        .size:           2
        .value_kind:     hidden_grid_dims
    .group_segment_fixed_size: 0
    .kernarg_segment_align: 8
    .kernarg_segment_size: 336
    .language:       OpenCL C
    .language_version:
      - 2
      - 0
    .max_flat_workgroup_size: 1024
    .name:           _ZN2at6native12_GLOBAL__N_115sum_and_scatterIdlEEvPKT0_PT_lS5_PKlPKNS_14AccumulateTypeIS6_Lb1EE4typeES5_S9_ll
    .private_segment_fixed_size: 0
    .sgpr_count:     40
    .sgpr_spill_count: 0
    .symbol:         _ZN2at6native12_GLOBAL__N_115sum_and_scatterIdlEEvPKT0_PT_lS5_PKlPKNS_14AccumulateTypeIS6_Lb1EE4typeES5_S9_ll.kd
    .uniform_work_group_size: 1
    .uses_dynamic_stack: false
    .vgpr_count:     14
    .vgpr_spill_count: 0
    .wavefront_size: 32
    .workgroup_processor_mode: 1
  - .args:
      - .address_space:  global
        .offset:         0
        .size:           8
        .value_kind:     global_buffer
      - .address_space:  global
        .offset:         8
        .size:           8
        .value_kind:     global_buffer
      - .address_space:  global
        .offset:         16
        .size:           8
        .value_kind:     global_buffer
      - .offset:         24
        .size:           8
        .value_kind:     by_value
      - .offset:         32
        .size:           8
        .value_kind:     by_value
      - .address_space:  global
        .offset:         40
        .size:           8
        .value_kind:     global_buffer
      - .address_space:  global
        .offset:         48
        .size:           8
        .value_kind:     global_buffer
      - .address_space:  global
        .offset:         56
        .size:           8
        .value_kind:     global_buffer
      - .address_space:  global
        .offset:         64
        .size:           8
        .value_kind:     global_buffer
      - .address_space:  global
        .offset:         72
        .size:           8
        .value_kind:     global_buffer
      - .address_space:  global
        .offset:         80
        .size:           8
        .value_kind:     global_buffer
      - .offset:         88
        .size:           8
        .value_kind:     by_value
      - .offset:         96
        .size:           8
        .value_kind:     by_value
      - .offset:         104
        .size:           4
        .value_kind:     hidden_block_count_x
      - .offset:         108
        .size:           4
        .value_kind:     hidden_block_count_y
      - .offset:         112
        .size:           4
        .value_kind:     hidden_block_count_z
      - .offset:         116
        .size:           2
        .value_kind:     hidden_group_size_x
      - .offset:         118
        .size:           2
        .value_kind:     hidden_group_size_y
      - .offset:         120
        .size:           2
        .value_kind:     hidden_group_size_z
      - .offset:         122
        .size:           2
        .value_kind:     hidden_remainder_x
      - .offset:         124
        .size:           2
        .value_kind:     hidden_remainder_y
      - .offset:         126
        .size:           2
        .value_kind:     hidden_remainder_z
      - .offset:         144
        .size:           8
        .value_kind:     hidden_global_offset_x
      - .offset:         152
        .size:           8
        .value_kind:     hidden_global_offset_y
      - .offset:         160
        .size:           8
        .value_kind:     hidden_global_offset_z
      - .offset:         168
        .size:           2
        .value_kind:     hidden_grid_dims
    .group_segment_fixed_size: 0
    .kernarg_segment_align: 8
    .kernarg_segment_size: 360
    .language:       OpenCL C
    .language_version:
      - 2
      - 0
    .max_flat_workgroup_size: 1024
    .name:           _ZN2at6native12_GLOBAL__N_137compute_grad_weight_atomic_accumulateIfflEEvPKT1_PKT_S5_llS5_PKlS5_S5_S5_PT0_ll
    .private_segment_fixed_size: 0
    .sgpr_count:     30
    .sgpr_spill_count: 0
    .symbol:         _ZN2at6native12_GLOBAL__N_137compute_grad_weight_atomic_accumulateIfflEEvPKT1_PKT_S5_llS5_PKlS5_S5_S5_PT0_ll.kd
    .uniform_work_group_size: 1
    .uses_dynamic_stack: false
    .vgpr_count:     23
    .vgpr_spill_count: 0
    .wavefront_size: 32
    .workgroup_processor_mode: 1
  - .args:
      - .address_space:  global
        .offset:         0
        .size:           8
        .value_kind:     global_buffer
      - .address_space:  global
        .offset:         8
        .size:           8
        .value_kind:     global_buffer
      - .address_space:  global
        .offset:         16
        .size:           8
        .value_kind:     global_buffer
      - .address_space:  global
        .offset:         24
        .size:           8
        .value_kind:     global_buffer
      - .offset:         32
        .size:           8
        .value_kind:     by_value
      - .offset:         40
        .size:           8
        .value_kind:     by_value
      - .offset:         48
        .size:           4
        .value_kind:     by_value
      - .address_space:  global
        .offset:         56
        .size:           8
        .value_kind:     global_buffer
      - .address_space:  global
        .offset:         64
        .size:           8
        .value_kind:     global_buffer
      - .offset:         72
        .size:           8
        .value_kind:     by_value
      - .address_space:  global
        .offset:         80
        .size:           8
        .value_kind:     global_buffer
      - .address_space:  global
        .offset:         88
        .size:           8
        .value_kind:     global_buffer
      - .address_space:  global
        .offset:         96
        .size:           8
        .value_kind:     global_buffer
      - .offset:         104
        .size:           8
        .value_kind:     by_value
      - .offset:         112
        .size:           4
        .value_kind:     hidden_block_count_x
      - .offset:         116
        .size:           4
        .value_kind:     hidden_block_count_y
      - .offset:         120
        .size:           4
        .value_kind:     hidden_block_count_z
      - .offset:         124
        .size:           2
        .value_kind:     hidden_group_size_x
      - .offset:         126
        .size:           2
        .value_kind:     hidden_group_size_y
      - .offset:         128
        .size:           2
        .value_kind:     hidden_group_size_z
      - .offset:         130
        .size:           2
        .value_kind:     hidden_remainder_x
      - .offset:         132
        .size:           2
        .value_kind:     hidden_remainder_y
      - .offset:         134
        .size:           2
        .value_kind:     hidden_remainder_z
      - .offset:         152
        .size:           8
        .value_kind:     hidden_global_offset_x
      - .offset:         160
        .size:           8
        .value_kind:     hidden_global_offset_y
      - .offset:         168
        .size:           8
        .value_kind:     hidden_global_offset_z
      - .offset:         176
        .size:           2
        .value_kind:     hidden_grid_dims
    .group_segment_fixed_size: 0
    .kernarg_segment_align: 8
    .kernarg_segment_size: 368
    .language:       OpenCL C
    .language_version:
      - 2
      - 0
    .max_flat_workgroup_size: 1024
    .name:           _ZN2at6native12_GLOBAL__N_124compute_grad_weight_bagsIflEEvPKT0_PKT_S5_S5_lliS5_S8_lS5_PKlPNS_14AccumulateTypeIS6_Lb1EE4typeEl
    .private_segment_fixed_size: 0
    .sgpr_count:     30
    .sgpr_spill_count: 0
    .symbol:         _ZN2at6native12_GLOBAL__N_124compute_grad_weight_bagsIflEEvPKT0_PKT_S5_S5_lliS5_S8_lS5_PKlPNS_14AccumulateTypeIS6_Lb1EE4typeEl.kd
    .uniform_work_group_size: 1
    .uses_dynamic_stack: false
    .vgpr_count:     29
    .vgpr_spill_count: 0
    .wavefront_size: 32
    .workgroup_processor_mode: 1
  - .args:
      - .address_space:  global
        .offset:         0
        .size:           8
        .value_kind:     global_buffer
      - .address_space:  global
        .offset:         8
        .size:           8
        .value_kind:     global_buffer
      - .address_space:  global
        .offset:         16
        .size:           8
        .value_kind:     global_buffer
      - .offset:         24
        .size:           8
        .value_kind:     by_value
      - .offset:         32
        .size:           8
        .value_kind:     by_value
      - .address_space:  global
        .offset:         40
        .size:           8
        .value_kind:     global_buffer
      - .address_space:  global
        .offset:         48
        .size:           8
        .value_kind:     global_buffer
      - .address_space:  global
        .offset:         56
        .size:           8
        .value_kind:     global_buffer
      - .offset:         64
        .size:           8
        .value_kind:     by_value
      - .offset:         72
        .size:           4
        .value_kind:     hidden_block_count_x
      - .offset:         76
        .size:           4
        .value_kind:     hidden_block_count_y
      - .offset:         80
        .size:           4
        .value_kind:     hidden_block_count_z
      - .offset:         84
        .size:           2
        .value_kind:     hidden_group_size_x
      - .offset:         86
        .size:           2
        .value_kind:     hidden_group_size_y
      - .offset:         88
        .size:           2
        .value_kind:     hidden_group_size_z
      - .offset:         90
        .size:           2
        .value_kind:     hidden_remainder_x
      - .offset:         92
        .size:           2
        .value_kind:     hidden_remainder_y
      - .offset:         94
        .size:           2
        .value_kind:     hidden_remainder_z
      - .offset:         112
        .size:           8
        .value_kind:     hidden_global_offset_x
      - .offset:         120
        .size:           8
        .value_kind:     hidden_global_offset_y
      - .offset:         128
        .size:           8
        .value_kind:     hidden_global_offset_z
      - .offset:         136
        .size:           2
        .value_kind:     hidden_grid_dims
    .group_segment_fixed_size: 0
    .kernarg_segment_align: 8
    .kernarg_segment_size: 328
    .language:       OpenCL C
    .language_version:
      - 2
      - 0
    .max_flat_workgroup_size: 1024
    .name:           _ZN2at6native12_GLOBAL__N_119compute_grad_weightIflEEvPKT0_PKT_S5_llS5_PKlPNS_14AccumulateTypeIS6_Lb1EE4typeEl
    .private_segment_fixed_size: 0
    .sgpr_count:     38
    .sgpr_spill_count: 0
    .symbol:         _ZN2at6native12_GLOBAL__N_119compute_grad_weightIflEEvPKT0_PKT_S5_llS5_PKlPNS_14AccumulateTypeIS6_Lb1EE4typeEl.kd
    .uniform_work_group_size: 1
    .uses_dynamic_stack: false
    .vgpr_count:     21
    .vgpr_spill_count: 0
    .wavefront_size: 32
    .workgroup_processor_mode: 1
  - .args:
      - .address_space:  global
        .offset:         0
        .size:           8
        .value_kind:     global_buffer
      - .address_space:  global
        .offset:         8
        .size:           8
        .value_kind:     global_buffer
      - .offset:         16
        .size:           8
        .value_kind:     by_value
      - .address_space:  global
        .offset:         24
        .size:           8
        .value_kind:     global_buffer
      - .address_space:  global
        .offset:         32
        .size:           8
        .value_kind:     global_buffer
      - .address_space:  global
        .offset:         40
        .size:           8
        .value_kind:     global_buffer
      - .address_space:  global
        .offset:         48
        .size:           8
        .value_kind:     global_buffer
      - .address_space:  global
        .offset:         56
        .size:           8
        .value_kind:     global_buffer
      - .offset:         64
        .size:           8
        .value_kind:     by_value
      - .offset:         72
        .size:           8
        .value_kind:     by_value
      - .offset:         80
        .size:           4
        .value_kind:     hidden_block_count_x
      - .offset:         84
        .size:           4
        .value_kind:     hidden_block_count_y
      - .offset:         88
        .size:           4
        .value_kind:     hidden_block_count_z
      - .offset:         92
        .size:           2
        .value_kind:     hidden_group_size_x
      - .offset:         94
        .size:           2
        .value_kind:     hidden_group_size_y
      - .offset:         96
        .size:           2
        .value_kind:     hidden_group_size_z
      - .offset:         98
        .size:           2
        .value_kind:     hidden_remainder_x
      - .offset:         100
        .size:           2
        .value_kind:     hidden_remainder_y
      - .offset:         102
        .size:           2
        .value_kind:     hidden_remainder_z
      - .offset:         120
        .size:           8
        .value_kind:     hidden_global_offset_x
      - .offset:         128
        .size:           8
        .value_kind:     hidden_global_offset_y
      - .offset:         136
        .size:           8
        .value_kind:     hidden_global_offset_z
      - .offset:         144
        .size:           2
        .value_kind:     hidden_grid_dims
    .group_segment_fixed_size: 0
    .kernarg_segment_align: 8
    .kernarg_segment_size: 336
    .language:       OpenCL C
    .language_version:
      - 2
      - 0
    .max_flat_workgroup_size: 1024
    .name:           _ZN2at6native12_GLOBAL__N_115sum_and_scatterIflEEvPKT0_PT_lS5_PKlPKNS_14AccumulateTypeIS6_Lb1EE4typeES5_S9_ll
    .private_segment_fixed_size: 0
    .sgpr_count:     40
    .sgpr_spill_count: 0
    .symbol:         _ZN2at6native12_GLOBAL__N_115sum_and_scatterIflEEvPKT0_PT_lS5_PKlPKNS_14AccumulateTypeIS6_Lb1EE4typeES5_S9_ll.kd
    .uniform_work_group_size: 1
    .uses_dynamic_stack: false
    .vgpr_count:     14
    .vgpr_spill_count: 0
    .wavefront_size: 32
    .workgroup_processor_mode: 1
  - .args:
      - .address_space:  global
        .offset:         0
        .size:           8
        .value_kind:     global_buffer
      - .address_space:  global
        .offset:         8
        .size:           8
        .value_kind:     global_buffer
      - .address_space:  global
        .offset:         16
        .size:           8
        .value_kind:     global_buffer
      - .offset:         24
        .size:           8
        .value_kind:     by_value
      - .offset:         32
        .size:           8
        .value_kind:     by_value
      - .address_space:  global
        .offset:         40
        .size:           8
        .value_kind:     global_buffer
      - .address_space:  global
        .offset:         48
        .size:           8
        .value_kind:     global_buffer
      - .address_space:  global
        .offset:         56
        .size:           8
        .value_kind:     global_buffer
      - .address_space:  global
        .offset:         64
        .size:           8
        .value_kind:     global_buffer
      - .address_space:  global
        .offset:         72
        .size:           8
        .value_kind:     global_buffer
      - .address_space:  global
        .offset:         80
        .size:           8
        .value_kind:     global_buffer
      - .offset:         88
        .size:           8
        .value_kind:     by_value
      - .offset:         96
        .size:           8
        .value_kind:     by_value
      - .offset:         104
        .size:           4
        .value_kind:     hidden_block_count_x
      - .offset:         108
        .size:           4
        .value_kind:     hidden_block_count_y
      - .offset:         112
        .size:           4
        .value_kind:     hidden_block_count_z
      - .offset:         116
        .size:           2
        .value_kind:     hidden_group_size_x
      - .offset:         118
        .size:           2
        .value_kind:     hidden_group_size_y
      - .offset:         120
        .size:           2
        .value_kind:     hidden_group_size_z
      - .offset:         122
        .size:           2
        .value_kind:     hidden_remainder_x
      - .offset:         124
        .size:           2
        .value_kind:     hidden_remainder_y
      - .offset:         126
        .size:           2
        .value_kind:     hidden_remainder_z
      - .offset:         144
        .size:           8
        .value_kind:     hidden_global_offset_x
      - .offset:         152
        .size:           8
        .value_kind:     hidden_global_offset_y
      - .offset:         160
        .size:           8
        .value_kind:     hidden_global_offset_z
      - .offset:         168
        .size:           2
        .value_kind:     hidden_grid_dims
    .group_segment_fixed_size: 0
    .kernarg_segment_align: 8
    .kernarg_segment_size: 360
    .language:       OpenCL C
    .language_version:
      - 2
      - 0
    .max_flat_workgroup_size: 1024
    .name:           _ZN2at6native12_GLOBAL__N_137compute_grad_weight_atomic_accumulateIN3c104HalfEflEEvPKT1_PKT_S7_llS7_PKlS7_S7_S7_PT0_ll
    .private_segment_fixed_size: 0
    .sgpr_count:     30
    .sgpr_spill_count: 0
    .symbol:         _ZN2at6native12_GLOBAL__N_137compute_grad_weight_atomic_accumulateIN3c104HalfEflEEvPKT1_PKT_S7_llS7_PKlS7_S7_S7_PT0_ll.kd
    .uniform_work_group_size: 1
    .uses_dynamic_stack: false
    .vgpr_count:     23
    .vgpr_spill_count: 0
    .wavefront_size: 32
    .workgroup_processor_mode: 1
  - .args:
      - .address_space:  global
        .offset:         0
        .size:           8
        .value_kind:     global_buffer
      - .address_space:  global
        .offset:         8
        .size:           8
        .value_kind:     global_buffer
      - .address_space:  global
        .offset:         16
        .size:           8
        .value_kind:     global_buffer
      - .address_space:  global
        .offset:         24
        .size:           8
        .value_kind:     global_buffer
      - .offset:         32
        .size:           8
        .value_kind:     by_value
      - .offset:         40
        .size:           8
        .value_kind:     by_value
      - .offset:         48
        .size:           4
        .value_kind:     by_value
      - .address_space:  global
        .offset:         56
        .size:           8
        .value_kind:     global_buffer
      - .address_space:  global
        .offset:         64
        .size:           8
        .value_kind:     global_buffer
      - .offset:         72
        .size:           8
        .value_kind:     by_value
      - .address_space:  global
        .offset:         80
        .size:           8
        .value_kind:     global_buffer
      - .address_space:  global
        .offset:         88
        .size:           8
        .value_kind:     global_buffer
      - .address_space:  global
        .offset:         96
        .size:           8
        .value_kind:     global_buffer
      - .offset:         104
        .size:           8
        .value_kind:     by_value
      - .offset:         112
        .size:           4
        .value_kind:     hidden_block_count_x
      - .offset:         116
        .size:           4
        .value_kind:     hidden_block_count_y
      - .offset:         120
        .size:           4
        .value_kind:     hidden_block_count_z
      - .offset:         124
        .size:           2
        .value_kind:     hidden_group_size_x
      - .offset:         126
        .size:           2
        .value_kind:     hidden_group_size_y
      - .offset:         128
        .size:           2
        .value_kind:     hidden_group_size_z
      - .offset:         130
        .size:           2
        .value_kind:     hidden_remainder_x
      - .offset:         132
        .size:           2
        .value_kind:     hidden_remainder_y
      - .offset:         134
        .size:           2
        .value_kind:     hidden_remainder_z
      - .offset:         152
        .size:           8
        .value_kind:     hidden_global_offset_x
      - .offset:         160
        .size:           8
        .value_kind:     hidden_global_offset_y
      - .offset:         168
        .size:           8
        .value_kind:     hidden_global_offset_z
      - .offset:         176
        .size:           2
        .value_kind:     hidden_grid_dims
    .group_segment_fixed_size: 0
    .kernarg_segment_align: 8
    .kernarg_segment_size: 368
    .language:       OpenCL C
    .language_version:
      - 2
      - 0
    .max_flat_workgroup_size: 1024
    .name:           _ZN2at6native12_GLOBAL__N_124compute_grad_weight_bagsIN3c104HalfElEEvPKT0_PKT_S7_S7_lliS7_SA_lS7_PKlPNS_14AccumulateTypeIS8_Lb1EE4typeEl
    .private_segment_fixed_size: 0
    .sgpr_count:     30
    .sgpr_spill_count: 0
    .symbol:         _ZN2at6native12_GLOBAL__N_124compute_grad_weight_bagsIN3c104HalfElEEvPKT0_PKT_S7_S7_lliS7_SA_lS7_PKlPNS_14AccumulateTypeIS8_Lb1EE4typeEl.kd
    .uniform_work_group_size: 1
    .uses_dynamic_stack: false
    .vgpr_count:     28
    .vgpr_spill_count: 0
    .wavefront_size: 32
    .workgroup_processor_mode: 1
  - .args:
      - .address_space:  global
        .offset:         0
        .size:           8
        .value_kind:     global_buffer
      - .address_space:  global
        .offset:         8
        .size:           8
        .value_kind:     global_buffer
      - .address_space:  global
        .offset:         16
        .size:           8
        .value_kind:     global_buffer
      - .offset:         24
        .size:           8
        .value_kind:     by_value
      - .offset:         32
        .size:           8
        .value_kind:     by_value
      - .address_space:  global
        .offset:         40
        .size:           8
        .value_kind:     global_buffer
      - .address_space:  global
        .offset:         48
        .size:           8
        .value_kind:     global_buffer
      - .address_space:  global
        .offset:         56
        .size:           8
        .value_kind:     global_buffer
      - .offset:         64
        .size:           8
        .value_kind:     by_value
      - .offset:         72
        .size:           4
        .value_kind:     hidden_block_count_x
      - .offset:         76
        .size:           4
        .value_kind:     hidden_block_count_y
      - .offset:         80
        .size:           4
        .value_kind:     hidden_block_count_z
      - .offset:         84
        .size:           2
        .value_kind:     hidden_group_size_x
      - .offset:         86
        .size:           2
        .value_kind:     hidden_group_size_y
      - .offset:         88
        .size:           2
        .value_kind:     hidden_group_size_z
      - .offset:         90
        .size:           2
        .value_kind:     hidden_remainder_x
      - .offset:         92
        .size:           2
        .value_kind:     hidden_remainder_y
      - .offset:         94
        .size:           2
        .value_kind:     hidden_remainder_z
      - .offset:         112
        .size:           8
        .value_kind:     hidden_global_offset_x
      - .offset:         120
        .size:           8
        .value_kind:     hidden_global_offset_y
      - .offset:         128
        .size:           8
        .value_kind:     hidden_global_offset_z
      - .offset:         136
        .size:           2
        .value_kind:     hidden_grid_dims
    .group_segment_fixed_size: 0
    .kernarg_segment_align: 8
    .kernarg_segment_size: 328
    .language:       OpenCL C
    .language_version:
      - 2
      - 0
    .max_flat_workgroup_size: 1024
    .name:           _ZN2at6native12_GLOBAL__N_119compute_grad_weightIN3c104HalfElEEvPKT0_PKT_S7_llS7_PKlPNS_14AccumulateTypeIS8_Lb1EE4typeEl
    .private_segment_fixed_size: 0
    .sgpr_count:     38
    .sgpr_spill_count: 0
    .symbol:         _ZN2at6native12_GLOBAL__N_119compute_grad_weightIN3c104HalfElEEvPKT0_PKT_S7_llS7_PKlPNS_14AccumulateTypeIS8_Lb1EE4typeEl.kd
    .uniform_work_group_size: 1
    .uses_dynamic_stack: false
    .vgpr_count:     21
    .vgpr_spill_count: 0
    .wavefront_size: 32
    .workgroup_processor_mode: 1
  - .args:
      - .address_space:  global
        .offset:         0
        .size:           8
        .value_kind:     global_buffer
      - .address_space:  global
        .offset:         8
        .size:           8
        .value_kind:     global_buffer
      - .offset:         16
        .size:           8
        .value_kind:     by_value
      - .address_space:  global
        .offset:         24
        .size:           8
        .value_kind:     global_buffer
      - .address_space:  global
        .offset:         32
        .size:           8
        .value_kind:     global_buffer
      - .address_space:  global
        .offset:         40
        .size:           8
        .value_kind:     global_buffer
      - .address_space:  global
        .offset:         48
        .size:           8
        .value_kind:     global_buffer
      - .address_space:  global
        .offset:         56
        .size:           8
        .value_kind:     global_buffer
      - .offset:         64
        .size:           8
        .value_kind:     by_value
      - .offset:         72
        .size:           8
        .value_kind:     by_value
      - .offset:         80
        .size:           4
        .value_kind:     hidden_block_count_x
      - .offset:         84
        .size:           4
        .value_kind:     hidden_block_count_y
      - .offset:         88
        .size:           4
        .value_kind:     hidden_block_count_z
      - .offset:         92
        .size:           2
        .value_kind:     hidden_group_size_x
      - .offset:         94
        .size:           2
        .value_kind:     hidden_group_size_y
      - .offset:         96
        .size:           2
        .value_kind:     hidden_group_size_z
      - .offset:         98
        .size:           2
        .value_kind:     hidden_remainder_x
      - .offset:         100
        .size:           2
        .value_kind:     hidden_remainder_y
      - .offset:         102
        .size:           2
        .value_kind:     hidden_remainder_z
      - .offset:         120
        .size:           8
        .value_kind:     hidden_global_offset_x
      - .offset:         128
        .size:           8
        .value_kind:     hidden_global_offset_y
      - .offset:         136
        .size:           8
        .value_kind:     hidden_global_offset_z
      - .offset:         144
        .size:           2
        .value_kind:     hidden_grid_dims
    .group_segment_fixed_size: 0
    .kernarg_segment_align: 8
    .kernarg_segment_size: 336
    .language:       OpenCL C
    .language_version:
      - 2
      - 0
    .max_flat_workgroup_size: 1024
    .name:           _ZN2at6native12_GLOBAL__N_115sum_and_scatterIN3c104HalfElEEvPKT0_PT_lS7_PKlPKNS_14AccumulateTypeIS8_Lb1EE4typeES7_SB_ll
    .private_segment_fixed_size: 0
    .sgpr_count:     40
    .sgpr_spill_count: 0
    .symbol:         _ZN2at6native12_GLOBAL__N_115sum_and_scatterIN3c104HalfElEEvPKT0_PT_lS7_PKlPKNS_14AccumulateTypeIS8_Lb1EE4typeES7_SB_ll.kd
    .uniform_work_group_size: 1
    .uses_dynamic_stack: false
    .vgpr_count:     14
    .vgpr_spill_count: 0
    .wavefront_size: 32
    .workgroup_processor_mode: 1
  - .args:
      - .address_space:  global
        .offset:         0
        .size:           8
        .value_kind:     global_buffer
      - .address_space:  global
        .offset:         8
        .size:           8
        .value_kind:     global_buffer
      - .address_space:  global
        .offset:         16
        .size:           8
        .value_kind:     global_buffer
      - .offset:         24
        .size:           8
        .value_kind:     by_value
      - .offset:         32
        .size:           8
        .value_kind:     by_value
      - .address_space:  global
        .offset:         40
        .size:           8
        .value_kind:     global_buffer
      - .address_space:  global
        .offset:         48
        .size:           8
        .value_kind:     global_buffer
      - .address_space:  global
        .offset:         56
        .size:           8
        .value_kind:     global_buffer
      - .address_space:  global
        .offset:         64
        .size:           8
        .value_kind:     global_buffer
      - .address_space:  global
        .offset:         72
        .size:           8
        .value_kind:     global_buffer
      - .address_space:  global
        .offset:         80
        .size:           8
        .value_kind:     global_buffer
      - .offset:         88
        .size:           8
        .value_kind:     by_value
      - .offset:         96
        .size:           8
        .value_kind:     by_value
      - .offset:         104
        .size:           4
        .value_kind:     hidden_block_count_x
      - .offset:         108
        .size:           4
        .value_kind:     hidden_block_count_y
      - .offset:         112
        .size:           4
        .value_kind:     hidden_block_count_z
      - .offset:         116
        .size:           2
        .value_kind:     hidden_group_size_x
      - .offset:         118
        .size:           2
        .value_kind:     hidden_group_size_y
      - .offset:         120
        .size:           2
        .value_kind:     hidden_group_size_z
      - .offset:         122
        .size:           2
        .value_kind:     hidden_remainder_x
      - .offset:         124
        .size:           2
        .value_kind:     hidden_remainder_y
      - .offset:         126
        .size:           2
        .value_kind:     hidden_remainder_z
      - .offset:         144
        .size:           8
        .value_kind:     hidden_global_offset_x
      - .offset:         152
        .size:           8
        .value_kind:     hidden_global_offset_y
      - .offset:         160
        .size:           8
        .value_kind:     hidden_global_offset_z
      - .offset:         168
        .size:           2
        .value_kind:     hidden_grid_dims
    .group_segment_fixed_size: 0
    .kernarg_segment_align: 8
    .kernarg_segment_size: 360
    .language:       OpenCL C
    .language_version:
      - 2
      - 0
    .max_flat_workgroup_size: 1024
    .name:           _ZN2at6native12_GLOBAL__N_137compute_grad_weight_atomic_accumulateIN3c108BFloat16EflEEvPKT1_PKT_S7_llS7_PKlS7_S7_S7_PT0_ll
    .private_segment_fixed_size: 0
    .sgpr_count:     30
    .sgpr_spill_count: 0
    .symbol:         _ZN2at6native12_GLOBAL__N_137compute_grad_weight_atomic_accumulateIN3c108BFloat16EflEEvPKT1_PKT_S7_llS7_PKlS7_S7_S7_PT0_ll.kd
    .uniform_work_group_size: 1
    .uses_dynamic_stack: false
    .vgpr_count:     23
    .vgpr_spill_count: 0
    .wavefront_size: 32
    .workgroup_processor_mode: 1
  - .args:
      - .address_space:  global
        .offset:         0
        .size:           8
        .value_kind:     global_buffer
      - .address_space:  global
        .offset:         8
        .size:           8
        .value_kind:     global_buffer
      - .address_space:  global
        .offset:         16
        .size:           8
        .value_kind:     global_buffer
      - .address_space:  global
        .offset:         24
        .size:           8
        .value_kind:     global_buffer
      - .offset:         32
        .size:           8
        .value_kind:     by_value
      - .offset:         40
        .size:           8
        .value_kind:     by_value
      - .offset:         48
        .size:           4
        .value_kind:     by_value
      - .address_space:  global
        .offset:         56
        .size:           8
        .value_kind:     global_buffer
      - .address_space:  global
        .offset:         64
        .size:           8
        .value_kind:     global_buffer
      - .offset:         72
        .size:           8
        .value_kind:     by_value
      - .address_space:  global
        .offset:         80
        .size:           8
        .value_kind:     global_buffer
      - .address_space:  global
        .offset:         88
        .size:           8
        .value_kind:     global_buffer
      - .address_space:  global
        .offset:         96
        .size:           8
        .value_kind:     global_buffer
      - .offset:         104
        .size:           8
        .value_kind:     by_value
      - .offset:         112
        .size:           4
        .value_kind:     hidden_block_count_x
      - .offset:         116
        .size:           4
        .value_kind:     hidden_block_count_y
      - .offset:         120
        .size:           4
        .value_kind:     hidden_block_count_z
      - .offset:         124
        .size:           2
        .value_kind:     hidden_group_size_x
      - .offset:         126
        .size:           2
        .value_kind:     hidden_group_size_y
      - .offset:         128
        .size:           2
        .value_kind:     hidden_group_size_z
      - .offset:         130
        .size:           2
        .value_kind:     hidden_remainder_x
      - .offset:         132
        .size:           2
        .value_kind:     hidden_remainder_y
      - .offset:         134
        .size:           2
        .value_kind:     hidden_remainder_z
      - .offset:         152
        .size:           8
        .value_kind:     hidden_global_offset_x
      - .offset:         160
        .size:           8
        .value_kind:     hidden_global_offset_y
      - .offset:         168
        .size:           8
        .value_kind:     hidden_global_offset_z
      - .offset:         176
        .size:           2
        .value_kind:     hidden_grid_dims
    .group_segment_fixed_size: 0
    .kernarg_segment_align: 8
    .kernarg_segment_size: 368
    .language:       OpenCL C
    .language_version:
      - 2
      - 0
    .max_flat_workgroup_size: 1024
    .name:           _ZN2at6native12_GLOBAL__N_124compute_grad_weight_bagsIN3c108BFloat16ElEEvPKT0_PKT_S7_S7_lliS7_SA_lS7_PKlPNS_14AccumulateTypeIS8_Lb1EE4typeEl
    .private_segment_fixed_size: 0
    .sgpr_count:     30
    .sgpr_spill_count: 0
    .symbol:         _ZN2at6native12_GLOBAL__N_124compute_grad_weight_bagsIN3c108BFloat16ElEEvPKT0_PKT_S7_S7_lliS7_SA_lS7_PKlPNS_14AccumulateTypeIS8_Lb1EE4typeEl.kd
    .uniform_work_group_size: 1
    .uses_dynamic_stack: false
    .vgpr_count:     28
    .vgpr_spill_count: 0
    .wavefront_size: 32
    .workgroup_processor_mode: 1
  - .args:
      - .address_space:  global
        .offset:         0
        .size:           8
        .value_kind:     global_buffer
      - .address_space:  global
        .offset:         8
        .size:           8
        .value_kind:     global_buffer
      - .address_space:  global
        .offset:         16
        .size:           8
        .value_kind:     global_buffer
      - .offset:         24
        .size:           8
        .value_kind:     by_value
      - .offset:         32
        .size:           8
        .value_kind:     by_value
      - .address_space:  global
        .offset:         40
        .size:           8
        .value_kind:     global_buffer
      - .address_space:  global
        .offset:         48
        .size:           8
        .value_kind:     global_buffer
      - .address_space:  global
        .offset:         56
        .size:           8
        .value_kind:     global_buffer
      - .offset:         64
        .size:           8
        .value_kind:     by_value
      - .offset:         72
        .size:           4
        .value_kind:     hidden_block_count_x
      - .offset:         76
        .size:           4
        .value_kind:     hidden_block_count_y
      - .offset:         80
        .size:           4
        .value_kind:     hidden_block_count_z
      - .offset:         84
        .size:           2
        .value_kind:     hidden_group_size_x
      - .offset:         86
        .size:           2
        .value_kind:     hidden_group_size_y
      - .offset:         88
        .size:           2
        .value_kind:     hidden_group_size_z
      - .offset:         90
        .size:           2
        .value_kind:     hidden_remainder_x
      - .offset:         92
        .size:           2
        .value_kind:     hidden_remainder_y
      - .offset:         94
        .size:           2
        .value_kind:     hidden_remainder_z
      - .offset:         112
        .size:           8
        .value_kind:     hidden_global_offset_x
      - .offset:         120
        .size:           8
        .value_kind:     hidden_global_offset_y
      - .offset:         128
        .size:           8
        .value_kind:     hidden_global_offset_z
      - .offset:         136
        .size:           2
        .value_kind:     hidden_grid_dims
    .group_segment_fixed_size: 0
    .kernarg_segment_align: 8
    .kernarg_segment_size: 328
    .language:       OpenCL C
    .language_version:
      - 2
      - 0
    .max_flat_workgroup_size: 1024
    .name:           _ZN2at6native12_GLOBAL__N_119compute_grad_weightIN3c108BFloat16ElEEvPKT0_PKT_S7_llS7_PKlPNS_14AccumulateTypeIS8_Lb1EE4typeEl
    .private_segment_fixed_size: 0
    .sgpr_count:     38
    .sgpr_spill_count: 0
    .symbol:         _ZN2at6native12_GLOBAL__N_119compute_grad_weightIN3c108BFloat16ElEEvPKT0_PKT_S7_llS7_PKlPNS_14AccumulateTypeIS8_Lb1EE4typeEl.kd
    .uniform_work_group_size: 1
    .uses_dynamic_stack: false
    .vgpr_count:     21
    .vgpr_spill_count: 0
    .wavefront_size: 32
    .workgroup_processor_mode: 1
  - .args:
      - .address_space:  global
        .offset:         0
        .size:           8
        .value_kind:     global_buffer
      - .address_space:  global
        .offset:         8
        .size:           8
        .value_kind:     global_buffer
      - .offset:         16
        .size:           8
        .value_kind:     by_value
      - .address_space:  global
        .offset:         24
        .size:           8
        .value_kind:     global_buffer
      - .address_space:  global
        .offset:         32
        .size:           8
        .value_kind:     global_buffer
      - .address_space:  global
        .offset:         40
        .size:           8
        .value_kind:     global_buffer
      - .address_space:  global
        .offset:         48
        .size:           8
        .value_kind:     global_buffer
      - .address_space:  global
        .offset:         56
        .size:           8
        .value_kind:     global_buffer
      - .offset:         64
        .size:           8
        .value_kind:     by_value
      - .offset:         72
        .size:           8
        .value_kind:     by_value
      - .offset:         80
        .size:           4
        .value_kind:     hidden_block_count_x
      - .offset:         84
        .size:           4
        .value_kind:     hidden_block_count_y
      - .offset:         88
        .size:           4
        .value_kind:     hidden_block_count_z
      - .offset:         92
        .size:           2
        .value_kind:     hidden_group_size_x
      - .offset:         94
        .size:           2
        .value_kind:     hidden_group_size_y
      - .offset:         96
        .size:           2
        .value_kind:     hidden_group_size_z
      - .offset:         98
        .size:           2
        .value_kind:     hidden_remainder_x
      - .offset:         100
        .size:           2
        .value_kind:     hidden_remainder_y
      - .offset:         102
        .size:           2
        .value_kind:     hidden_remainder_z
      - .offset:         120
        .size:           8
        .value_kind:     hidden_global_offset_x
      - .offset:         128
        .size:           8
        .value_kind:     hidden_global_offset_y
      - .offset:         136
        .size:           8
        .value_kind:     hidden_global_offset_z
      - .offset:         144
        .size:           2
        .value_kind:     hidden_grid_dims
    .group_segment_fixed_size: 0
    .kernarg_segment_align: 8
    .kernarg_segment_size: 336
    .language:       OpenCL C
    .language_version:
      - 2
      - 0
    .max_flat_workgroup_size: 1024
    .name:           _ZN2at6native12_GLOBAL__N_115sum_and_scatterIN3c108BFloat16ElEEvPKT0_PT_lS7_PKlPKNS_14AccumulateTypeIS8_Lb1EE4typeES7_SB_ll
    .private_segment_fixed_size: 0
    .sgpr_count:     40
    .sgpr_spill_count: 0
    .symbol:         _ZN2at6native12_GLOBAL__N_115sum_and_scatterIN3c108BFloat16ElEEvPKT0_PT_lS7_PKlPKNS_14AccumulateTypeIS8_Lb1EE4typeES7_SB_ll.kd
    .uniform_work_group_size: 1
    .uses_dynamic_stack: false
    .vgpr_count:     14
    .vgpr_spill_count: 0
    .wavefront_size: 32
    .workgroup_processor_mode: 1
amdhsa.target:   amdgcn-amd-amdhsa--gfx1201
amdhsa.version:
  - 1
  - 2
...

	.end_amdgpu_metadata
